;; amdgpu-corpus repo=ROCm/rocThrust kind=compiled arch=gfx90a opt=O3
	.text
	.amdgcn_target "amdgcn-amd-amdhsa--gfx90a"
	.amdhsa_code_object_version 6
	.section	.text._ZN6thrust23THRUST_200600_302600_NS11hip_rocprim14__parallel_for6kernelILj256ENS1_20__uninitialized_fill7functorINS0_10device_ptrIdEEdEEmLj1EEEvT0_T1_SA_,"axG",@progbits,_ZN6thrust23THRUST_200600_302600_NS11hip_rocprim14__parallel_for6kernelILj256ENS1_20__uninitialized_fill7functorINS0_10device_ptrIdEEdEEmLj1EEEvT0_T1_SA_,comdat
	.protected	_ZN6thrust23THRUST_200600_302600_NS11hip_rocprim14__parallel_for6kernelILj256ENS1_20__uninitialized_fill7functorINS0_10device_ptrIdEEdEEmLj1EEEvT0_T1_SA_ ; -- Begin function _ZN6thrust23THRUST_200600_302600_NS11hip_rocprim14__parallel_for6kernelILj256ENS1_20__uninitialized_fill7functorINS0_10device_ptrIdEEdEEmLj1EEEvT0_T1_SA_
	.globl	_ZN6thrust23THRUST_200600_302600_NS11hip_rocprim14__parallel_for6kernelILj256ENS1_20__uninitialized_fill7functorINS0_10device_ptrIdEEdEEmLj1EEEvT0_T1_SA_
	.p2align	8
	.type	_ZN6thrust23THRUST_200600_302600_NS11hip_rocprim14__parallel_for6kernelILj256ENS1_20__uninitialized_fill7functorINS0_10device_ptrIdEEdEEmLj1EEEvT0_T1_SA_,@function
_ZN6thrust23THRUST_200600_302600_NS11hip_rocprim14__parallel_for6kernelILj256ENS1_20__uninitialized_fill7functorINS0_10device_ptrIdEEdEEmLj1EEEvT0_T1_SA_: ; @_ZN6thrust23THRUST_200600_302600_NS11hip_rocprim14__parallel_for6kernelILj256ENS1_20__uninitialized_fill7functorINS0_10device_ptrIdEEdEEmLj1EEEvT0_T1_SA_
; %bb.0:
	s_load_dwordx8 s[8:15], s[4:5], 0x0
	s_lshl_b32 s0, s6, 8
	v_mov_b32_e32 v2, 0x100
	v_mov_b32_e32 v3, 0
	s_waitcnt lgkmcnt(0)
	s_add_u32 s0, s0, s14
	s_addc_u32 s1, 0, s15
	s_sub_u32 s2, s12, s0
	s_subb_u32 s3, s13, s1
	v_cmp_lt_u64_e32 vcc, s[2:3], v[2:3]
	s_cbranch_vccz .LBB0_2
; %bb.1:
	v_cmp_gt_u32_e32 vcc, s2, v0
	s_and_b64 s[2:3], vcc, exec
	s_cbranch_execz .LBB0_3
	s_branch .LBB0_4
.LBB0_2:
	s_mov_b64 s[2:3], 0
.LBB0_3:
	s_or_b64 s[2:3], s[2:3], exec
.LBB0_4:
	s_and_saveexec_b64 s[4:5], s[2:3]
	s_cbranch_execnz .LBB0_6
; %bb.5:
	s_endpgm
.LBB0_6:
	s_lshl_b64 s[0:1], s[0:1], 3
	v_mov_b32_e32 v1, 0
	s_add_u32 s0, s8, s0
	s_addc_u32 s1, s9, s1
	v_lshlrev_b64 v[0:1], 3, v[0:1]
	v_mov_b32_e32 v4, s1
	v_add_co_u32_e32 v0, vcc, s0, v0
	v_mov_b32_e32 v2, s10
	v_mov_b32_e32 v3, s11
	v_addc_co_u32_e32 v1, vcc, v4, v1, vcc
	flat_store_dwordx2 v[0:1], v[2:3]
	s_endpgm
	.section	.rodata,"a",@progbits
	.p2align	6, 0x0
	.amdhsa_kernel _ZN6thrust23THRUST_200600_302600_NS11hip_rocprim14__parallel_for6kernelILj256ENS1_20__uninitialized_fill7functorINS0_10device_ptrIdEEdEEmLj1EEEvT0_T1_SA_
		.amdhsa_group_segment_fixed_size 0
		.amdhsa_private_segment_fixed_size 0
		.amdhsa_kernarg_size 32
		.amdhsa_user_sgpr_count 6
		.amdhsa_user_sgpr_private_segment_buffer 1
		.amdhsa_user_sgpr_dispatch_ptr 0
		.amdhsa_user_sgpr_queue_ptr 0
		.amdhsa_user_sgpr_kernarg_segment_ptr 1
		.amdhsa_user_sgpr_dispatch_id 0
		.amdhsa_user_sgpr_flat_scratch_init 0
		.amdhsa_user_sgpr_kernarg_preload_length 0
		.amdhsa_user_sgpr_kernarg_preload_offset 0
		.amdhsa_user_sgpr_private_segment_size 0
		.amdhsa_uses_dynamic_stack 0
		.amdhsa_system_sgpr_private_segment_wavefront_offset 0
		.amdhsa_system_sgpr_workgroup_id_x 1
		.amdhsa_system_sgpr_workgroup_id_y 0
		.amdhsa_system_sgpr_workgroup_id_z 0
		.amdhsa_system_sgpr_workgroup_info 0
		.amdhsa_system_vgpr_workitem_id 0
		.amdhsa_next_free_vgpr 5
		.amdhsa_next_free_sgpr 16
		.amdhsa_accum_offset 8
		.amdhsa_reserve_vcc 1
		.amdhsa_reserve_flat_scratch 0
		.amdhsa_float_round_mode_32 0
		.amdhsa_float_round_mode_16_64 0
		.amdhsa_float_denorm_mode_32 3
		.amdhsa_float_denorm_mode_16_64 3
		.amdhsa_dx10_clamp 1
		.amdhsa_ieee_mode 1
		.amdhsa_fp16_overflow 0
		.amdhsa_tg_split 0
		.amdhsa_exception_fp_ieee_invalid_op 0
		.amdhsa_exception_fp_denorm_src 0
		.amdhsa_exception_fp_ieee_div_zero 0
		.amdhsa_exception_fp_ieee_overflow 0
		.amdhsa_exception_fp_ieee_underflow 0
		.amdhsa_exception_fp_ieee_inexact 0
		.amdhsa_exception_int_div_zero 0
	.end_amdhsa_kernel
	.section	.text._ZN6thrust23THRUST_200600_302600_NS11hip_rocprim14__parallel_for6kernelILj256ENS1_20__uninitialized_fill7functorINS0_10device_ptrIdEEdEEmLj1EEEvT0_T1_SA_,"axG",@progbits,_ZN6thrust23THRUST_200600_302600_NS11hip_rocprim14__parallel_for6kernelILj256ENS1_20__uninitialized_fill7functorINS0_10device_ptrIdEEdEEmLj1EEEvT0_T1_SA_,comdat
.Lfunc_end0:
	.size	_ZN6thrust23THRUST_200600_302600_NS11hip_rocprim14__parallel_for6kernelILj256ENS1_20__uninitialized_fill7functorINS0_10device_ptrIdEEdEEmLj1EEEvT0_T1_SA_, .Lfunc_end0-_ZN6thrust23THRUST_200600_302600_NS11hip_rocprim14__parallel_for6kernelILj256ENS1_20__uninitialized_fill7functorINS0_10device_ptrIdEEdEEmLj1EEEvT0_T1_SA_
                                        ; -- End function
	.section	.AMDGPU.csdata,"",@progbits
; Kernel info:
; codeLenInByte = 144
; NumSgprs: 20
; NumVgprs: 5
; NumAgprs: 0
; TotalNumVgprs: 5
; ScratchSize: 0
; MemoryBound: 0
; FloatMode: 240
; IeeeMode: 1
; LDSByteSize: 0 bytes/workgroup (compile time only)
; SGPRBlocks: 2
; VGPRBlocks: 0
; NumSGPRsForWavesPerEU: 20
; NumVGPRsForWavesPerEU: 5
; AccumOffset: 8
; Occupancy: 8
; WaveLimiterHint : 0
; COMPUTE_PGM_RSRC2:SCRATCH_EN: 0
; COMPUTE_PGM_RSRC2:USER_SGPR: 6
; COMPUTE_PGM_RSRC2:TRAP_HANDLER: 0
; COMPUTE_PGM_RSRC2:TGID_X_EN: 1
; COMPUTE_PGM_RSRC2:TGID_Y_EN: 0
; COMPUTE_PGM_RSRC2:TGID_Z_EN: 0
; COMPUTE_PGM_RSRC2:TIDIG_COMP_CNT: 0
; COMPUTE_PGM_RSRC3_GFX90A:ACCUM_OFFSET: 1
; COMPUTE_PGM_RSRC3_GFX90A:TG_SPLIT: 0
	.section	.text._ZN7rocprim17ROCPRIM_400000_NS6detail17trampoline_kernelINS0_14default_configENS1_21merge_config_selectorIdNS0_10empty_typeEEEZNS1_10merge_implIS3_N6thrust23THRUST_200600_302600_NS6detail15normal_iteratorINS9_10device_ptrIKdEEEESF_NSB_INSC_IdEEEEPS5_SI_SI_NS9_4lessIdEEEE10hipError_tPvRmT0_T1_T2_T3_T4_T5_mmT6_P12ihipStream_tbEUlT_E_NS1_11comp_targetILNS1_3genE0ELNS1_11target_archE4294967295ELNS1_3gpuE0ELNS1_3repE0EEENS1_30default_config_static_selectorELNS0_4arch9wavefront6targetE1EEEvSP_,"axG",@progbits,_ZN7rocprim17ROCPRIM_400000_NS6detail17trampoline_kernelINS0_14default_configENS1_21merge_config_selectorIdNS0_10empty_typeEEEZNS1_10merge_implIS3_N6thrust23THRUST_200600_302600_NS6detail15normal_iteratorINS9_10device_ptrIKdEEEESF_NSB_INSC_IdEEEEPS5_SI_SI_NS9_4lessIdEEEE10hipError_tPvRmT0_T1_T2_T3_T4_T5_mmT6_P12ihipStream_tbEUlT_E_NS1_11comp_targetILNS1_3genE0ELNS1_11target_archE4294967295ELNS1_3gpuE0ELNS1_3repE0EEENS1_30default_config_static_selectorELNS0_4arch9wavefront6targetE1EEEvSP_,comdat
	.protected	_ZN7rocprim17ROCPRIM_400000_NS6detail17trampoline_kernelINS0_14default_configENS1_21merge_config_selectorIdNS0_10empty_typeEEEZNS1_10merge_implIS3_N6thrust23THRUST_200600_302600_NS6detail15normal_iteratorINS9_10device_ptrIKdEEEESF_NSB_INSC_IdEEEEPS5_SI_SI_NS9_4lessIdEEEE10hipError_tPvRmT0_T1_T2_T3_T4_T5_mmT6_P12ihipStream_tbEUlT_E_NS1_11comp_targetILNS1_3genE0ELNS1_11target_archE4294967295ELNS1_3gpuE0ELNS1_3repE0EEENS1_30default_config_static_selectorELNS0_4arch9wavefront6targetE1EEEvSP_ ; -- Begin function _ZN7rocprim17ROCPRIM_400000_NS6detail17trampoline_kernelINS0_14default_configENS1_21merge_config_selectorIdNS0_10empty_typeEEEZNS1_10merge_implIS3_N6thrust23THRUST_200600_302600_NS6detail15normal_iteratorINS9_10device_ptrIKdEEEESF_NSB_INSC_IdEEEEPS5_SI_SI_NS9_4lessIdEEEE10hipError_tPvRmT0_T1_T2_T3_T4_T5_mmT6_P12ihipStream_tbEUlT_E_NS1_11comp_targetILNS1_3genE0ELNS1_11target_archE4294967295ELNS1_3gpuE0ELNS1_3repE0EEENS1_30default_config_static_selectorELNS0_4arch9wavefront6targetE1EEEvSP_
	.globl	_ZN7rocprim17ROCPRIM_400000_NS6detail17trampoline_kernelINS0_14default_configENS1_21merge_config_selectorIdNS0_10empty_typeEEEZNS1_10merge_implIS3_N6thrust23THRUST_200600_302600_NS6detail15normal_iteratorINS9_10device_ptrIKdEEEESF_NSB_INSC_IdEEEEPS5_SI_SI_NS9_4lessIdEEEE10hipError_tPvRmT0_T1_T2_T3_T4_T5_mmT6_P12ihipStream_tbEUlT_E_NS1_11comp_targetILNS1_3genE0ELNS1_11target_archE4294967295ELNS1_3gpuE0ELNS1_3repE0EEENS1_30default_config_static_selectorELNS0_4arch9wavefront6targetE1EEEvSP_
	.p2align	8
	.type	_ZN7rocprim17ROCPRIM_400000_NS6detail17trampoline_kernelINS0_14default_configENS1_21merge_config_selectorIdNS0_10empty_typeEEEZNS1_10merge_implIS3_N6thrust23THRUST_200600_302600_NS6detail15normal_iteratorINS9_10device_ptrIKdEEEESF_NSB_INSC_IdEEEEPS5_SI_SI_NS9_4lessIdEEEE10hipError_tPvRmT0_T1_T2_T3_T4_T5_mmT6_P12ihipStream_tbEUlT_E_NS1_11comp_targetILNS1_3genE0ELNS1_11target_archE4294967295ELNS1_3gpuE0ELNS1_3repE0EEENS1_30default_config_static_selectorELNS0_4arch9wavefront6targetE1EEEvSP_,@function
_ZN7rocprim17ROCPRIM_400000_NS6detail17trampoline_kernelINS0_14default_configENS1_21merge_config_selectorIdNS0_10empty_typeEEEZNS1_10merge_implIS3_N6thrust23THRUST_200600_302600_NS6detail15normal_iteratorINS9_10device_ptrIKdEEEESF_NSB_INSC_IdEEEEPS5_SI_SI_NS9_4lessIdEEEE10hipError_tPvRmT0_T1_T2_T3_T4_T5_mmT6_P12ihipStream_tbEUlT_E_NS1_11comp_targetILNS1_3genE0ELNS1_11target_archE4294967295ELNS1_3gpuE0ELNS1_3repE0EEENS1_30default_config_static_selectorELNS0_4arch9wavefront6targetE1EEEvSP_: ; @_ZN7rocprim17ROCPRIM_400000_NS6detail17trampoline_kernelINS0_14default_configENS1_21merge_config_selectorIdNS0_10empty_typeEEEZNS1_10merge_implIS3_N6thrust23THRUST_200600_302600_NS6detail15normal_iteratorINS9_10device_ptrIKdEEEESF_NSB_INSC_IdEEEEPS5_SI_SI_NS9_4lessIdEEEE10hipError_tPvRmT0_T1_T2_T3_T4_T5_mmT6_P12ihipStream_tbEUlT_E_NS1_11comp_targetILNS1_3genE0ELNS1_11target_archE4294967295ELNS1_3gpuE0ELNS1_3repE0EEENS1_30default_config_static_selectorELNS0_4arch9wavefront6targetE1EEEvSP_
; %bb.0:
	.section	.rodata,"a",@progbits
	.p2align	6, 0x0
	.amdhsa_kernel _ZN7rocprim17ROCPRIM_400000_NS6detail17trampoline_kernelINS0_14default_configENS1_21merge_config_selectorIdNS0_10empty_typeEEEZNS1_10merge_implIS3_N6thrust23THRUST_200600_302600_NS6detail15normal_iteratorINS9_10device_ptrIKdEEEESF_NSB_INSC_IdEEEEPS5_SI_SI_NS9_4lessIdEEEE10hipError_tPvRmT0_T1_T2_T3_T4_T5_mmT6_P12ihipStream_tbEUlT_E_NS1_11comp_targetILNS1_3genE0ELNS1_11target_archE4294967295ELNS1_3gpuE0ELNS1_3repE0EEENS1_30default_config_static_selectorELNS0_4arch9wavefront6targetE1EEEvSP_
		.amdhsa_group_segment_fixed_size 0
		.amdhsa_private_segment_fixed_size 0
		.amdhsa_kernarg_size 48
		.amdhsa_user_sgpr_count 6
		.amdhsa_user_sgpr_private_segment_buffer 1
		.amdhsa_user_sgpr_dispatch_ptr 0
		.amdhsa_user_sgpr_queue_ptr 0
		.amdhsa_user_sgpr_kernarg_segment_ptr 1
		.amdhsa_user_sgpr_dispatch_id 0
		.amdhsa_user_sgpr_flat_scratch_init 0
		.amdhsa_user_sgpr_kernarg_preload_length 0
		.amdhsa_user_sgpr_kernarg_preload_offset 0
		.amdhsa_user_sgpr_private_segment_size 0
		.amdhsa_uses_dynamic_stack 0
		.amdhsa_system_sgpr_private_segment_wavefront_offset 0
		.amdhsa_system_sgpr_workgroup_id_x 1
		.amdhsa_system_sgpr_workgroup_id_y 0
		.amdhsa_system_sgpr_workgroup_id_z 0
		.amdhsa_system_sgpr_workgroup_info 0
		.amdhsa_system_vgpr_workitem_id 0
		.amdhsa_next_free_vgpr 1
		.amdhsa_next_free_sgpr 0
		.amdhsa_accum_offset 4
		.amdhsa_reserve_vcc 0
		.amdhsa_reserve_flat_scratch 0
		.amdhsa_float_round_mode_32 0
		.amdhsa_float_round_mode_16_64 0
		.amdhsa_float_denorm_mode_32 3
		.amdhsa_float_denorm_mode_16_64 3
		.amdhsa_dx10_clamp 1
		.amdhsa_ieee_mode 1
		.amdhsa_fp16_overflow 0
		.amdhsa_tg_split 0
		.amdhsa_exception_fp_ieee_invalid_op 0
		.amdhsa_exception_fp_denorm_src 0
		.amdhsa_exception_fp_ieee_div_zero 0
		.amdhsa_exception_fp_ieee_overflow 0
		.amdhsa_exception_fp_ieee_underflow 0
		.amdhsa_exception_fp_ieee_inexact 0
		.amdhsa_exception_int_div_zero 0
	.end_amdhsa_kernel
	.section	.text._ZN7rocprim17ROCPRIM_400000_NS6detail17trampoline_kernelINS0_14default_configENS1_21merge_config_selectorIdNS0_10empty_typeEEEZNS1_10merge_implIS3_N6thrust23THRUST_200600_302600_NS6detail15normal_iteratorINS9_10device_ptrIKdEEEESF_NSB_INSC_IdEEEEPS5_SI_SI_NS9_4lessIdEEEE10hipError_tPvRmT0_T1_T2_T3_T4_T5_mmT6_P12ihipStream_tbEUlT_E_NS1_11comp_targetILNS1_3genE0ELNS1_11target_archE4294967295ELNS1_3gpuE0ELNS1_3repE0EEENS1_30default_config_static_selectorELNS0_4arch9wavefront6targetE1EEEvSP_,"axG",@progbits,_ZN7rocprim17ROCPRIM_400000_NS6detail17trampoline_kernelINS0_14default_configENS1_21merge_config_selectorIdNS0_10empty_typeEEEZNS1_10merge_implIS3_N6thrust23THRUST_200600_302600_NS6detail15normal_iteratorINS9_10device_ptrIKdEEEESF_NSB_INSC_IdEEEEPS5_SI_SI_NS9_4lessIdEEEE10hipError_tPvRmT0_T1_T2_T3_T4_T5_mmT6_P12ihipStream_tbEUlT_E_NS1_11comp_targetILNS1_3genE0ELNS1_11target_archE4294967295ELNS1_3gpuE0ELNS1_3repE0EEENS1_30default_config_static_selectorELNS0_4arch9wavefront6targetE1EEEvSP_,comdat
.Lfunc_end1:
	.size	_ZN7rocprim17ROCPRIM_400000_NS6detail17trampoline_kernelINS0_14default_configENS1_21merge_config_selectorIdNS0_10empty_typeEEEZNS1_10merge_implIS3_N6thrust23THRUST_200600_302600_NS6detail15normal_iteratorINS9_10device_ptrIKdEEEESF_NSB_INSC_IdEEEEPS5_SI_SI_NS9_4lessIdEEEE10hipError_tPvRmT0_T1_T2_T3_T4_T5_mmT6_P12ihipStream_tbEUlT_E_NS1_11comp_targetILNS1_3genE0ELNS1_11target_archE4294967295ELNS1_3gpuE0ELNS1_3repE0EEENS1_30default_config_static_selectorELNS0_4arch9wavefront6targetE1EEEvSP_, .Lfunc_end1-_ZN7rocprim17ROCPRIM_400000_NS6detail17trampoline_kernelINS0_14default_configENS1_21merge_config_selectorIdNS0_10empty_typeEEEZNS1_10merge_implIS3_N6thrust23THRUST_200600_302600_NS6detail15normal_iteratorINS9_10device_ptrIKdEEEESF_NSB_INSC_IdEEEEPS5_SI_SI_NS9_4lessIdEEEE10hipError_tPvRmT0_T1_T2_T3_T4_T5_mmT6_P12ihipStream_tbEUlT_E_NS1_11comp_targetILNS1_3genE0ELNS1_11target_archE4294967295ELNS1_3gpuE0ELNS1_3repE0EEENS1_30default_config_static_selectorELNS0_4arch9wavefront6targetE1EEEvSP_
                                        ; -- End function
	.section	.AMDGPU.csdata,"",@progbits
; Kernel info:
; codeLenInByte = 0
; NumSgprs: 4
; NumVgprs: 0
; NumAgprs: 0
; TotalNumVgprs: 0
; ScratchSize: 0
; MemoryBound: 0
; FloatMode: 240
; IeeeMode: 1
; LDSByteSize: 0 bytes/workgroup (compile time only)
; SGPRBlocks: 0
; VGPRBlocks: 0
; NumSGPRsForWavesPerEU: 4
; NumVGPRsForWavesPerEU: 1
; AccumOffset: 4
; Occupancy: 8
; WaveLimiterHint : 0
; COMPUTE_PGM_RSRC2:SCRATCH_EN: 0
; COMPUTE_PGM_RSRC2:USER_SGPR: 6
; COMPUTE_PGM_RSRC2:TRAP_HANDLER: 0
; COMPUTE_PGM_RSRC2:TGID_X_EN: 1
; COMPUTE_PGM_RSRC2:TGID_Y_EN: 0
; COMPUTE_PGM_RSRC2:TGID_Z_EN: 0
; COMPUTE_PGM_RSRC2:TIDIG_COMP_CNT: 0
; COMPUTE_PGM_RSRC3_GFX90A:ACCUM_OFFSET: 0
; COMPUTE_PGM_RSRC3_GFX90A:TG_SPLIT: 0
	.section	.text._ZN7rocprim17ROCPRIM_400000_NS6detail17trampoline_kernelINS0_14default_configENS1_21merge_config_selectorIdNS0_10empty_typeEEEZNS1_10merge_implIS3_N6thrust23THRUST_200600_302600_NS6detail15normal_iteratorINS9_10device_ptrIKdEEEESF_NSB_INSC_IdEEEEPS5_SI_SI_NS9_4lessIdEEEE10hipError_tPvRmT0_T1_T2_T3_T4_T5_mmT6_P12ihipStream_tbEUlT_E_NS1_11comp_targetILNS1_3genE5ELNS1_11target_archE942ELNS1_3gpuE9ELNS1_3repE0EEENS1_30default_config_static_selectorELNS0_4arch9wavefront6targetE1EEEvSP_,"axG",@progbits,_ZN7rocprim17ROCPRIM_400000_NS6detail17trampoline_kernelINS0_14default_configENS1_21merge_config_selectorIdNS0_10empty_typeEEEZNS1_10merge_implIS3_N6thrust23THRUST_200600_302600_NS6detail15normal_iteratorINS9_10device_ptrIKdEEEESF_NSB_INSC_IdEEEEPS5_SI_SI_NS9_4lessIdEEEE10hipError_tPvRmT0_T1_T2_T3_T4_T5_mmT6_P12ihipStream_tbEUlT_E_NS1_11comp_targetILNS1_3genE5ELNS1_11target_archE942ELNS1_3gpuE9ELNS1_3repE0EEENS1_30default_config_static_selectorELNS0_4arch9wavefront6targetE1EEEvSP_,comdat
	.protected	_ZN7rocprim17ROCPRIM_400000_NS6detail17trampoline_kernelINS0_14default_configENS1_21merge_config_selectorIdNS0_10empty_typeEEEZNS1_10merge_implIS3_N6thrust23THRUST_200600_302600_NS6detail15normal_iteratorINS9_10device_ptrIKdEEEESF_NSB_INSC_IdEEEEPS5_SI_SI_NS9_4lessIdEEEE10hipError_tPvRmT0_T1_T2_T3_T4_T5_mmT6_P12ihipStream_tbEUlT_E_NS1_11comp_targetILNS1_3genE5ELNS1_11target_archE942ELNS1_3gpuE9ELNS1_3repE0EEENS1_30default_config_static_selectorELNS0_4arch9wavefront6targetE1EEEvSP_ ; -- Begin function _ZN7rocprim17ROCPRIM_400000_NS6detail17trampoline_kernelINS0_14default_configENS1_21merge_config_selectorIdNS0_10empty_typeEEEZNS1_10merge_implIS3_N6thrust23THRUST_200600_302600_NS6detail15normal_iteratorINS9_10device_ptrIKdEEEESF_NSB_INSC_IdEEEEPS5_SI_SI_NS9_4lessIdEEEE10hipError_tPvRmT0_T1_T2_T3_T4_T5_mmT6_P12ihipStream_tbEUlT_E_NS1_11comp_targetILNS1_3genE5ELNS1_11target_archE942ELNS1_3gpuE9ELNS1_3repE0EEENS1_30default_config_static_selectorELNS0_4arch9wavefront6targetE1EEEvSP_
	.globl	_ZN7rocprim17ROCPRIM_400000_NS6detail17trampoline_kernelINS0_14default_configENS1_21merge_config_selectorIdNS0_10empty_typeEEEZNS1_10merge_implIS3_N6thrust23THRUST_200600_302600_NS6detail15normal_iteratorINS9_10device_ptrIKdEEEESF_NSB_INSC_IdEEEEPS5_SI_SI_NS9_4lessIdEEEE10hipError_tPvRmT0_T1_T2_T3_T4_T5_mmT6_P12ihipStream_tbEUlT_E_NS1_11comp_targetILNS1_3genE5ELNS1_11target_archE942ELNS1_3gpuE9ELNS1_3repE0EEENS1_30default_config_static_selectorELNS0_4arch9wavefront6targetE1EEEvSP_
	.p2align	8
	.type	_ZN7rocprim17ROCPRIM_400000_NS6detail17trampoline_kernelINS0_14default_configENS1_21merge_config_selectorIdNS0_10empty_typeEEEZNS1_10merge_implIS3_N6thrust23THRUST_200600_302600_NS6detail15normal_iteratorINS9_10device_ptrIKdEEEESF_NSB_INSC_IdEEEEPS5_SI_SI_NS9_4lessIdEEEE10hipError_tPvRmT0_T1_T2_T3_T4_T5_mmT6_P12ihipStream_tbEUlT_E_NS1_11comp_targetILNS1_3genE5ELNS1_11target_archE942ELNS1_3gpuE9ELNS1_3repE0EEENS1_30default_config_static_selectorELNS0_4arch9wavefront6targetE1EEEvSP_,@function
_ZN7rocprim17ROCPRIM_400000_NS6detail17trampoline_kernelINS0_14default_configENS1_21merge_config_selectorIdNS0_10empty_typeEEEZNS1_10merge_implIS3_N6thrust23THRUST_200600_302600_NS6detail15normal_iteratorINS9_10device_ptrIKdEEEESF_NSB_INSC_IdEEEEPS5_SI_SI_NS9_4lessIdEEEE10hipError_tPvRmT0_T1_T2_T3_T4_T5_mmT6_P12ihipStream_tbEUlT_E_NS1_11comp_targetILNS1_3genE5ELNS1_11target_archE942ELNS1_3gpuE9ELNS1_3repE0EEENS1_30default_config_static_selectorELNS0_4arch9wavefront6targetE1EEEvSP_: ; @_ZN7rocprim17ROCPRIM_400000_NS6detail17trampoline_kernelINS0_14default_configENS1_21merge_config_selectorIdNS0_10empty_typeEEEZNS1_10merge_implIS3_N6thrust23THRUST_200600_302600_NS6detail15normal_iteratorINS9_10device_ptrIKdEEEESF_NSB_INSC_IdEEEEPS5_SI_SI_NS9_4lessIdEEEE10hipError_tPvRmT0_T1_T2_T3_T4_T5_mmT6_P12ihipStream_tbEUlT_E_NS1_11comp_targetILNS1_3genE5ELNS1_11target_archE942ELNS1_3gpuE9ELNS1_3repE0EEENS1_30default_config_static_selectorELNS0_4arch9wavefront6targetE1EEEvSP_
; %bb.0:
	.section	.rodata,"a",@progbits
	.p2align	6, 0x0
	.amdhsa_kernel _ZN7rocprim17ROCPRIM_400000_NS6detail17trampoline_kernelINS0_14default_configENS1_21merge_config_selectorIdNS0_10empty_typeEEEZNS1_10merge_implIS3_N6thrust23THRUST_200600_302600_NS6detail15normal_iteratorINS9_10device_ptrIKdEEEESF_NSB_INSC_IdEEEEPS5_SI_SI_NS9_4lessIdEEEE10hipError_tPvRmT0_T1_T2_T3_T4_T5_mmT6_P12ihipStream_tbEUlT_E_NS1_11comp_targetILNS1_3genE5ELNS1_11target_archE942ELNS1_3gpuE9ELNS1_3repE0EEENS1_30default_config_static_selectorELNS0_4arch9wavefront6targetE1EEEvSP_
		.amdhsa_group_segment_fixed_size 0
		.amdhsa_private_segment_fixed_size 0
		.amdhsa_kernarg_size 48
		.amdhsa_user_sgpr_count 6
		.amdhsa_user_sgpr_private_segment_buffer 1
		.amdhsa_user_sgpr_dispatch_ptr 0
		.amdhsa_user_sgpr_queue_ptr 0
		.amdhsa_user_sgpr_kernarg_segment_ptr 1
		.amdhsa_user_sgpr_dispatch_id 0
		.amdhsa_user_sgpr_flat_scratch_init 0
		.amdhsa_user_sgpr_kernarg_preload_length 0
		.amdhsa_user_sgpr_kernarg_preload_offset 0
		.amdhsa_user_sgpr_private_segment_size 0
		.amdhsa_uses_dynamic_stack 0
		.amdhsa_system_sgpr_private_segment_wavefront_offset 0
		.amdhsa_system_sgpr_workgroup_id_x 1
		.amdhsa_system_sgpr_workgroup_id_y 0
		.amdhsa_system_sgpr_workgroup_id_z 0
		.amdhsa_system_sgpr_workgroup_info 0
		.amdhsa_system_vgpr_workitem_id 0
		.amdhsa_next_free_vgpr 1
		.amdhsa_next_free_sgpr 0
		.amdhsa_accum_offset 4
		.amdhsa_reserve_vcc 0
		.amdhsa_reserve_flat_scratch 0
		.amdhsa_float_round_mode_32 0
		.amdhsa_float_round_mode_16_64 0
		.amdhsa_float_denorm_mode_32 3
		.amdhsa_float_denorm_mode_16_64 3
		.amdhsa_dx10_clamp 1
		.amdhsa_ieee_mode 1
		.amdhsa_fp16_overflow 0
		.amdhsa_tg_split 0
		.amdhsa_exception_fp_ieee_invalid_op 0
		.amdhsa_exception_fp_denorm_src 0
		.amdhsa_exception_fp_ieee_div_zero 0
		.amdhsa_exception_fp_ieee_overflow 0
		.amdhsa_exception_fp_ieee_underflow 0
		.amdhsa_exception_fp_ieee_inexact 0
		.amdhsa_exception_int_div_zero 0
	.end_amdhsa_kernel
	.section	.text._ZN7rocprim17ROCPRIM_400000_NS6detail17trampoline_kernelINS0_14default_configENS1_21merge_config_selectorIdNS0_10empty_typeEEEZNS1_10merge_implIS3_N6thrust23THRUST_200600_302600_NS6detail15normal_iteratorINS9_10device_ptrIKdEEEESF_NSB_INSC_IdEEEEPS5_SI_SI_NS9_4lessIdEEEE10hipError_tPvRmT0_T1_T2_T3_T4_T5_mmT6_P12ihipStream_tbEUlT_E_NS1_11comp_targetILNS1_3genE5ELNS1_11target_archE942ELNS1_3gpuE9ELNS1_3repE0EEENS1_30default_config_static_selectorELNS0_4arch9wavefront6targetE1EEEvSP_,"axG",@progbits,_ZN7rocprim17ROCPRIM_400000_NS6detail17trampoline_kernelINS0_14default_configENS1_21merge_config_selectorIdNS0_10empty_typeEEEZNS1_10merge_implIS3_N6thrust23THRUST_200600_302600_NS6detail15normal_iteratorINS9_10device_ptrIKdEEEESF_NSB_INSC_IdEEEEPS5_SI_SI_NS9_4lessIdEEEE10hipError_tPvRmT0_T1_T2_T3_T4_T5_mmT6_P12ihipStream_tbEUlT_E_NS1_11comp_targetILNS1_3genE5ELNS1_11target_archE942ELNS1_3gpuE9ELNS1_3repE0EEENS1_30default_config_static_selectorELNS0_4arch9wavefront6targetE1EEEvSP_,comdat
.Lfunc_end2:
	.size	_ZN7rocprim17ROCPRIM_400000_NS6detail17trampoline_kernelINS0_14default_configENS1_21merge_config_selectorIdNS0_10empty_typeEEEZNS1_10merge_implIS3_N6thrust23THRUST_200600_302600_NS6detail15normal_iteratorINS9_10device_ptrIKdEEEESF_NSB_INSC_IdEEEEPS5_SI_SI_NS9_4lessIdEEEE10hipError_tPvRmT0_T1_T2_T3_T4_T5_mmT6_P12ihipStream_tbEUlT_E_NS1_11comp_targetILNS1_3genE5ELNS1_11target_archE942ELNS1_3gpuE9ELNS1_3repE0EEENS1_30default_config_static_selectorELNS0_4arch9wavefront6targetE1EEEvSP_, .Lfunc_end2-_ZN7rocprim17ROCPRIM_400000_NS6detail17trampoline_kernelINS0_14default_configENS1_21merge_config_selectorIdNS0_10empty_typeEEEZNS1_10merge_implIS3_N6thrust23THRUST_200600_302600_NS6detail15normal_iteratorINS9_10device_ptrIKdEEEESF_NSB_INSC_IdEEEEPS5_SI_SI_NS9_4lessIdEEEE10hipError_tPvRmT0_T1_T2_T3_T4_T5_mmT6_P12ihipStream_tbEUlT_E_NS1_11comp_targetILNS1_3genE5ELNS1_11target_archE942ELNS1_3gpuE9ELNS1_3repE0EEENS1_30default_config_static_selectorELNS0_4arch9wavefront6targetE1EEEvSP_
                                        ; -- End function
	.section	.AMDGPU.csdata,"",@progbits
; Kernel info:
; codeLenInByte = 0
; NumSgprs: 4
; NumVgprs: 0
; NumAgprs: 0
; TotalNumVgprs: 0
; ScratchSize: 0
; MemoryBound: 0
; FloatMode: 240
; IeeeMode: 1
; LDSByteSize: 0 bytes/workgroup (compile time only)
; SGPRBlocks: 0
; VGPRBlocks: 0
; NumSGPRsForWavesPerEU: 4
; NumVGPRsForWavesPerEU: 1
; AccumOffset: 4
; Occupancy: 8
; WaveLimiterHint : 0
; COMPUTE_PGM_RSRC2:SCRATCH_EN: 0
; COMPUTE_PGM_RSRC2:USER_SGPR: 6
; COMPUTE_PGM_RSRC2:TRAP_HANDLER: 0
; COMPUTE_PGM_RSRC2:TGID_X_EN: 1
; COMPUTE_PGM_RSRC2:TGID_Y_EN: 0
; COMPUTE_PGM_RSRC2:TGID_Z_EN: 0
; COMPUTE_PGM_RSRC2:TIDIG_COMP_CNT: 0
; COMPUTE_PGM_RSRC3_GFX90A:ACCUM_OFFSET: 0
; COMPUTE_PGM_RSRC3_GFX90A:TG_SPLIT: 0
	.section	.text._ZN7rocprim17ROCPRIM_400000_NS6detail17trampoline_kernelINS0_14default_configENS1_21merge_config_selectorIdNS0_10empty_typeEEEZNS1_10merge_implIS3_N6thrust23THRUST_200600_302600_NS6detail15normal_iteratorINS9_10device_ptrIKdEEEESF_NSB_INSC_IdEEEEPS5_SI_SI_NS9_4lessIdEEEE10hipError_tPvRmT0_T1_T2_T3_T4_T5_mmT6_P12ihipStream_tbEUlT_E_NS1_11comp_targetILNS1_3genE4ELNS1_11target_archE910ELNS1_3gpuE8ELNS1_3repE0EEENS1_30default_config_static_selectorELNS0_4arch9wavefront6targetE1EEEvSP_,"axG",@progbits,_ZN7rocprim17ROCPRIM_400000_NS6detail17trampoline_kernelINS0_14default_configENS1_21merge_config_selectorIdNS0_10empty_typeEEEZNS1_10merge_implIS3_N6thrust23THRUST_200600_302600_NS6detail15normal_iteratorINS9_10device_ptrIKdEEEESF_NSB_INSC_IdEEEEPS5_SI_SI_NS9_4lessIdEEEE10hipError_tPvRmT0_T1_T2_T3_T4_T5_mmT6_P12ihipStream_tbEUlT_E_NS1_11comp_targetILNS1_3genE4ELNS1_11target_archE910ELNS1_3gpuE8ELNS1_3repE0EEENS1_30default_config_static_selectorELNS0_4arch9wavefront6targetE1EEEvSP_,comdat
	.protected	_ZN7rocprim17ROCPRIM_400000_NS6detail17trampoline_kernelINS0_14default_configENS1_21merge_config_selectorIdNS0_10empty_typeEEEZNS1_10merge_implIS3_N6thrust23THRUST_200600_302600_NS6detail15normal_iteratorINS9_10device_ptrIKdEEEESF_NSB_INSC_IdEEEEPS5_SI_SI_NS9_4lessIdEEEE10hipError_tPvRmT0_T1_T2_T3_T4_T5_mmT6_P12ihipStream_tbEUlT_E_NS1_11comp_targetILNS1_3genE4ELNS1_11target_archE910ELNS1_3gpuE8ELNS1_3repE0EEENS1_30default_config_static_selectorELNS0_4arch9wavefront6targetE1EEEvSP_ ; -- Begin function _ZN7rocprim17ROCPRIM_400000_NS6detail17trampoline_kernelINS0_14default_configENS1_21merge_config_selectorIdNS0_10empty_typeEEEZNS1_10merge_implIS3_N6thrust23THRUST_200600_302600_NS6detail15normal_iteratorINS9_10device_ptrIKdEEEESF_NSB_INSC_IdEEEEPS5_SI_SI_NS9_4lessIdEEEE10hipError_tPvRmT0_T1_T2_T3_T4_T5_mmT6_P12ihipStream_tbEUlT_E_NS1_11comp_targetILNS1_3genE4ELNS1_11target_archE910ELNS1_3gpuE8ELNS1_3repE0EEENS1_30default_config_static_selectorELNS0_4arch9wavefront6targetE1EEEvSP_
	.globl	_ZN7rocprim17ROCPRIM_400000_NS6detail17trampoline_kernelINS0_14default_configENS1_21merge_config_selectorIdNS0_10empty_typeEEEZNS1_10merge_implIS3_N6thrust23THRUST_200600_302600_NS6detail15normal_iteratorINS9_10device_ptrIKdEEEESF_NSB_INSC_IdEEEEPS5_SI_SI_NS9_4lessIdEEEE10hipError_tPvRmT0_T1_T2_T3_T4_T5_mmT6_P12ihipStream_tbEUlT_E_NS1_11comp_targetILNS1_3genE4ELNS1_11target_archE910ELNS1_3gpuE8ELNS1_3repE0EEENS1_30default_config_static_selectorELNS0_4arch9wavefront6targetE1EEEvSP_
	.p2align	8
	.type	_ZN7rocprim17ROCPRIM_400000_NS6detail17trampoline_kernelINS0_14default_configENS1_21merge_config_selectorIdNS0_10empty_typeEEEZNS1_10merge_implIS3_N6thrust23THRUST_200600_302600_NS6detail15normal_iteratorINS9_10device_ptrIKdEEEESF_NSB_INSC_IdEEEEPS5_SI_SI_NS9_4lessIdEEEE10hipError_tPvRmT0_T1_T2_T3_T4_T5_mmT6_P12ihipStream_tbEUlT_E_NS1_11comp_targetILNS1_3genE4ELNS1_11target_archE910ELNS1_3gpuE8ELNS1_3repE0EEENS1_30default_config_static_selectorELNS0_4arch9wavefront6targetE1EEEvSP_,@function
_ZN7rocprim17ROCPRIM_400000_NS6detail17trampoline_kernelINS0_14default_configENS1_21merge_config_selectorIdNS0_10empty_typeEEEZNS1_10merge_implIS3_N6thrust23THRUST_200600_302600_NS6detail15normal_iteratorINS9_10device_ptrIKdEEEESF_NSB_INSC_IdEEEEPS5_SI_SI_NS9_4lessIdEEEE10hipError_tPvRmT0_T1_T2_T3_T4_T5_mmT6_P12ihipStream_tbEUlT_E_NS1_11comp_targetILNS1_3genE4ELNS1_11target_archE910ELNS1_3gpuE8ELNS1_3repE0EEENS1_30default_config_static_selectorELNS0_4arch9wavefront6targetE1EEEvSP_: ; @_ZN7rocprim17ROCPRIM_400000_NS6detail17trampoline_kernelINS0_14default_configENS1_21merge_config_selectorIdNS0_10empty_typeEEEZNS1_10merge_implIS3_N6thrust23THRUST_200600_302600_NS6detail15normal_iteratorINS9_10device_ptrIKdEEEESF_NSB_INSC_IdEEEEPS5_SI_SI_NS9_4lessIdEEEE10hipError_tPvRmT0_T1_T2_T3_T4_T5_mmT6_P12ihipStream_tbEUlT_E_NS1_11comp_targetILNS1_3genE4ELNS1_11target_archE910ELNS1_3gpuE8ELNS1_3repE0EEENS1_30default_config_static_selectorELNS0_4arch9wavefront6targetE1EEEvSP_
; %bb.0:
	s_load_dword s7, s[4:5], 0x28
	s_load_dword s0, s[4:5], 0x3c
	s_load_dwordx4 s[8:11], s[4:5], 0x18
	s_waitcnt lgkmcnt(0)
	v_cvt_f32_u32_e32 v1, s7
	s_and_b32 s0, s0, 0xffff
	s_add_u32 s12, s10, s8
	s_addc_u32 s13, s11, s9
	v_rcp_iflag_f32_e32 v1, v1
	s_sub_i32 s1, 0, s7
	s_mul_i32 s6, s6, s0
	s_add_i32 s0, s7, s12
	v_mul_f32_e32 v1, 0x4f7ffffe, v1
	v_cvt_u32_f32_e32 v1, v1
	s_add_i32 s0, s0, -1
	v_add_u32_e32 v0, s6, v0
	v_readfirstlane_b32 s2, v1
	s_mul_i32 s1, s1, s2
	s_mul_hi_u32 s1, s2, s1
	s_add_i32 s2, s2, s1
	s_mul_hi_u32 s1, s0, s2
	s_mul_i32 s2, s1, s7
	s_sub_i32 s0, s0, s2
	s_add_i32 s3, s1, 1
	s_sub_i32 s2, s0, s7
	s_cmp_ge_u32 s0, s7
	s_cselect_b32 s1, s3, s1
	s_cselect_b32 s0, s2, s0
	s_add_i32 s2, s1, 1
	s_cmp_ge_u32 s0, s7
	s_cselect_b32 s0, s2, s1
	v_cmp_ge_u32_e32 vcc, s0, v0
	s_and_saveexec_b64 s[0:1], vcc
	s_cbranch_execz .LBB3_6
; %bb.1:
	v_mul_lo_u32 v2, v0, s7
	v_mov_b32_e32 v3, 0
	v_mov_b32_e32 v1, s13
	v_cmp_gt_u64_e32 vcc, s[12:13], v[2:3]
	v_cndmask_b32_e64 v7, v1, 0, vcc
	v_mov_b32_e32 v1, s12
	v_cndmask_b32_e32 v6, v1, v2, vcc
	v_mov_b32_e32 v1, s11
	v_subrev_co_u32_e32 v2, vcc, s10, v6
	v_subb_co_u32_e32 v3, vcc, v7, v1, vcc
	s_load_dwordx4 s[0:3], s[4:5], 0x0
	v_cmp_gt_u64_e32 vcc, v[2:3], v[6:7]
	v_cndmask_b32_e64 v3, v3, 0, vcc
	v_cndmask_b32_e64 v2, v2, 0, vcc
	v_mov_b32_e32 v1, s9
	v_cmp_gt_u64_e32 vcc, s[8:9], v[6:7]
	v_cndmask_b32_e32 v5, v1, v7, vcc
	v_mov_b32_e32 v1, s8
	v_cndmask_b32_e32 v4, v1, v6, vcc
	v_cmp_lt_u64_e32 vcc, v[2:3], v[4:5]
	s_and_saveexec_b64 s[6:7], vcc
	s_cbranch_execz .LBB3_5
; %bb.2:
	s_load_dwordx2 s[4:5], s[4:5], 0x10
	v_lshlrev_b64 v[6:7], 3, v[6:7]
	s_waitcnt lgkmcnt(0)
	v_mov_b32_e32 v8, s5
	v_add_co_u32_e32 v1, vcc, s4, v6
	v_addc_co_u32_e32 v6, vcc, v8, v7, vcc
	s_mov_b64 s[4:5], 0
	v_mov_b32_e32 v7, s3
.LBB3_3:                                ; =>This Inner Loop Header: Depth=1
	v_add_co_u32_e32 v8, vcc, v4, v2
	v_addc_co_u32_e32 v9, vcc, v5, v3, vcc
	v_lshrrev_b64 v[8:9], 1, v[8:9]
	v_lshlrev_b64 v[12:13], 3, v[8:9]
	v_not_b32_e32 v11, v9
	v_not_b32_e32 v10, v8
	v_add_co_u32_e32 v12, vcc, s2, v12
	v_addc_co_u32_e32 v13, vcc, v7, v13, vcc
	v_lshlrev_b64 v[10:11], 3, v[10:11]
	v_add_co_u32_e32 v10, vcc, v1, v10
	v_addc_co_u32_e32 v11, vcc, v6, v11, vcc
	global_load_dwordx2 v[12:13], v[12:13], off
	v_add_co_u32_e32 v14, vcc, 1, v8
	global_load_dwordx2 v[10:11], v[10:11], off
	v_addc_co_u32_e32 v15, vcc, 0, v9, vcc
	s_waitcnt vmcnt(0)
	v_cmp_lt_f64_e32 vcc, v[10:11], v[12:13]
	v_cndmask_b32_e32 v5, v5, v9, vcc
	v_cndmask_b32_e32 v4, v4, v8, vcc
	;; [unrolled: 1-line block ×4, first 2 shown]
	v_cmp_ge_u64_e32 vcc, v[2:3], v[4:5]
	s_or_b64 s[4:5], vcc, s[4:5]
	s_andn2_b64 exec, exec, s[4:5]
	s_cbranch_execnz .LBB3_3
; %bb.4:
	s_or_b64 exec, exec, s[4:5]
.LBB3_5:
	s_or_b64 exec, exec, s[6:7]
	v_mov_b32_e32 v1, 0
	v_lshlrev_b64 v[0:1], 2, v[0:1]
	s_waitcnt lgkmcnt(0)
	v_mov_b32_e32 v3, s1
	v_add_co_u32_e32 v0, vcc, s0, v0
	v_addc_co_u32_e32 v1, vcc, v3, v1, vcc
	global_store_dword v[0:1], v2, off
.LBB3_6:
	s_endpgm
	.section	.rodata,"a",@progbits
	.p2align	6, 0x0
	.amdhsa_kernel _ZN7rocprim17ROCPRIM_400000_NS6detail17trampoline_kernelINS0_14default_configENS1_21merge_config_selectorIdNS0_10empty_typeEEEZNS1_10merge_implIS3_N6thrust23THRUST_200600_302600_NS6detail15normal_iteratorINS9_10device_ptrIKdEEEESF_NSB_INSC_IdEEEEPS5_SI_SI_NS9_4lessIdEEEE10hipError_tPvRmT0_T1_T2_T3_T4_T5_mmT6_P12ihipStream_tbEUlT_E_NS1_11comp_targetILNS1_3genE4ELNS1_11target_archE910ELNS1_3gpuE8ELNS1_3repE0EEENS1_30default_config_static_selectorELNS0_4arch9wavefront6targetE1EEEvSP_
		.amdhsa_group_segment_fixed_size 0
		.amdhsa_private_segment_fixed_size 0
		.amdhsa_kernarg_size 304
		.amdhsa_user_sgpr_count 6
		.amdhsa_user_sgpr_private_segment_buffer 1
		.amdhsa_user_sgpr_dispatch_ptr 0
		.amdhsa_user_sgpr_queue_ptr 0
		.amdhsa_user_sgpr_kernarg_segment_ptr 1
		.amdhsa_user_sgpr_dispatch_id 0
		.amdhsa_user_sgpr_flat_scratch_init 0
		.amdhsa_user_sgpr_kernarg_preload_length 0
		.amdhsa_user_sgpr_kernarg_preload_offset 0
		.amdhsa_user_sgpr_private_segment_size 0
		.amdhsa_uses_dynamic_stack 0
		.amdhsa_system_sgpr_private_segment_wavefront_offset 0
		.amdhsa_system_sgpr_workgroup_id_x 1
		.amdhsa_system_sgpr_workgroup_id_y 0
		.amdhsa_system_sgpr_workgroup_id_z 0
		.amdhsa_system_sgpr_workgroup_info 0
		.amdhsa_system_vgpr_workitem_id 0
		.amdhsa_next_free_vgpr 16
		.amdhsa_next_free_sgpr 14
		.amdhsa_accum_offset 16
		.amdhsa_reserve_vcc 1
		.amdhsa_reserve_flat_scratch 0
		.amdhsa_float_round_mode_32 0
		.amdhsa_float_round_mode_16_64 0
		.amdhsa_float_denorm_mode_32 3
		.amdhsa_float_denorm_mode_16_64 3
		.amdhsa_dx10_clamp 1
		.amdhsa_ieee_mode 1
		.amdhsa_fp16_overflow 0
		.amdhsa_tg_split 0
		.amdhsa_exception_fp_ieee_invalid_op 0
		.amdhsa_exception_fp_denorm_src 0
		.amdhsa_exception_fp_ieee_div_zero 0
		.amdhsa_exception_fp_ieee_overflow 0
		.amdhsa_exception_fp_ieee_underflow 0
		.amdhsa_exception_fp_ieee_inexact 0
		.amdhsa_exception_int_div_zero 0
	.end_amdhsa_kernel
	.section	.text._ZN7rocprim17ROCPRIM_400000_NS6detail17trampoline_kernelINS0_14default_configENS1_21merge_config_selectorIdNS0_10empty_typeEEEZNS1_10merge_implIS3_N6thrust23THRUST_200600_302600_NS6detail15normal_iteratorINS9_10device_ptrIKdEEEESF_NSB_INSC_IdEEEEPS5_SI_SI_NS9_4lessIdEEEE10hipError_tPvRmT0_T1_T2_T3_T4_T5_mmT6_P12ihipStream_tbEUlT_E_NS1_11comp_targetILNS1_3genE4ELNS1_11target_archE910ELNS1_3gpuE8ELNS1_3repE0EEENS1_30default_config_static_selectorELNS0_4arch9wavefront6targetE1EEEvSP_,"axG",@progbits,_ZN7rocprim17ROCPRIM_400000_NS6detail17trampoline_kernelINS0_14default_configENS1_21merge_config_selectorIdNS0_10empty_typeEEEZNS1_10merge_implIS3_N6thrust23THRUST_200600_302600_NS6detail15normal_iteratorINS9_10device_ptrIKdEEEESF_NSB_INSC_IdEEEEPS5_SI_SI_NS9_4lessIdEEEE10hipError_tPvRmT0_T1_T2_T3_T4_T5_mmT6_P12ihipStream_tbEUlT_E_NS1_11comp_targetILNS1_3genE4ELNS1_11target_archE910ELNS1_3gpuE8ELNS1_3repE0EEENS1_30default_config_static_selectorELNS0_4arch9wavefront6targetE1EEEvSP_,comdat
.Lfunc_end3:
	.size	_ZN7rocprim17ROCPRIM_400000_NS6detail17trampoline_kernelINS0_14default_configENS1_21merge_config_selectorIdNS0_10empty_typeEEEZNS1_10merge_implIS3_N6thrust23THRUST_200600_302600_NS6detail15normal_iteratorINS9_10device_ptrIKdEEEESF_NSB_INSC_IdEEEEPS5_SI_SI_NS9_4lessIdEEEE10hipError_tPvRmT0_T1_T2_T3_T4_T5_mmT6_P12ihipStream_tbEUlT_E_NS1_11comp_targetILNS1_3genE4ELNS1_11target_archE910ELNS1_3gpuE8ELNS1_3repE0EEENS1_30default_config_static_selectorELNS0_4arch9wavefront6targetE1EEEvSP_, .Lfunc_end3-_ZN7rocprim17ROCPRIM_400000_NS6detail17trampoline_kernelINS0_14default_configENS1_21merge_config_selectorIdNS0_10empty_typeEEEZNS1_10merge_implIS3_N6thrust23THRUST_200600_302600_NS6detail15normal_iteratorINS9_10device_ptrIKdEEEESF_NSB_INSC_IdEEEEPS5_SI_SI_NS9_4lessIdEEEE10hipError_tPvRmT0_T1_T2_T3_T4_T5_mmT6_P12ihipStream_tbEUlT_E_NS1_11comp_targetILNS1_3genE4ELNS1_11target_archE910ELNS1_3gpuE8ELNS1_3repE0EEENS1_30default_config_static_selectorELNS0_4arch9wavefront6targetE1EEEvSP_
                                        ; -- End function
	.section	.AMDGPU.csdata,"",@progbits
; Kernel info:
; codeLenInByte = 472
; NumSgprs: 18
; NumVgprs: 16
; NumAgprs: 0
; TotalNumVgprs: 16
; ScratchSize: 0
; MemoryBound: 0
; FloatMode: 240
; IeeeMode: 1
; LDSByteSize: 0 bytes/workgroup (compile time only)
; SGPRBlocks: 2
; VGPRBlocks: 1
; NumSGPRsForWavesPerEU: 18
; NumVGPRsForWavesPerEU: 16
; AccumOffset: 16
; Occupancy: 8
; WaveLimiterHint : 0
; COMPUTE_PGM_RSRC2:SCRATCH_EN: 0
; COMPUTE_PGM_RSRC2:USER_SGPR: 6
; COMPUTE_PGM_RSRC2:TRAP_HANDLER: 0
; COMPUTE_PGM_RSRC2:TGID_X_EN: 1
; COMPUTE_PGM_RSRC2:TGID_Y_EN: 0
; COMPUTE_PGM_RSRC2:TGID_Z_EN: 0
; COMPUTE_PGM_RSRC2:TIDIG_COMP_CNT: 0
; COMPUTE_PGM_RSRC3_GFX90A:ACCUM_OFFSET: 3
; COMPUTE_PGM_RSRC3_GFX90A:TG_SPLIT: 0
	.section	.text._ZN7rocprim17ROCPRIM_400000_NS6detail17trampoline_kernelINS0_14default_configENS1_21merge_config_selectorIdNS0_10empty_typeEEEZNS1_10merge_implIS3_N6thrust23THRUST_200600_302600_NS6detail15normal_iteratorINS9_10device_ptrIKdEEEESF_NSB_INSC_IdEEEEPS5_SI_SI_NS9_4lessIdEEEE10hipError_tPvRmT0_T1_T2_T3_T4_T5_mmT6_P12ihipStream_tbEUlT_E_NS1_11comp_targetILNS1_3genE3ELNS1_11target_archE908ELNS1_3gpuE7ELNS1_3repE0EEENS1_30default_config_static_selectorELNS0_4arch9wavefront6targetE1EEEvSP_,"axG",@progbits,_ZN7rocprim17ROCPRIM_400000_NS6detail17trampoline_kernelINS0_14default_configENS1_21merge_config_selectorIdNS0_10empty_typeEEEZNS1_10merge_implIS3_N6thrust23THRUST_200600_302600_NS6detail15normal_iteratorINS9_10device_ptrIKdEEEESF_NSB_INSC_IdEEEEPS5_SI_SI_NS9_4lessIdEEEE10hipError_tPvRmT0_T1_T2_T3_T4_T5_mmT6_P12ihipStream_tbEUlT_E_NS1_11comp_targetILNS1_3genE3ELNS1_11target_archE908ELNS1_3gpuE7ELNS1_3repE0EEENS1_30default_config_static_selectorELNS0_4arch9wavefront6targetE1EEEvSP_,comdat
	.protected	_ZN7rocprim17ROCPRIM_400000_NS6detail17trampoline_kernelINS0_14default_configENS1_21merge_config_selectorIdNS0_10empty_typeEEEZNS1_10merge_implIS3_N6thrust23THRUST_200600_302600_NS6detail15normal_iteratorINS9_10device_ptrIKdEEEESF_NSB_INSC_IdEEEEPS5_SI_SI_NS9_4lessIdEEEE10hipError_tPvRmT0_T1_T2_T3_T4_T5_mmT6_P12ihipStream_tbEUlT_E_NS1_11comp_targetILNS1_3genE3ELNS1_11target_archE908ELNS1_3gpuE7ELNS1_3repE0EEENS1_30default_config_static_selectorELNS0_4arch9wavefront6targetE1EEEvSP_ ; -- Begin function _ZN7rocprim17ROCPRIM_400000_NS6detail17trampoline_kernelINS0_14default_configENS1_21merge_config_selectorIdNS0_10empty_typeEEEZNS1_10merge_implIS3_N6thrust23THRUST_200600_302600_NS6detail15normal_iteratorINS9_10device_ptrIKdEEEESF_NSB_INSC_IdEEEEPS5_SI_SI_NS9_4lessIdEEEE10hipError_tPvRmT0_T1_T2_T3_T4_T5_mmT6_P12ihipStream_tbEUlT_E_NS1_11comp_targetILNS1_3genE3ELNS1_11target_archE908ELNS1_3gpuE7ELNS1_3repE0EEENS1_30default_config_static_selectorELNS0_4arch9wavefront6targetE1EEEvSP_
	.globl	_ZN7rocprim17ROCPRIM_400000_NS6detail17trampoline_kernelINS0_14default_configENS1_21merge_config_selectorIdNS0_10empty_typeEEEZNS1_10merge_implIS3_N6thrust23THRUST_200600_302600_NS6detail15normal_iteratorINS9_10device_ptrIKdEEEESF_NSB_INSC_IdEEEEPS5_SI_SI_NS9_4lessIdEEEE10hipError_tPvRmT0_T1_T2_T3_T4_T5_mmT6_P12ihipStream_tbEUlT_E_NS1_11comp_targetILNS1_3genE3ELNS1_11target_archE908ELNS1_3gpuE7ELNS1_3repE0EEENS1_30default_config_static_selectorELNS0_4arch9wavefront6targetE1EEEvSP_
	.p2align	8
	.type	_ZN7rocprim17ROCPRIM_400000_NS6detail17trampoline_kernelINS0_14default_configENS1_21merge_config_selectorIdNS0_10empty_typeEEEZNS1_10merge_implIS3_N6thrust23THRUST_200600_302600_NS6detail15normal_iteratorINS9_10device_ptrIKdEEEESF_NSB_INSC_IdEEEEPS5_SI_SI_NS9_4lessIdEEEE10hipError_tPvRmT0_T1_T2_T3_T4_T5_mmT6_P12ihipStream_tbEUlT_E_NS1_11comp_targetILNS1_3genE3ELNS1_11target_archE908ELNS1_3gpuE7ELNS1_3repE0EEENS1_30default_config_static_selectorELNS0_4arch9wavefront6targetE1EEEvSP_,@function
_ZN7rocprim17ROCPRIM_400000_NS6detail17trampoline_kernelINS0_14default_configENS1_21merge_config_selectorIdNS0_10empty_typeEEEZNS1_10merge_implIS3_N6thrust23THRUST_200600_302600_NS6detail15normal_iteratorINS9_10device_ptrIKdEEEESF_NSB_INSC_IdEEEEPS5_SI_SI_NS9_4lessIdEEEE10hipError_tPvRmT0_T1_T2_T3_T4_T5_mmT6_P12ihipStream_tbEUlT_E_NS1_11comp_targetILNS1_3genE3ELNS1_11target_archE908ELNS1_3gpuE7ELNS1_3repE0EEENS1_30default_config_static_selectorELNS0_4arch9wavefront6targetE1EEEvSP_: ; @_ZN7rocprim17ROCPRIM_400000_NS6detail17trampoline_kernelINS0_14default_configENS1_21merge_config_selectorIdNS0_10empty_typeEEEZNS1_10merge_implIS3_N6thrust23THRUST_200600_302600_NS6detail15normal_iteratorINS9_10device_ptrIKdEEEESF_NSB_INSC_IdEEEEPS5_SI_SI_NS9_4lessIdEEEE10hipError_tPvRmT0_T1_T2_T3_T4_T5_mmT6_P12ihipStream_tbEUlT_E_NS1_11comp_targetILNS1_3genE3ELNS1_11target_archE908ELNS1_3gpuE7ELNS1_3repE0EEENS1_30default_config_static_selectorELNS0_4arch9wavefront6targetE1EEEvSP_
; %bb.0:
	.section	.rodata,"a",@progbits
	.p2align	6, 0x0
	.amdhsa_kernel _ZN7rocprim17ROCPRIM_400000_NS6detail17trampoline_kernelINS0_14default_configENS1_21merge_config_selectorIdNS0_10empty_typeEEEZNS1_10merge_implIS3_N6thrust23THRUST_200600_302600_NS6detail15normal_iteratorINS9_10device_ptrIKdEEEESF_NSB_INSC_IdEEEEPS5_SI_SI_NS9_4lessIdEEEE10hipError_tPvRmT0_T1_T2_T3_T4_T5_mmT6_P12ihipStream_tbEUlT_E_NS1_11comp_targetILNS1_3genE3ELNS1_11target_archE908ELNS1_3gpuE7ELNS1_3repE0EEENS1_30default_config_static_selectorELNS0_4arch9wavefront6targetE1EEEvSP_
		.amdhsa_group_segment_fixed_size 0
		.amdhsa_private_segment_fixed_size 0
		.amdhsa_kernarg_size 48
		.amdhsa_user_sgpr_count 6
		.amdhsa_user_sgpr_private_segment_buffer 1
		.amdhsa_user_sgpr_dispatch_ptr 0
		.amdhsa_user_sgpr_queue_ptr 0
		.amdhsa_user_sgpr_kernarg_segment_ptr 1
		.amdhsa_user_sgpr_dispatch_id 0
		.amdhsa_user_sgpr_flat_scratch_init 0
		.amdhsa_user_sgpr_kernarg_preload_length 0
		.amdhsa_user_sgpr_kernarg_preload_offset 0
		.amdhsa_user_sgpr_private_segment_size 0
		.amdhsa_uses_dynamic_stack 0
		.amdhsa_system_sgpr_private_segment_wavefront_offset 0
		.amdhsa_system_sgpr_workgroup_id_x 1
		.amdhsa_system_sgpr_workgroup_id_y 0
		.amdhsa_system_sgpr_workgroup_id_z 0
		.amdhsa_system_sgpr_workgroup_info 0
		.amdhsa_system_vgpr_workitem_id 0
		.amdhsa_next_free_vgpr 1
		.amdhsa_next_free_sgpr 0
		.amdhsa_accum_offset 4
		.amdhsa_reserve_vcc 0
		.amdhsa_reserve_flat_scratch 0
		.amdhsa_float_round_mode_32 0
		.amdhsa_float_round_mode_16_64 0
		.amdhsa_float_denorm_mode_32 3
		.amdhsa_float_denorm_mode_16_64 3
		.amdhsa_dx10_clamp 1
		.amdhsa_ieee_mode 1
		.amdhsa_fp16_overflow 0
		.amdhsa_tg_split 0
		.amdhsa_exception_fp_ieee_invalid_op 0
		.amdhsa_exception_fp_denorm_src 0
		.amdhsa_exception_fp_ieee_div_zero 0
		.amdhsa_exception_fp_ieee_overflow 0
		.amdhsa_exception_fp_ieee_underflow 0
		.amdhsa_exception_fp_ieee_inexact 0
		.amdhsa_exception_int_div_zero 0
	.end_amdhsa_kernel
	.section	.text._ZN7rocprim17ROCPRIM_400000_NS6detail17trampoline_kernelINS0_14default_configENS1_21merge_config_selectorIdNS0_10empty_typeEEEZNS1_10merge_implIS3_N6thrust23THRUST_200600_302600_NS6detail15normal_iteratorINS9_10device_ptrIKdEEEESF_NSB_INSC_IdEEEEPS5_SI_SI_NS9_4lessIdEEEE10hipError_tPvRmT0_T1_T2_T3_T4_T5_mmT6_P12ihipStream_tbEUlT_E_NS1_11comp_targetILNS1_3genE3ELNS1_11target_archE908ELNS1_3gpuE7ELNS1_3repE0EEENS1_30default_config_static_selectorELNS0_4arch9wavefront6targetE1EEEvSP_,"axG",@progbits,_ZN7rocprim17ROCPRIM_400000_NS6detail17trampoline_kernelINS0_14default_configENS1_21merge_config_selectorIdNS0_10empty_typeEEEZNS1_10merge_implIS3_N6thrust23THRUST_200600_302600_NS6detail15normal_iteratorINS9_10device_ptrIKdEEEESF_NSB_INSC_IdEEEEPS5_SI_SI_NS9_4lessIdEEEE10hipError_tPvRmT0_T1_T2_T3_T4_T5_mmT6_P12ihipStream_tbEUlT_E_NS1_11comp_targetILNS1_3genE3ELNS1_11target_archE908ELNS1_3gpuE7ELNS1_3repE0EEENS1_30default_config_static_selectorELNS0_4arch9wavefront6targetE1EEEvSP_,comdat
.Lfunc_end4:
	.size	_ZN7rocprim17ROCPRIM_400000_NS6detail17trampoline_kernelINS0_14default_configENS1_21merge_config_selectorIdNS0_10empty_typeEEEZNS1_10merge_implIS3_N6thrust23THRUST_200600_302600_NS6detail15normal_iteratorINS9_10device_ptrIKdEEEESF_NSB_INSC_IdEEEEPS5_SI_SI_NS9_4lessIdEEEE10hipError_tPvRmT0_T1_T2_T3_T4_T5_mmT6_P12ihipStream_tbEUlT_E_NS1_11comp_targetILNS1_3genE3ELNS1_11target_archE908ELNS1_3gpuE7ELNS1_3repE0EEENS1_30default_config_static_selectorELNS0_4arch9wavefront6targetE1EEEvSP_, .Lfunc_end4-_ZN7rocprim17ROCPRIM_400000_NS6detail17trampoline_kernelINS0_14default_configENS1_21merge_config_selectorIdNS0_10empty_typeEEEZNS1_10merge_implIS3_N6thrust23THRUST_200600_302600_NS6detail15normal_iteratorINS9_10device_ptrIKdEEEESF_NSB_INSC_IdEEEEPS5_SI_SI_NS9_4lessIdEEEE10hipError_tPvRmT0_T1_T2_T3_T4_T5_mmT6_P12ihipStream_tbEUlT_E_NS1_11comp_targetILNS1_3genE3ELNS1_11target_archE908ELNS1_3gpuE7ELNS1_3repE0EEENS1_30default_config_static_selectorELNS0_4arch9wavefront6targetE1EEEvSP_
                                        ; -- End function
	.section	.AMDGPU.csdata,"",@progbits
; Kernel info:
; codeLenInByte = 0
; NumSgprs: 4
; NumVgprs: 0
; NumAgprs: 0
; TotalNumVgprs: 0
; ScratchSize: 0
; MemoryBound: 0
; FloatMode: 240
; IeeeMode: 1
; LDSByteSize: 0 bytes/workgroup (compile time only)
; SGPRBlocks: 0
; VGPRBlocks: 0
; NumSGPRsForWavesPerEU: 4
; NumVGPRsForWavesPerEU: 1
; AccumOffset: 4
; Occupancy: 8
; WaveLimiterHint : 0
; COMPUTE_PGM_RSRC2:SCRATCH_EN: 0
; COMPUTE_PGM_RSRC2:USER_SGPR: 6
; COMPUTE_PGM_RSRC2:TRAP_HANDLER: 0
; COMPUTE_PGM_RSRC2:TGID_X_EN: 1
; COMPUTE_PGM_RSRC2:TGID_Y_EN: 0
; COMPUTE_PGM_RSRC2:TGID_Z_EN: 0
; COMPUTE_PGM_RSRC2:TIDIG_COMP_CNT: 0
; COMPUTE_PGM_RSRC3_GFX90A:ACCUM_OFFSET: 0
; COMPUTE_PGM_RSRC3_GFX90A:TG_SPLIT: 0
	.section	.text._ZN7rocprim17ROCPRIM_400000_NS6detail17trampoline_kernelINS0_14default_configENS1_21merge_config_selectorIdNS0_10empty_typeEEEZNS1_10merge_implIS3_N6thrust23THRUST_200600_302600_NS6detail15normal_iteratorINS9_10device_ptrIKdEEEESF_NSB_INSC_IdEEEEPS5_SI_SI_NS9_4lessIdEEEE10hipError_tPvRmT0_T1_T2_T3_T4_T5_mmT6_P12ihipStream_tbEUlT_E_NS1_11comp_targetILNS1_3genE2ELNS1_11target_archE906ELNS1_3gpuE6ELNS1_3repE0EEENS1_30default_config_static_selectorELNS0_4arch9wavefront6targetE1EEEvSP_,"axG",@progbits,_ZN7rocprim17ROCPRIM_400000_NS6detail17trampoline_kernelINS0_14default_configENS1_21merge_config_selectorIdNS0_10empty_typeEEEZNS1_10merge_implIS3_N6thrust23THRUST_200600_302600_NS6detail15normal_iteratorINS9_10device_ptrIKdEEEESF_NSB_INSC_IdEEEEPS5_SI_SI_NS9_4lessIdEEEE10hipError_tPvRmT0_T1_T2_T3_T4_T5_mmT6_P12ihipStream_tbEUlT_E_NS1_11comp_targetILNS1_3genE2ELNS1_11target_archE906ELNS1_3gpuE6ELNS1_3repE0EEENS1_30default_config_static_selectorELNS0_4arch9wavefront6targetE1EEEvSP_,comdat
	.protected	_ZN7rocprim17ROCPRIM_400000_NS6detail17trampoline_kernelINS0_14default_configENS1_21merge_config_selectorIdNS0_10empty_typeEEEZNS1_10merge_implIS3_N6thrust23THRUST_200600_302600_NS6detail15normal_iteratorINS9_10device_ptrIKdEEEESF_NSB_INSC_IdEEEEPS5_SI_SI_NS9_4lessIdEEEE10hipError_tPvRmT0_T1_T2_T3_T4_T5_mmT6_P12ihipStream_tbEUlT_E_NS1_11comp_targetILNS1_3genE2ELNS1_11target_archE906ELNS1_3gpuE6ELNS1_3repE0EEENS1_30default_config_static_selectorELNS0_4arch9wavefront6targetE1EEEvSP_ ; -- Begin function _ZN7rocprim17ROCPRIM_400000_NS6detail17trampoline_kernelINS0_14default_configENS1_21merge_config_selectorIdNS0_10empty_typeEEEZNS1_10merge_implIS3_N6thrust23THRUST_200600_302600_NS6detail15normal_iteratorINS9_10device_ptrIKdEEEESF_NSB_INSC_IdEEEEPS5_SI_SI_NS9_4lessIdEEEE10hipError_tPvRmT0_T1_T2_T3_T4_T5_mmT6_P12ihipStream_tbEUlT_E_NS1_11comp_targetILNS1_3genE2ELNS1_11target_archE906ELNS1_3gpuE6ELNS1_3repE0EEENS1_30default_config_static_selectorELNS0_4arch9wavefront6targetE1EEEvSP_
	.globl	_ZN7rocprim17ROCPRIM_400000_NS6detail17trampoline_kernelINS0_14default_configENS1_21merge_config_selectorIdNS0_10empty_typeEEEZNS1_10merge_implIS3_N6thrust23THRUST_200600_302600_NS6detail15normal_iteratorINS9_10device_ptrIKdEEEESF_NSB_INSC_IdEEEEPS5_SI_SI_NS9_4lessIdEEEE10hipError_tPvRmT0_T1_T2_T3_T4_T5_mmT6_P12ihipStream_tbEUlT_E_NS1_11comp_targetILNS1_3genE2ELNS1_11target_archE906ELNS1_3gpuE6ELNS1_3repE0EEENS1_30default_config_static_selectorELNS0_4arch9wavefront6targetE1EEEvSP_
	.p2align	8
	.type	_ZN7rocprim17ROCPRIM_400000_NS6detail17trampoline_kernelINS0_14default_configENS1_21merge_config_selectorIdNS0_10empty_typeEEEZNS1_10merge_implIS3_N6thrust23THRUST_200600_302600_NS6detail15normal_iteratorINS9_10device_ptrIKdEEEESF_NSB_INSC_IdEEEEPS5_SI_SI_NS9_4lessIdEEEE10hipError_tPvRmT0_T1_T2_T3_T4_T5_mmT6_P12ihipStream_tbEUlT_E_NS1_11comp_targetILNS1_3genE2ELNS1_11target_archE906ELNS1_3gpuE6ELNS1_3repE0EEENS1_30default_config_static_selectorELNS0_4arch9wavefront6targetE1EEEvSP_,@function
_ZN7rocprim17ROCPRIM_400000_NS6detail17trampoline_kernelINS0_14default_configENS1_21merge_config_selectorIdNS0_10empty_typeEEEZNS1_10merge_implIS3_N6thrust23THRUST_200600_302600_NS6detail15normal_iteratorINS9_10device_ptrIKdEEEESF_NSB_INSC_IdEEEEPS5_SI_SI_NS9_4lessIdEEEE10hipError_tPvRmT0_T1_T2_T3_T4_T5_mmT6_P12ihipStream_tbEUlT_E_NS1_11comp_targetILNS1_3genE2ELNS1_11target_archE906ELNS1_3gpuE6ELNS1_3repE0EEENS1_30default_config_static_selectorELNS0_4arch9wavefront6targetE1EEEvSP_: ; @_ZN7rocprim17ROCPRIM_400000_NS6detail17trampoline_kernelINS0_14default_configENS1_21merge_config_selectorIdNS0_10empty_typeEEEZNS1_10merge_implIS3_N6thrust23THRUST_200600_302600_NS6detail15normal_iteratorINS9_10device_ptrIKdEEEESF_NSB_INSC_IdEEEEPS5_SI_SI_NS9_4lessIdEEEE10hipError_tPvRmT0_T1_T2_T3_T4_T5_mmT6_P12ihipStream_tbEUlT_E_NS1_11comp_targetILNS1_3genE2ELNS1_11target_archE906ELNS1_3gpuE6ELNS1_3repE0EEENS1_30default_config_static_selectorELNS0_4arch9wavefront6targetE1EEEvSP_
; %bb.0:
	.section	.rodata,"a",@progbits
	.p2align	6, 0x0
	.amdhsa_kernel _ZN7rocprim17ROCPRIM_400000_NS6detail17trampoline_kernelINS0_14default_configENS1_21merge_config_selectorIdNS0_10empty_typeEEEZNS1_10merge_implIS3_N6thrust23THRUST_200600_302600_NS6detail15normal_iteratorINS9_10device_ptrIKdEEEESF_NSB_INSC_IdEEEEPS5_SI_SI_NS9_4lessIdEEEE10hipError_tPvRmT0_T1_T2_T3_T4_T5_mmT6_P12ihipStream_tbEUlT_E_NS1_11comp_targetILNS1_3genE2ELNS1_11target_archE906ELNS1_3gpuE6ELNS1_3repE0EEENS1_30default_config_static_selectorELNS0_4arch9wavefront6targetE1EEEvSP_
		.amdhsa_group_segment_fixed_size 0
		.amdhsa_private_segment_fixed_size 0
		.amdhsa_kernarg_size 48
		.amdhsa_user_sgpr_count 6
		.amdhsa_user_sgpr_private_segment_buffer 1
		.amdhsa_user_sgpr_dispatch_ptr 0
		.amdhsa_user_sgpr_queue_ptr 0
		.amdhsa_user_sgpr_kernarg_segment_ptr 1
		.amdhsa_user_sgpr_dispatch_id 0
		.amdhsa_user_sgpr_flat_scratch_init 0
		.amdhsa_user_sgpr_kernarg_preload_length 0
		.amdhsa_user_sgpr_kernarg_preload_offset 0
		.amdhsa_user_sgpr_private_segment_size 0
		.amdhsa_uses_dynamic_stack 0
		.amdhsa_system_sgpr_private_segment_wavefront_offset 0
		.amdhsa_system_sgpr_workgroup_id_x 1
		.amdhsa_system_sgpr_workgroup_id_y 0
		.amdhsa_system_sgpr_workgroup_id_z 0
		.amdhsa_system_sgpr_workgroup_info 0
		.amdhsa_system_vgpr_workitem_id 0
		.amdhsa_next_free_vgpr 1
		.amdhsa_next_free_sgpr 0
		.amdhsa_accum_offset 4
		.amdhsa_reserve_vcc 0
		.amdhsa_reserve_flat_scratch 0
		.amdhsa_float_round_mode_32 0
		.amdhsa_float_round_mode_16_64 0
		.amdhsa_float_denorm_mode_32 3
		.amdhsa_float_denorm_mode_16_64 3
		.amdhsa_dx10_clamp 1
		.amdhsa_ieee_mode 1
		.amdhsa_fp16_overflow 0
		.amdhsa_tg_split 0
		.amdhsa_exception_fp_ieee_invalid_op 0
		.amdhsa_exception_fp_denorm_src 0
		.amdhsa_exception_fp_ieee_div_zero 0
		.amdhsa_exception_fp_ieee_overflow 0
		.amdhsa_exception_fp_ieee_underflow 0
		.amdhsa_exception_fp_ieee_inexact 0
		.amdhsa_exception_int_div_zero 0
	.end_amdhsa_kernel
	.section	.text._ZN7rocprim17ROCPRIM_400000_NS6detail17trampoline_kernelINS0_14default_configENS1_21merge_config_selectorIdNS0_10empty_typeEEEZNS1_10merge_implIS3_N6thrust23THRUST_200600_302600_NS6detail15normal_iteratorINS9_10device_ptrIKdEEEESF_NSB_INSC_IdEEEEPS5_SI_SI_NS9_4lessIdEEEE10hipError_tPvRmT0_T1_T2_T3_T4_T5_mmT6_P12ihipStream_tbEUlT_E_NS1_11comp_targetILNS1_3genE2ELNS1_11target_archE906ELNS1_3gpuE6ELNS1_3repE0EEENS1_30default_config_static_selectorELNS0_4arch9wavefront6targetE1EEEvSP_,"axG",@progbits,_ZN7rocprim17ROCPRIM_400000_NS6detail17trampoline_kernelINS0_14default_configENS1_21merge_config_selectorIdNS0_10empty_typeEEEZNS1_10merge_implIS3_N6thrust23THRUST_200600_302600_NS6detail15normal_iteratorINS9_10device_ptrIKdEEEESF_NSB_INSC_IdEEEEPS5_SI_SI_NS9_4lessIdEEEE10hipError_tPvRmT0_T1_T2_T3_T4_T5_mmT6_P12ihipStream_tbEUlT_E_NS1_11comp_targetILNS1_3genE2ELNS1_11target_archE906ELNS1_3gpuE6ELNS1_3repE0EEENS1_30default_config_static_selectorELNS0_4arch9wavefront6targetE1EEEvSP_,comdat
.Lfunc_end5:
	.size	_ZN7rocprim17ROCPRIM_400000_NS6detail17trampoline_kernelINS0_14default_configENS1_21merge_config_selectorIdNS0_10empty_typeEEEZNS1_10merge_implIS3_N6thrust23THRUST_200600_302600_NS6detail15normal_iteratorINS9_10device_ptrIKdEEEESF_NSB_INSC_IdEEEEPS5_SI_SI_NS9_4lessIdEEEE10hipError_tPvRmT0_T1_T2_T3_T4_T5_mmT6_P12ihipStream_tbEUlT_E_NS1_11comp_targetILNS1_3genE2ELNS1_11target_archE906ELNS1_3gpuE6ELNS1_3repE0EEENS1_30default_config_static_selectorELNS0_4arch9wavefront6targetE1EEEvSP_, .Lfunc_end5-_ZN7rocprim17ROCPRIM_400000_NS6detail17trampoline_kernelINS0_14default_configENS1_21merge_config_selectorIdNS0_10empty_typeEEEZNS1_10merge_implIS3_N6thrust23THRUST_200600_302600_NS6detail15normal_iteratorINS9_10device_ptrIKdEEEESF_NSB_INSC_IdEEEEPS5_SI_SI_NS9_4lessIdEEEE10hipError_tPvRmT0_T1_T2_T3_T4_T5_mmT6_P12ihipStream_tbEUlT_E_NS1_11comp_targetILNS1_3genE2ELNS1_11target_archE906ELNS1_3gpuE6ELNS1_3repE0EEENS1_30default_config_static_selectorELNS0_4arch9wavefront6targetE1EEEvSP_
                                        ; -- End function
	.section	.AMDGPU.csdata,"",@progbits
; Kernel info:
; codeLenInByte = 0
; NumSgprs: 4
; NumVgprs: 0
; NumAgprs: 0
; TotalNumVgprs: 0
; ScratchSize: 0
; MemoryBound: 0
; FloatMode: 240
; IeeeMode: 1
; LDSByteSize: 0 bytes/workgroup (compile time only)
; SGPRBlocks: 0
; VGPRBlocks: 0
; NumSGPRsForWavesPerEU: 4
; NumVGPRsForWavesPerEU: 1
; AccumOffset: 4
; Occupancy: 8
; WaveLimiterHint : 0
; COMPUTE_PGM_RSRC2:SCRATCH_EN: 0
; COMPUTE_PGM_RSRC2:USER_SGPR: 6
; COMPUTE_PGM_RSRC2:TRAP_HANDLER: 0
; COMPUTE_PGM_RSRC2:TGID_X_EN: 1
; COMPUTE_PGM_RSRC2:TGID_Y_EN: 0
; COMPUTE_PGM_RSRC2:TGID_Z_EN: 0
; COMPUTE_PGM_RSRC2:TIDIG_COMP_CNT: 0
; COMPUTE_PGM_RSRC3_GFX90A:ACCUM_OFFSET: 0
; COMPUTE_PGM_RSRC3_GFX90A:TG_SPLIT: 0
	.section	.text._ZN7rocprim17ROCPRIM_400000_NS6detail17trampoline_kernelINS0_14default_configENS1_21merge_config_selectorIdNS0_10empty_typeEEEZNS1_10merge_implIS3_N6thrust23THRUST_200600_302600_NS6detail15normal_iteratorINS9_10device_ptrIKdEEEESF_NSB_INSC_IdEEEEPS5_SI_SI_NS9_4lessIdEEEE10hipError_tPvRmT0_T1_T2_T3_T4_T5_mmT6_P12ihipStream_tbEUlT_E_NS1_11comp_targetILNS1_3genE10ELNS1_11target_archE1201ELNS1_3gpuE5ELNS1_3repE0EEENS1_30default_config_static_selectorELNS0_4arch9wavefront6targetE1EEEvSP_,"axG",@progbits,_ZN7rocprim17ROCPRIM_400000_NS6detail17trampoline_kernelINS0_14default_configENS1_21merge_config_selectorIdNS0_10empty_typeEEEZNS1_10merge_implIS3_N6thrust23THRUST_200600_302600_NS6detail15normal_iteratorINS9_10device_ptrIKdEEEESF_NSB_INSC_IdEEEEPS5_SI_SI_NS9_4lessIdEEEE10hipError_tPvRmT0_T1_T2_T3_T4_T5_mmT6_P12ihipStream_tbEUlT_E_NS1_11comp_targetILNS1_3genE10ELNS1_11target_archE1201ELNS1_3gpuE5ELNS1_3repE0EEENS1_30default_config_static_selectorELNS0_4arch9wavefront6targetE1EEEvSP_,comdat
	.protected	_ZN7rocprim17ROCPRIM_400000_NS6detail17trampoline_kernelINS0_14default_configENS1_21merge_config_selectorIdNS0_10empty_typeEEEZNS1_10merge_implIS3_N6thrust23THRUST_200600_302600_NS6detail15normal_iteratorINS9_10device_ptrIKdEEEESF_NSB_INSC_IdEEEEPS5_SI_SI_NS9_4lessIdEEEE10hipError_tPvRmT0_T1_T2_T3_T4_T5_mmT6_P12ihipStream_tbEUlT_E_NS1_11comp_targetILNS1_3genE10ELNS1_11target_archE1201ELNS1_3gpuE5ELNS1_3repE0EEENS1_30default_config_static_selectorELNS0_4arch9wavefront6targetE1EEEvSP_ ; -- Begin function _ZN7rocprim17ROCPRIM_400000_NS6detail17trampoline_kernelINS0_14default_configENS1_21merge_config_selectorIdNS0_10empty_typeEEEZNS1_10merge_implIS3_N6thrust23THRUST_200600_302600_NS6detail15normal_iteratorINS9_10device_ptrIKdEEEESF_NSB_INSC_IdEEEEPS5_SI_SI_NS9_4lessIdEEEE10hipError_tPvRmT0_T1_T2_T3_T4_T5_mmT6_P12ihipStream_tbEUlT_E_NS1_11comp_targetILNS1_3genE10ELNS1_11target_archE1201ELNS1_3gpuE5ELNS1_3repE0EEENS1_30default_config_static_selectorELNS0_4arch9wavefront6targetE1EEEvSP_
	.globl	_ZN7rocprim17ROCPRIM_400000_NS6detail17trampoline_kernelINS0_14default_configENS1_21merge_config_selectorIdNS0_10empty_typeEEEZNS1_10merge_implIS3_N6thrust23THRUST_200600_302600_NS6detail15normal_iteratorINS9_10device_ptrIKdEEEESF_NSB_INSC_IdEEEEPS5_SI_SI_NS9_4lessIdEEEE10hipError_tPvRmT0_T1_T2_T3_T4_T5_mmT6_P12ihipStream_tbEUlT_E_NS1_11comp_targetILNS1_3genE10ELNS1_11target_archE1201ELNS1_3gpuE5ELNS1_3repE0EEENS1_30default_config_static_selectorELNS0_4arch9wavefront6targetE1EEEvSP_
	.p2align	8
	.type	_ZN7rocprim17ROCPRIM_400000_NS6detail17trampoline_kernelINS0_14default_configENS1_21merge_config_selectorIdNS0_10empty_typeEEEZNS1_10merge_implIS3_N6thrust23THRUST_200600_302600_NS6detail15normal_iteratorINS9_10device_ptrIKdEEEESF_NSB_INSC_IdEEEEPS5_SI_SI_NS9_4lessIdEEEE10hipError_tPvRmT0_T1_T2_T3_T4_T5_mmT6_P12ihipStream_tbEUlT_E_NS1_11comp_targetILNS1_3genE10ELNS1_11target_archE1201ELNS1_3gpuE5ELNS1_3repE0EEENS1_30default_config_static_selectorELNS0_4arch9wavefront6targetE1EEEvSP_,@function
_ZN7rocprim17ROCPRIM_400000_NS6detail17trampoline_kernelINS0_14default_configENS1_21merge_config_selectorIdNS0_10empty_typeEEEZNS1_10merge_implIS3_N6thrust23THRUST_200600_302600_NS6detail15normal_iteratorINS9_10device_ptrIKdEEEESF_NSB_INSC_IdEEEEPS5_SI_SI_NS9_4lessIdEEEE10hipError_tPvRmT0_T1_T2_T3_T4_T5_mmT6_P12ihipStream_tbEUlT_E_NS1_11comp_targetILNS1_3genE10ELNS1_11target_archE1201ELNS1_3gpuE5ELNS1_3repE0EEENS1_30default_config_static_selectorELNS0_4arch9wavefront6targetE1EEEvSP_: ; @_ZN7rocprim17ROCPRIM_400000_NS6detail17trampoline_kernelINS0_14default_configENS1_21merge_config_selectorIdNS0_10empty_typeEEEZNS1_10merge_implIS3_N6thrust23THRUST_200600_302600_NS6detail15normal_iteratorINS9_10device_ptrIKdEEEESF_NSB_INSC_IdEEEEPS5_SI_SI_NS9_4lessIdEEEE10hipError_tPvRmT0_T1_T2_T3_T4_T5_mmT6_P12ihipStream_tbEUlT_E_NS1_11comp_targetILNS1_3genE10ELNS1_11target_archE1201ELNS1_3gpuE5ELNS1_3repE0EEENS1_30default_config_static_selectorELNS0_4arch9wavefront6targetE1EEEvSP_
; %bb.0:
	.section	.rodata,"a",@progbits
	.p2align	6, 0x0
	.amdhsa_kernel _ZN7rocprim17ROCPRIM_400000_NS6detail17trampoline_kernelINS0_14default_configENS1_21merge_config_selectorIdNS0_10empty_typeEEEZNS1_10merge_implIS3_N6thrust23THRUST_200600_302600_NS6detail15normal_iteratorINS9_10device_ptrIKdEEEESF_NSB_INSC_IdEEEEPS5_SI_SI_NS9_4lessIdEEEE10hipError_tPvRmT0_T1_T2_T3_T4_T5_mmT6_P12ihipStream_tbEUlT_E_NS1_11comp_targetILNS1_3genE10ELNS1_11target_archE1201ELNS1_3gpuE5ELNS1_3repE0EEENS1_30default_config_static_selectorELNS0_4arch9wavefront6targetE1EEEvSP_
		.amdhsa_group_segment_fixed_size 0
		.amdhsa_private_segment_fixed_size 0
		.amdhsa_kernarg_size 48
		.amdhsa_user_sgpr_count 6
		.amdhsa_user_sgpr_private_segment_buffer 1
		.amdhsa_user_sgpr_dispatch_ptr 0
		.amdhsa_user_sgpr_queue_ptr 0
		.amdhsa_user_sgpr_kernarg_segment_ptr 1
		.amdhsa_user_sgpr_dispatch_id 0
		.amdhsa_user_sgpr_flat_scratch_init 0
		.amdhsa_user_sgpr_kernarg_preload_length 0
		.amdhsa_user_sgpr_kernarg_preload_offset 0
		.amdhsa_user_sgpr_private_segment_size 0
		.amdhsa_uses_dynamic_stack 0
		.amdhsa_system_sgpr_private_segment_wavefront_offset 0
		.amdhsa_system_sgpr_workgroup_id_x 1
		.amdhsa_system_sgpr_workgroup_id_y 0
		.amdhsa_system_sgpr_workgroup_id_z 0
		.amdhsa_system_sgpr_workgroup_info 0
		.amdhsa_system_vgpr_workitem_id 0
		.amdhsa_next_free_vgpr 1
		.amdhsa_next_free_sgpr 0
		.amdhsa_accum_offset 4
		.amdhsa_reserve_vcc 0
		.amdhsa_reserve_flat_scratch 0
		.amdhsa_float_round_mode_32 0
		.amdhsa_float_round_mode_16_64 0
		.amdhsa_float_denorm_mode_32 3
		.amdhsa_float_denorm_mode_16_64 3
		.amdhsa_dx10_clamp 1
		.amdhsa_ieee_mode 1
		.amdhsa_fp16_overflow 0
		.amdhsa_tg_split 0
		.amdhsa_exception_fp_ieee_invalid_op 0
		.amdhsa_exception_fp_denorm_src 0
		.amdhsa_exception_fp_ieee_div_zero 0
		.amdhsa_exception_fp_ieee_overflow 0
		.amdhsa_exception_fp_ieee_underflow 0
		.amdhsa_exception_fp_ieee_inexact 0
		.amdhsa_exception_int_div_zero 0
	.end_amdhsa_kernel
	.section	.text._ZN7rocprim17ROCPRIM_400000_NS6detail17trampoline_kernelINS0_14default_configENS1_21merge_config_selectorIdNS0_10empty_typeEEEZNS1_10merge_implIS3_N6thrust23THRUST_200600_302600_NS6detail15normal_iteratorINS9_10device_ptrIKdEEEESF_NSB_INSC_IdEEEEPS5_SI_SI_NS9_4lessIdEEEE10hipError_tPvRmT0_T1_T2_T3_T4_T5_mmT6_P12ihipStream_tbEUlT_E_NS1_11comp_targetILNS1_3genE10ELNS1_11target_archE1201ELNS1_3gpuE5ELNS1_3repE0EEENS1_30default_config_static_selectorELNS0_4arch9wavefront6targetE1EEEvSP_,"axG",@progbits,_ZN7rocprim17ROCPRIM_400000_NS6detail17trampoline_kernelINS0_14default_configENS1_21merge_config_selectorIdNS0_10empty_typeEEEZNS1_10merge_implIS3_N6thrust23THRUST_200600_302600_NS6detail15normal_iteratorINS9_10device_ptrIKdEEEESF_NSB_INSC_IdEEEEPS5_SI_SI_NS9_4lessIdEEEE10hipError_tPvRmT0_T1_T2_T3_T4_T5_mmT6_P12ihipStream_tbEUlT_E_NS1_11comp_targetILNS1_3genE10ELNS1_11target_archE1201ELNS1_3gpuE5ELNS1_3repE0EEENS1_30default_config_static_selectorELNS0_4arch9wavefront6targetE1EEEvSP_,comdat
.Lfunc_end6:
	.size	_ZN7rocprim17ROCPRIM_400000_NS6detail17trampoline_kernelINS0_14default_configENS1_21merge_config_selectorIdNS0_10empty_typeEEEZNS1_10merge_implIS3_N6thrust23THRUST_200600_302600_NS6detail15normal_iteratorINS9_10device_ptrIKdEEEESF_NSB_INSC_IdEEEEPS5_SI_SI_NS9_4lessIdEEEE10hipError_tPvRmT0_T1_T2_T3_T4_T5_mmT6_P12ihipStream_tbEUlT_E_NS1_11comp_targetILNS1_3genE10ELNS1_11target_archE1201ELNS1_3gpuE5ELNS1_3repE0EEENS1_30default_config_static_selectorELNS0_4arch9wavefront6targetE1EEEvSP_, .Lfunc_end6-_ZN7rocprim17ROCPRIM_400000_NS6detail17trampoline_kernelINS0_14default_configENS1_21merge_config_selectorIdNS0_10empty_typeEEEZNS1_10merge_implIS3_N6thrust23THRUST_200600_302600_NS6detail15normal_iteratorINS9_10device_ptrIKdEEEESF_NSB_INSC_IdEEEEPS5_SI_SI_NS9_4lessIdEEEE10hipError_tPvRmT0_T1_T2_T3_T4_T5_mmT6_P12ihipStream_tbEUlT_E_NS1_11comp_targetILNS1_3genE10ELNS1_11target_archE1201ELNS1_3gpuE5ELNS1_3repE0EEENS1_30default_config_static_selectorELNS0_4arch9wavefront6targetE1EEEvSP_
                                        ; -- End function
	.section	.AMDGPU.csdata,"",@progbits
; Kernel info:
; codeLenInByte = 0
; NumSgprs: 4
; NumVgprs: 0
; NumAgprs: 0
; TotalNumVgprs: 0
; ScratchSize: 0
; MemoryBound: 0
; FloatMode: 240
; IeeeMode: 1
; LDSByteSize: 0 bytes/workgroup (compile time only)
; SGPRBlocks: 0
; VGPRBlocks: 0
; NumSGPRsForWavesPerEU: 4
; NumVGPRsForWavesPerEU: 1
; AccumOffset: 4
; Occupancy: 8
; WaveLimiterHint : 0
; COMPUTE_PGM_RSRC2:SCRATCH_EN: 0
; COMPUTE_PGM_RSRC2:USER_SGPR: 6
; COMPUTE_PGM_RSRC2:TRAP_HANDLER: 0
; COMPUTE_PGM_RSRC2:TGID_X_EN: 1
; COMPUTE_PGM_RSRC2:TGID_Y_EN: 0
; COMPUTE_PGM_RSRC2:TGID_Z_EN: 0
; COMPUTE_PGM_RSRC2:TIDIG_COMP_CNT: 0
; COMPUTE_PGM_RSRC3_GFX90A:ACCUM_OFFSET: 0
; COMPUTE_PGM_RSRC3_GFX90A:TG_SPLIT: 0
	.section	.text._ZN7rocprim17ROCPRIM_400000_NS6detail17trampoline_kernelINS0_14default_configENS1_21merge_config_selectorIdNS0_10empty_typeEEEZNS1_10merge_implIS3_N6thrust23THRUST_200600_302600_NS6detail15normal_iteratorINS9_10device_ptrIKdEEEESF_NSB_INSC_IdEEEEPS5_SI_SI_NS9_4lessIdEEEE10hipError_tPvRmT0_T1_T2_T3_T4_T5_mmT6_P12ihipStream_tbEUlT_E_NS1_11comp_targetILNS1_3genE10ELNS1_11target_archE1200ELNS1_3gpuE4ELNS1_3repE0EEENS1_30default_config_static_selectorELNS0_4arch9wavefront6targetE1EEEvSP_,"axG",@progbits,_ZN7rocprim17ROCPRIM_400000_NS6detail17trampoline_kernelINS0_14default_configENS1_21merge_config_selectorIdNS0_10empty_typeEEEZNS1_10merge_implIS3_N6thrust23THRUST_200600_302600_NS6detail15normal_iteratorINS9_10device_ptrIKdEEEESF_NSB_INSC_IdEEEEPS5_SI_SI_NS9_4lessIdEEEE10hipError_tPvRmT0_T1_T2_T3_T4_T5_mmT6_P12ihipStream_tbEUlT_E_NS1_11comp_targetILNS1_3genE10ELNS1_11target_archE1200ELNS1_3gpuE4ELNS1_3repE0EEENS1_30default_config_static_selectorELNS0_4arch9wavefront6targetE1EEEvSP_,comdat
	.protected	_ZN7rocprim17ROCPRIM_400000_NS6detail17trampoline_kernelINS0_14default_configENS1_21merge_config_selectorIdNS0_10empty_typeEEEZNS1_10merge_implIS3_N6thrust23THRUST_200600_302600_NS6detail15normal_iteratorINS9_10device_ptrIKdEEEESF_NSB_INSC_IdEEEEPS5_SI_SI_NS9_4lessIdEEEE10hipError_tPvRmT0_T1_T2_T3_T4_T5_mmT6_P12ihipStream_tbEUlT_E_NS1_11comp_targetILNS1_3genE10ELNS1_11target_archE1200ELNS1_3gpuE4ELNS1_3repE0EEENS1_30default_config_static_selectorELNS0_4arch9wavefront6targetE1EEEvSP_ ; -- Begin function _ZN7rocprim17ROCPRIM_400000_NS6detail17trampoline_kernelINS0_14default_configENS1_21merge_config_selectorIdNS0_10empty_typeEEEZNS1_10merge_implIS3_N6thrust23THRUST_200600_302600_NS6detail15normal_iteratorINS9_10device_ptrIKdEEEESF_NSB_INSC_IdEEEEPS5_SI_SI_NS9_4lessIdEEEE10hipError_tPvRmT0_T1_T2_T3_T4_T5_mmT6_P12ihipStream_tbEUlT_E_NS1_11comp_targetILNS1_3genE10ELNS1_11target_archE1200ELNS1_3gpuE4ELNS1_3repE0EEENS1_30default_config_static_selectorELNS0_4arch9wavefront6targetE1EEEvSP_
	.globl	_ZN7rocprim17ROCPRIM_400000_NS6detail17trampoline_kernelINS0_14default_configENS1_21merge_config_selectorIdNS0_10empty_typeEEEZNS1_10merge_implIS3_N6thrust23THRUST_200600_302600_NS6detail15normal_iteratorINS9_10device_ptrIKdEEEESF_NSB_INSC_IdEEEEPS5_SI_SI_NS9_4lessIdEEEE10hipError_tPvRmT0_T1_T2_T3_T4_T5_mmT6_P12ihipStream_tbEUlT_E_NS1_11comp_targetILNS1_3genE10ELNS1_11target_archE1200ELNS1_3gpuE4ELNS1_3repE0EEENS1_30default_config_static_selectorELNS0_4arch9wavefront6targetE1EEEvSP_
	.p2align	8
	.type	_ZN7rocprim17ROCPRIM_400000_NS6detail17trampoline_kernelINS0_14default_configENS1_21merge_config_selectorIdNS0_10empty_typeEEEZNS1_10merge_implIS3_N6thrust23THRUST_200600_302600_NS6detail15normal_iteratorINS9_10device_ptrIKdEEEESF_NSB_INSC_IdEEEEPS5_SI_SI_NS9_4lessIdEEEE10hipError_tPvRmT0_T1_T2_T3_T4_T5_mmT6_P12ihipStream_tbEUlT_E_NS1_11comp_targetILNS1_3genE10ELNS1_11target_archE1200ELNS1_3gpuE4ELNS1_3repE0EEENS1_30default_config_static_selectorELNS0_4arch9wavefront6targetE1EEEvSP_,@function
_ZN7rocprim17ROCPRIM_400000_NS6detail17trampoline_kernelINS0_14default_configENS1_21merge_config_selectorIdNS0_10empty_typeEEEZNS1_10merge_implIS3_N6thrust23THRUST_200600_302600_NS6detail15normal_iteratorINS9_10device_ptrIKdEEEESF_NSB_INSC_IdEEEEPS5_SI_SI_NS9_4lessIdEEEE10hipError_tPvRmT0_T1_T2_T3_T4_T5_mmT6_P12ihipStream_tbEUlT_E_NS1_11comp_targetILNS1_3genE10ELNS1_11target_archE1200ELNS1_3gpuE4ELNS1_3repE0EEENS1_30default_config_static_selectorELNS0_4arch9wavefront6targetE1EEEvSP_: ; @_ZN7rocprim17ROCPRIM_400000_NS6detail17trampoline_kernelINS0_14default_configENS1_21merge_config_selectorIdNS0_10empty_typeEEEZNS1_10merge_implIS3_N6thrust23THRUST_200600_302600_NS6detail15normal_iteratorINS9_10device_ptrIKdEEEESF_NSB_INSC_IdEEEEPS5_SI_SI_NS9_4lessIdEEEE10hipError_tPvRmT0_T1_T2_T3_T4_T5_mmT6_P12ihipStream_tbEUlT_E_NS1_11comp_targetILNS1_3genE10ELNS1_11target_archE1200ELNS1_3gpuE4ELNS1_3repE0EEENS1_30default_config_static_selectorELNS0_4arch9wavefront6targetE1EEEvSP_
; %bb.0:
	.section	.rodata,"a",@progbits
	.p2align	6, 0x0
	.amdhsa_kernel _ZN7rocprim17ROCPRIM_400000_NS6detail17trampoline_kernelINS0_14default_configENS1_21merge_config_selectorIdNS0_10empty_typeEEEZNS1_10merge_implIS3_N6thrust23THRUST_200600_302600_NS6detail15normal_iteratorINS9_10device_ptrIKdEEEESF_NSB_INSC_IdEEEEPS5_SI_SI_NS9_4lessIdEEEE10hipError_tPvRmT0_T1_T2_T3_T4_T5_mmT6_P12ihipStream_tbEUlT_E_NS1_11comp_targetILNS1_3genE10ELNS1_11target_archE1200ELNS1_3gpuE4ELNS1_3repE0EEENS1_30default_config_static_selectorELNS0_4arch9wavefront6targetE1EEEvSP_
		.amdhsa_group_segment_fixed_size 0
		.amdhsa_private_segment_fixed_size 0
		.amdhsa_kernarg_size 48
		.amdhsa_user_sgpr_count 6
		.amdhsa_user_sgpr_private_segment_buffer 1
		.amdhsa_user_sgpr_dispatch_ptr 0
		.amdhsa_user_sgpr_queue_ptr 0
		.amdhsa_user_sgpr_kernarg_segment_ptr 1
		.amdhsa_user_sgpr_dispatch_id 0
		.amdhsa_user_sgpr_flat_scratch_init 0
		.amdhsa_user_sgpr_kernarg_preload_length 0
		.amdhsa_user_sgpr_kernarg_preload_offset 0
		.amdhsa_user_sgpr_private_segment_size 0
		.amdhsa_uses_dynamic_stack 0
		.amdhsa_system_sgpr_private_segment_wavefront_offset 0
		.amdhsa_system_sgpr_workgroup_id_x 1
		.amdhsa_system_sgpr_workgroup_id_y 0
		.amdhsa_system_sgpr_workgroup_id_z 0
		.amdhsa_system_sgpr_workgroup_info 0
		.amdhsa_system_vgpr_workitem_id 0
		.amdhsa_next_free_vgpr 1
		.amdhsa_next_free_sgpr 0
		.amdhsa_accum_offset 4
		.amdhsa_reserve_vcc 0
		.amdhsa_reserve_flat_scratch 0
		.amdhsa_float_round_mode_32 0
		.amdhsa_float_round_mode_16_64 0
		.amdhsa_float_denorm_mode_32 3
		.amdhsa_float_denorm_mode_16_64 3
		.amdhsa_dx10_clamp 1
		.amdhsa_ieee_mode 1
		.amdhsa_fp16_overflow 0
		.amdhsa_tg_split 0
		.amdhsa_exception_fp_ieee_invalid_op 0
		.amdhsa_exception_fp_denorm_src 0
		.amdhsa_exception_fp_ieee_div_zero 0
		.amdhsa_exception_fp_ieee_overflow 0
		.amdhsa_exception_fp_ieee_underflow 0
		.amdhsa_exception_fp_ieee_inexact 0
		.amdhsa_exception_int_div_zero 0
	.end_amdhsa_kernel
	.section	.text._ZN7rocprim17ROCPRIM_400000_NS6detail17trampoline_kernelINS0_14default_configENS1_21merge_config_selectorIdNS0_10empty_typeEEEZNS1_10merge_implIS3_N6thrust23THRUST_200600_302600_NS6detail15normal_iteratorINS9_10device_ptrIKdEEEESF_NSB_INSC_IdEEEEPS5_SI_SI_NS9_4lessIdEEEE10hipError_tPvRmT0_T1_T2_T3_T4_T5_mmT6_P12ihipStream_tbEUlT_E_NS1_11comp_targetILNS1_3genE10ELNS1_11target_archE1200ELNS1_3gpuE4ELNS1_3repE0EEENS1_30default_config_static_selectorELNS0_4arch9wavefront6targetE1EEEvSP_,"axG",@progbits,_ZN7rocprim17ROCPRIM_400000_NS6detail17trampoline_kernelINS0_14default_configENS1_21merge_config_selectorIdNS0_10empty_typeEEEZNS1_10merge_implIS3_N6thrust23THRUST_200600_302600_NS6detail15normal_iteratorINS9_10device_ptrIKdEEEESF_NSB_INSC_IdEEEEPS5_SI_SI_NS9_4lessIdEEEE10hipError_tPvRmT0_T1_T2_T3_T4_T5_mmT6_P12ihipStream_tbEUlT_E_NS1_11comp_targetILNS1_3genE10ELNS1_11target_archE1200ELNS1_3gpuE4ELNS1_3repE0EEENS1_30default_config_static_selectorELNS0_4arch9wavefront6targetE1EEEvSP_,comdat
.Lfunc_end7:
	.size	_ZN7rocprim17ROCPRIM_400000_NS6detail17trampoline_kernelINS0_14default_configENS1_21merge_config_selectorIdNS0_10empty_typeEEEZNS1_10merge_implIS3_N6thrust23THRUST_200600_302600_NS6detail15normal_iteratorINS9_10device_ptrIKdEEEESF_NSB_INSC_IdEEEEPS5_SI_SI_NS9_4lessIdEEEE10hipError_tPvRmT0_T1_T2_T3_T4_T5_mmT6_P12ihipStream_tbEUlT_E_NS1_11comp_targetILNS1_3genE10ELNS1_11target_archE1200ELNS1_3gpuE4ELNS1_3repE0EEENS1_30default_config_static_selectorELNS0_4arch9wavefront6targetE1EEEvSP_, .Lfunc_end7-_ZN7rocprim17ROCPRIM_400000_NS6detail17trampoline_kernelINS0_14default_configENS1_21merge_config_selectorIdNS0_10empty_typeEEEZNS1_10merge_implIS3_N6thrust23THRUST_200600_302600_NS6detail15normal_iteratorINS9_10device_ptrIKdEEEESF_NSB_INSC_IdEEEEPS5_SI_SI_NS9_4lessIdEEEE10hipError_tPvRmT0_T1_T2_T3_T4_T5_mmT6_P12ihipStream_tbEUlT_E_NS1_11comp_targetILNS1_3genE10ELNS1_11target_archE1200ELNS1_3gpuE4ELNS1_3repE0EEENS1_30default_config_static_selectorELNS0_4arch9wavefront6targetE1EEEvSP_
                                        ; -- End function
	.section	.AMDGPU.csdata,"",@progbits
; Kernel info:
; codeLenInByte = 0
; NumSgprs: 4
; NumVgprs: 0
; NumAgprs: 0
; TotalNumVgprs: 0
; ScratchSize: 0
; MemoryBound: 0
; FloatMode: 240
; IeeeMode: 1
; LDSByteSize: 0 bytes/workgroup (compile time only)
; SGPRBlocks: 0
; VGPRBlocks: 0
; NumSGPRsForWavesPerEU: 4
; NumVGPRsForWavesPerEU: 1
; AccumOffset: 4
; Occupancy: 8
; WaveLimiterHint : 0
; COMPUTE_PGM_RSRC2:SCRATCH_EN: 0
; COMPUTE_PGM_RSRC2:USER_SGPR: 6
; COMPUTE_PGM_RSRC2:TRAP_HANDLER: 0
; COMPUTE_PGM_RSRC2:TGID_X_EN: 1
; COMPUTE_PGM_RSRC2:TGID_Y_EN: 0
; COMPUTE_PGM_RSRC2:TGID_Z_EN: 0
; COMPUTE_PGM_RSRC2:TIDIG_COMP_CNT: 0
; COMPUTE_PGM_RSRC3_GFX90A:ACCUM_OFFSET: 0
; COMPUTE_PGM_RSRC3_GFX90A:TG_SPLIT: 0
	.section	.text._ZN7rocprim17ROCPRIM_400000_NS6detail17trampoline_kernelINS0_14default_configENS1_21merge_config_selectorIdNS0_10empty_typeEEEZNS1_10merge_implIS3_N6thrust23THRUST_200600_302600_NS6detail15normal_iteratorINS9_10device_ptrIKdEEEESF_NSB_INSC_IdEEEEPS5_SI_SI_NS9_4lessIdEEEE10hipError_tPvRmT0_T1_T2_T3_T4_T5_mmT6_P12ihipStream_tbEUlT_E_NS1_11comp_targetILNS1_3genE9ELNS1_11target_archE1100ELNS1_3gpuE3ELNS1_3repE0EEENS1_30default_config_static_selectorELNS0_4arch9wavefront6targetE1EEEvSP_,"axG",@progbits,_ZN7rocprim17ROCPRIM_400000_NS6detail17trampoline_kernelINS0_14default_configENS1_21merge_config_selectorIdNS0_10empty_typeEEEZNS1_10merge_implIS3_N6thrust23THRUST_200600_302600_NS6detail15normal_iteratorINS9_10device_ptrIKdEEEESF_NSB_INSC_IdEEEEPS5_SI_SI_NS9_4lessIdEEEE10hipError_tPvRmT0_T1_T2_T3_T4_T5_mmT6_P12ihipStream_tbEUlT_E_NS1_11comp_targetILNS1_3genE9ELNS1_11target_archE1100ELNS1_3gpuE3ELNS1_3repE0EEENS1_30default_config_static_selectorELNS0_4arch9wavefront6targetE1EEEvSP_,comdat
	.protected	_ZN7rocprim17ROCPRIM_400000_NS6detail17trampoline_kernelINS0_14default_configENS1_21merge_config_selectorIdNS0_10empty_typeEEEZNS1_10merge_implIS3_N6thrust23THRUST_200600_302600_NS6detail15normal_iteratorINS9_10device_ptrIKdEEEESF_NSB_INSC_IdEEEEPS5_SI_SI_NS9_4lessIdEEEE10hipError_tPvRmT0_T1_T2_T3_T4_T5_mmT6_P12ihipStream_tbEUlT_E_NS1_11comp_targetILNS1_3genE9ELNS1_11target_archE1100ELNS1_3gpuE3ELNS1_3repE0EEENS1_30default_config_static_selectorELNS0_4arch9wavefront6targetE1EEEvSP_ ; -- Begin function _ZN7rocprim17ROCPRIM_400000_NS6detail17trampoline_kernelINS0_14default_configENS1_21merge_config_selectorIdNS0_10empty_typeEEEZNS1_10merge_implIS3_N6thrust23THRUST_200600_302600_NS6detail15normal_iteratorINS9_10device_ptrIKdEEEESF_NSB_INSC_IdEEEEPS5_SI_SI_NS9_4lessIdEEEE10hipError_tPvRmT0_T1_T2_T3_T4_T5_mmT6_P12ihipStream_tbEUlT_E_NS1_11comp_targetILNS1_3genE9ELNS1_11target_archE1100ELNS1_3gpuE3ELNS1_3repE0EEENS1_30default_config_static_selectorELNS0_4arch9wavefront6targetE1EEEvSP_
	.globl	_ZN7rocprim17ROCPRIM_400000_NS6detail17trampoline_kernelINS0_14default_configENS1_21merge_config_selectorIdNS0_10empty_typeEEEZNS1_10merge_implIS3_N6thrust23THRUST_200600_302600_NS6detail15normal_iteratorINS9_10device_ptrIKdEEEESF_NSB_INSC_IdEEEEPS5_SI_SI_NS9_4lessIdEEEE10hipError_tPvRmT0_T1_T2_T3_T4_T5_mmT6_P12ihipStream_tbEUlT_E_NS1_11comp_targetILNS1_3genE9ELNS1_11target_archE1100ELNS1_3gpuE3ELNS1_3repE0EEENS1_30default_config_static_selectorELNS0_4arch9wavefront6targetE1EEEvSP_
	.p2align	8
	.type	_ZN7rocprim17ROCPRIM_400000_NS6detail17trampoline_kernelINS0_14default_configENS1_21merge_config_selectorIdNS0_10empty_typeEEEZNS1_10merge_implIS3_N6thrust23THRUST_200600_302600_NS6detail15normal_iteratorINS9_10device_ptrIKdEEEESF_NSB_INSC_IdEEEEPS5_SI_SI_NS9_4lessIdEEEE10hipError_tPvRmT0_T1_T2_T3_T4_T5_mmT6_P12ihipStream_tbEUlT_E_NS1_11comp_targetILNS1_3genE9ELNS1_11target_archE1100ELNS1_3gpuE3ELNS1_3repE0EEENS1_30default_config_static_selectorELNS0_4arch9wavefront6targetE1EEEvSP_,@function
_ZN7rocprim17ROCPRIM_400000_NS6detail17trampoline_kernelINS0_14default_configENS1_21merge_config_selectorIdNS0_10empty_typeEEEZNS1_10merge_implIS3_N6thrust23THRUST_200600_302600_NS6detail15normal_iteratorINS9_10device_ptrIKdEEEESF_NSB_INSC_IdEEEEPS5_SI_SI_NS9_4lessIdEEEE10hipError_tPvRmT0_T1_T2_T3_T4_T5_mmT6_P12ihipStream_tbEUlT_E_NS1_11comp_targetILNS1_3genE9ELNS1_11target_archE1100ELNS1_3gpuE3ELNS1_3repE0EEENS1_30default_config_static_selectorELNS0_4arch9wavefront6targetE1EEEvSP_: ; @_ZN7rocprim17ROCPRIM_400000_NS6detail17trampoline_kernelINS0_14default_configENS1_21merge_config_selectorIdNS0_10empty_typeEEEZNS1_10merge_implIS3_N6thrust23THRUST_200600_302600_NS6detail15normal_iteratorINS9_10device_ptrIKdEEEESF_NSB_INSC_IdEEEEPS5_SI_SI_NS9_4lessIdEEEE10hipError_tPvRmT0_T1_T2_T3_T4_T5_mmT6_P12ihipStream_tbEUlT_E_NS1_11comp_targetILNS1_3genE9ELNS1_11target_archE1100ELNS1_3gpuE3ELNS1_3repE0EEENS1_30default_config_static_selectorELNS0_4arch9wavefront6targetE1EEEvSP_
; %bb.0:
	.section	.rodata,"a",@progbits
	.p2align	6, 0x0
	.amdhsa_kernel _ZN7rocprim17ROCPRIM_400000_NS6detail17trampoline_kernelINS0_14default_configENS1_21merge_config_selectorIdNS0_10empty_typeEEEZNS1_10merge_implIS3_N6thrust23THRUST_200600_302600_NS6detail15normal_iteratorINS9_10device_ptrIKdEEEESF_NSB_INSC_IdEEEEPS5_SI_SI_NS9_4lessIdEEEE10hipError_tPvRmT0_T1_T2_T3_T4_T5_mmT6_P12ihipStream_tbEUlT_E_NS1_11comp_targetILNS1_3genE9ELNS1_11target_archE1100ELNS1_3gpuE3ELNS1_3repE0EEENS1_30default_config_static_selectorELNS0_4arch9wavefront6targetE1EEEvSP_
		.amdhsa_group_segment_fixed_size 0
		.amdhsa_private_segment_fixed_size 0
		.amdhsa_kernarg_size 48
		.amdhsa_user_sgpr_count 6
		.amdhsa_user_sgpr_private_segment_buffer 1
		.amdhsa_user_sgpr_dispatch_ptr 0
		.amdhsa_user_sgpr_queue_ptr 0
		.amdhsa_user_sgpr_kernarg_segment_ptr 1
		.amdhsa_user_sgpr_dispatch_id 0
		.amdhsa_user_sgpr_flat_scratch_init 0
		.amdhsa_user_sgpr_kernarg_preload_length 0
		.amdhsa_user_sgpr_kernarg_preload_offset 0
		.amdhsa_user_sgpr_private_segment_size 0
		.amdhsa_uses_dynamic_stack 0
		.amdhsa_system_sgpr_private_segment_wavefront_offset 0
		.amdhsa_system_sgpr_workgroup_id_x 1
		.amdhsa_system_sgpr_workgroup_id_y 0
		.amdhsa_system_sgpr_workgroup_id_z 0
		.amdhsa_system_sgpr_workgroup_info 0
		.amdhsa_system_vgpr_workitem_id 0
		.amdhsa_next_free_vgpr 1
		.amdhsa_next_free_sgpr 0
		.amdhsa_accum_offset 4
		.amdhsa_reserve_vcc 0
		.amdhsa_reserve_flat_scratch 0
		.amdhsa_float_round_mode_32 0
		.amdhsa_float_round_mode_16_64 0
		.amdhsa_float_denorm_mode_32 3
		.amdhsa_float_denorm_mode_16_64 3
		.amdhsa_dx10_clamp 1
		.amdhsa_ieee_mode 1
		.amdhsa_fp16_overflow 0
		.amdhsa_tg_split 0
		.amdhsa_exception_fp_ieee_invalid_op 0
		.amdhsa_exception_fp_denorm_src 0
		.amdhsa_exception_fp_ieee_div_zero 0
		.amdhsa_exception_fp_ieee_overflow 0
		.amdhsa_exception_fp_ieee_underflow 0
		.amdhsa_exception_fp_ieee_inexact 0
		.amdhsa_exception_int_div_zero 0
	.end_amdhsa_kernel
	.section	.text._ZN7rocprim17ROCPRIM_400000_NS6detail17trampoline_kernelINS0_14default_configENS1_21merge_config_selectorIdNS0_10empty_typeEEEZNS1_10merge_implIS3_N6thrust23THRUST_200600_302600_NS6detail15normal_iteratorINS9_10device_ptrIKdEEEESF_NSB_INSC_IdEEEEPS5_SI_SI_NS9_4lessIdEEEE10hipError_tPvRmT0_T1_T2_T3_T4_T5_mmT6_P12ihipStream_tbEUlT_E_NS1_11comp_targetILNS1_3genE9ELNS1_11target_archE1100ELNS1_3gpuE3ELNS1_3repE0EEENS1_30default_config_static_selectorELNS0_4arch9wavefront6targetE1EEEvSP_,"axG",@progbits,_ZN7rocprim17ROCPRIM_400000_NS6detail17trampoline_kernelINS0_14default_configENS1_21merge_config_selectorIdNS0_10empty_typeEEEZNS1_10merge_implIS3_N6thrust23THRUST_200600_302600_NS6detail15normal_iteratorINS9_10device_ptrIKdEEEESF_NSB_INSC_IdEEEEPS5_SI_SI_NS9_4lessIdEEEE10hipError_tPvRmT0_T1_T2_T3_T4_T5_mmT6_P12ihipStream_tbEUlT_E_NS1_11comp_targetILNS1_3genE9ELNS1_11target_archE1100ELNS1_3gpuE3ELNS1_3repE0EEENS1_30default_config_static_selectorELNS0_4arch9wavefront6targetE1EEEvSP_,comdat
.Lfunc_end8:
	.size	_ZN7rocprim17ROCPRIM_400000_NS6detail17trampoline_kernelINS0_14default_configENS1_21merge_config_selectorIdNS0_10empty_typeEEEZNS1_10merge_implIS3_N6thrust23THRUST_200600_302600_NS6detail15normal_iteratorINS9_10device_ptrIKdEEEESF_NSB_INSC_IdEEEEPS5_SI_SI_NS9_4lessIdEEEE10hipError_tPvRmT0_T1_T2_T3_T4_T5_mmT6_P12ihipStream_tbEUlT_E_NS1_11comp_targetILNS1_3genE9ELNS1_11target_archE1100ELNS1_3gpuE3ELNS1_3repE0EEENS1_30default_config_static_selectorELNS0_4arch9wavefront6targetE1EEEvSP_, .Lfunc_end8-_ZN7rocprim17ROCPRIM_400000_NS6detail17trampoline_kernelINS0_14default_configENS1_21merge_config_selectorIdNS0_10empty_typeEEEZNS1_10merge_implIS3_N6thrust23THRUST_200600_302600_NS6detail15normal_iteratorINS9_10device_ptrIKdEEEESF_NSB_INSC_IdEEEEPS5_SI_SI_NS9_4lessIdEEEE10hipError_tPvRmT0_T1_T2_T3_T4_T5_mmT6_P12ihipStream_tbEUlT_E_NS1_11comp_targetILNS1_3genE9ELNS1_11target_archE1100ELNS1_3gpuE3ELNS1_3repE0EEENS1_30default_config_static_selectorELNS0_4arch9wavefront6targetE1EEEvSP_
                                        ; -- End function
	.section	.AMDGPU.csdata,"",@progbits
; Kernel info:
; codeLenInByte = 0
; NumSgprs: 4
; NumVgprs: 0
; NumAgprs: 0
; TotalNumVgprs: 0
; ScratchSize: 0
; MemoryBound: 0
; FloatMode: 240
; IeeeMode: 1
; LDSByteSize: 0 bytes/workgroup (compile time only)
; SGPRBlocks: 0
; VGPRBlocks: 0
; NumSGPRsForWavesPerEU: 4
; NumVGPRsForWavesPerEU: 1
; AccumOffset: 4
; Occupancy: 8
; WaveLimiterHint : 0
; COMPUTE_PGM_RSRC2:SCRATCH_EN: 0
; COMPUTE_PGM_RSRC2:USER_SGPR: 6
; COMPUTE_PGM_RSRC2:TRAP_HANDLER: 0
; COMPUTE_PGM_RSRC2:TGID_X_EN: 1
; COMPUTE_PGM_RSRC2:TGID_Y_EN: 0
; COMPUTE_PGM_RSRC2:TGID_Z_EN: 0
; COMPUTE_PGM_RSRC2:TIDIG_COMP_CNT: 0
; COMPUTE_PGM_RSRC3_GFX90A:ACCUM_OFFSET: 0
; COMPUTE_PGM_RSRC3_GFX90A:TG_SPLIT: 0
	.section	.text._ZN7rocprim17ROCPRIM_400000_NS6detail17trampoline_kernelINS0_14default_configENS1_21merge_config_selectorIdNS0_10empty_typeEEEZNS1_10merge_implIS3_N6thrust23THRUST_200600_302600_NS6detail15normal_iteratorINS9_10device_ptrIKdEEEESF_NSB_INSC_IdEEEEPS5_SI_SI_NS9_4lessIdEEEE10hipError_tPvRmT0_T1_T2_T3_T4_T5_mmT6_P12ihipStream_tbEUlT_E_NS1_11comp_targetILNS1_3genE8ELNS1_11target_archE1030ELNS1_3gpuE2ELNS1_3repE0EEENS1_30default_config_static_selectorELNS0_4arch9wavefront6targetE1EEEvSP_,"axG",@progbits,_ZN7rocprim17ROCPRIM_400000_NS6detail17trampoline_kernelINS0_14default_configENS1_21merge_config_selectorIdNS0_10empty_typeEEEZNS1_10merge_implIS3_N6thrust23THRUST_200600_302600_NS6detail15normal_iteratorINS9_10device_ptrIKdEEEESF_NSB_INSC_IdEEEEPS5_SI_SI_NS9_4lessIdEEEE10hipError_tPvRmT0_T1_T2_T3_T4_T5_mmT6_P12ihipStream_tbEUlT_E_NS1_11comp_targetILNS1_3genE8ELNS1_11target_archE1030ELNS1_3gpuE2ELNS1_3repE0EEENS1_30default_config_static_selectorELNS0_4arch9wavefront6targetE1EEEvSP_,comdat
	.protected	_ZN7rocprim17ROCPRIM_400000_NS6detail17trampoline_kernelINS0_14default_configENS1_21merge_config_selectorIdNS0_10empty_typeEEEZNS1_10merge_implIS3_N6thrust23THRUST_200600_302600_NS6detail15normal_iteratorINS9_10device_ptrIKdEEEESF_NSB_INSC_IdEEEEPS5_SI_SI_NS9_4lessIdEEEE10hipError_tPvRmT0_T1_T2_T3_T4_T5_mmT6_P12ihipStream_tbEUlT_E_NS1_11comp_targetILNS1_3genE8ELNS1_11target_archE1030ELNS1_3gpuE2ELNS1_3repE0EEENS1_30default_config_static_selectorELNS0_4arch9wavefront6targetE1EEEvSP_ ; -- Begin function _ZN7rocprim17ROCPRIM_400000_NS6detail17trampoline_kernelINS0_14default_configENS1_21merge_config_selectorIdNS0_10empty_typeEEEZNS1_10merge_implIS3_N6thrust23THRUST_200600_302600_NS6detail15normal_iteratorINS9_10device_ptrIKdEEEESF_NSB_INSC_IdEEEEPS5_SI_SI_NS9_4lessIdEEEE10hipError_tPvRmT0_T1_T2_T3_T4_T5_mmT6_P12ihipStream_tbEUlT_E_NS1_11comp_targetILNS1_3genE8ELNS1_11target_archE1030ELNS1_3gpuE2ELNS1_3repE0EEENS1_30default_config_static_selectorELNS0_4arch9wavefront6targetE1EEEvSP_
	.globl	_ZN7rocprim17ROCPRIM_400000_NS6detail17trampoline_kernelINS0_14default_configENS1_21merge_config_selectorIdNS0_10empty_typeEEEZNS1_10merge_implIS3_N6thrust23THRUST_200600_302600_NS6detail15normal_iteratorINS9_10device_ptrIKdEEEESF_NSB_INSC_IdEEEEPS5_SI_SI_NS9_4lessIdEEEE10hipError_tPvRmT0_T1_T2_T3_T4_T5_mmT6_P12ihipStream_tbEUlT_E_NS1_11comp_targetILNS1_3genE8ELNS1_11target_archE1030ELNS1_3gpuE2ELNS1_3repE0EEENS1_30default_config_static_selectorELNS0_4arch9wavefront6targetE1EEEvSP_
	.p2align	8
	.type	_ZN7rocprim17ROCPRIM_400000_NS6detail17trampoline_kernelINS0_14default_configENS1_21merge_config_selectorIdNS0_10empty_typeEEEZNS1_10merge_implIS3_N6thrust23THRUST_200600_302600_NS6detail15normal_iteratorINS9_10device_ptrIKdEEEESF_NSB_INSC_IdEEEEPS5_SI_SI_NS9_4lessIdEEEE10hipError_tPvRmT0_T1_T2_T3_T4_T5_mmT6_P12ihipStream_tbEUlT_E_NS1_11comp_targetILNS1_3genE8ELNS1_11target_archE1030ELNS1_3gpuE2ELNS1_3repE0EEENS1_30default_config_static_selectorELNS0_4arch9wavefront6targetE1EEEvSP_,@function
_ZN7rocprim17ROCPRIM_400000_NS6detail17trampoline_kernelINS0_14default_configENS1_21merge_config_selectorIdNS0_10empty_typeEEEZNS1_10merge_implIS3_N6thrust23THRUST_200600_302600_NS6detail15normal_iteratorINS9_10device_ptrIKdEEEESF_NSB_INSC_IdEEEEPS5_SI_SI_NS9_4lessIdEEEE10hipError_tPvRmT0_T1_T2_T3_T4_T5_mmT6_P12ihipStream_tbEUlT_E_NS1_11comp_targetILNS1_3genE8ELNS1_11target_archE1030ELNS1_3gpuE2ELNS1_3repE0EEENS1_30default_config_static_selectorELNS0_4arch9wavefront6targetE1EEEvSP_: ; @_ZN7rocprim17ROCPRIM_400000_NS6detail17trampoline_kernelINS0_14default_configENS1_21merge_config_selectorIdNS0_10empty_typeEEEZNS1_10merge_implIS3_N6thrust23THRUST_200600_302600_NS6detail15normal_iteratorINS9_10device_ptrIKdEEEESF_NSB_INSC_IdEEEEPS5_SI_SI_NS9_4lessIdEEEE10hipError_tPvRmT0_T1_T2_T3_T4_T5_mmT6_P12ihipStream_tbEUlT_E_NS1_11comp_targetILNS1_3genE8ELNS1_11target_archE1030ELNS1_3gpuE2ELNS1_3repE0EEENS1_30default_config_static_selectorELNS0_4arch9wavefront6targetE1EEEvSP_
; %bb.0:
	.section	.rodata,"a",@progbits
	.p2align	6, 0x0
	.amdhsa_kernel _ZN7rocprim17ROCPRIM_400000_NS6detail17trampoline_kernelINS0_14default_configENS1_21merge_config_selectorIdNS0_10empty_typeEEEZNS1_10merge_implIS3_N6thrust23THRUST_200600_302600_NS6detail15normal_iteratorINS9_10device_ptrIKdEEEESF_NSB_INSC_IdEEEEPS5_SI_SI_NS9_4lessIdEEEE10hipError_tPvRmT0_T1_T2_T3_T4_T5_mmT6_P12ihipStream_tbEUlT_E_NS1_11comp_targetILNS1_3genE8ELNS1_11target_archE1030ELNS1_3gpuE2ELNS1_3repE0EEENS1_30default_config_static_selectorELNS0_4arch9wavefront6targetE1EEEvSP_
		.amdhsa_group_segment_fixed_size 0
		.amdhsa_private_segment_fixed_size 0
		.amdhsa_kernarg_size 48
		.amdhsa_user_sgpr_count 6
		.amdhsa_user_sgpr_private_segment_buffer 1
		.amdhsa_user_sgpr_dispatch_ptr 0
		.amdhsa_user_sgpr_queue_ptr 0
		.amdhsa_user_sgpr_kernarg_segment_ptr 1
		.amdhsa_user_sgpr_dispatch_id 0
		.amdhsa_user_sgpr_flat_scratch_init 0
		.amdhsa_user_sgpr_kernarg_preload_length 0
		.amdhsa_user_sgpr_kernarg_preload_offset 0
		.amdhsa_user_sgpr_private_segment_size 0
		.amdhsa_uses_dynamic_stack 0
		.amdhsa_system_sgpr_private_segment_wavefront_offset 0
		.amdhsa_system_sgpr_workgroup_id_x 1
		.amdhsa_system_sgpr_workgroup_id_y 0
		.amdhsa_system_sgpr_workgroup_id_z 0
		.amdhsa_system_sgpr_workgroup_info 0
		.amdhsa_system_vgpr_workitem_id 0
		.amdhsa_next_free_vgpr 1
		.amdhsa_next_free_sgpr 0
		.amdhsa_accum_offset 4
		.amdhsa_reserve_vcc 0
		.amdhsa_reserve_flat_scratch 0
		.amdhsa_float_round_mode_32 0
		.amdhsa_float_round_mode_16_64 0
		.amdhsa_float_denorm_mode_32 3
		.amdhsa_float_denorm_mode_16_64 3
		.amdhsa_dx10_clamp 1
		.amdhsa_ieee_mode 1
		.amdhsa_fp16_overflow 0
		.amdhsa_tg_split 0
		.amdhsa_exception_fp_ieee_invalid_op 0
		.amdhsa_exception_fp_denorm_src 0
		.amdhsa_exception_fp_ieee_div_zero 0
		.amdhsa_exception_fp_ieee_overflow 0
		.amdhsa_exception_fp_ieee_underflow 0
		.amdhsa_exception_fp_ieee_inexact 0
		.amdhsa_exception_int_div_zero 0
	.end_amdhsa_kernel
	.section	.text._ZN7rocprim17ROCPRIM_400000_NS6detail17trampoline_kernelINS0_14default_configENS1_21merge_config_selectorIdNS0_10empty_typeEEEZNS1_10merge_implIS3_N6thrust23THRUST_200600_302600_NS6detail15normal_iteratorINS9_10device_ptrIKdEEEESF_NSB_INSC_IdEEEEPS5_SI_SI_NS9_4lessIdEEEE10hipError_tPvRmT0_T1_T2_T3_T4_T5_mmT6_P12ihipStream_tbEUlT_E_NS1_11comp_targetILNS1_3genE8ELNS1_11target_archE1030ELNS1_3gpuE2ELNS1_3repE0EEENS1_30default_config_static_selectorELNS0_4arch9wavefront6targetE1EEEvSP_,"axG",@progbits,_ZN7rocprim17ROCPRIM_400000_NS6detail17trampoline_kernelINS0_14default_configENS1_21merge_config_selectorIdNS0_10empty_typeEEEZNS1_10merge_implIS3_N6thrust23THRUST_200600_302600_NS6detail15normal_iteratorINS9_10device_ptrIKdEEEESF_NSB_INSC_IdEEEEPS5_SI_SI_NS9_4lessIdEEEE10hipError_tPvRmT0_T1_T2_T3_T4_T5_mmT6_P12ihipStream_tbEUlT_E_NS1_11comp_targetILNS1_3genE8ELNS1_11target_archE1030ELNS1_3gpuE2ELNS1_3repE0EEENS1_30default_config_static_selectorELNS0_4arch9wavefront6targetE1EEEvSP_,comdat
.Lfunc_end9:
	.size	_ZN7rocprim17ROCPRIM_400000_NS6detail17trampoline_kernelINS0_14default_configENS1_21merge_config_selectorIdNS0_10empty_typeEEEZNS1_10merge_implIS3_N6thrust23THRUST_200600_302600_NS6detail15normal_iteratorINS9_10device_ptrIKdEEEESF_NSB_INSC_IdEEEEPS5_SI_SI_NS9_4lessIdEEEE10hipError_tPvRmT0_T1_T2_T3_T4_T5_mmT6_P12ihipStream_tbEUlT_E_NS1_11comp_targetILNS1_3genE8ELNS1_11target_archE1030ELNS1_3gpuE2ELNS1_3repE0EEENS1_30default_config_static_selectorELNS0_4arch9wavefront6targetE1EEEvSP_, .Lfunc_end9-_ZN7rocprim17ROCPRIM_400000_NS6detail17trampoline_kernelINS0_14default_configENS1_21merge_config_selectorIdNS0_10empty_typeEEEZNS1_10merge_implIS3_N6thrust23THRUST_200600_302600_NS6detail15normal_iteratorINS9_10device_ptrIKdEEEESF_NSB_INSC_IdEEEEPS5_SI_SI_NS9_4lessIdEEEE10hipError_tPvRmT0_T1_T2_T3_T4_T5_mmT6_P12ihipStream_tbEUlT_E_NS1_11comp_targetILNS1_3genE8ELNS1_11target_archE1030ELNS1_3gpuE2ELNS1_3repE0EEENS1_30default_config_static_selectorELNS0_4arch9wavefront6targetE1EEEvSP_
                                        ; -- End function
	.section	.AMDGPU.csdata,"",@progbits
; Kernel info:
; codeLenInByte = 0
; NumSgprs: 4
; NumVgprs: 0
; NumAgprs: 0
; TotalNumVgprs: 0
; ScratchSize: 0
; MemoryBound: 0
; FloatMode: 240
; IeeeMode: 1
; LDSByteSize: 0 bytes/workgroup (compile time only)
; SGPRBlocks: 0
; VGPRBlocks: 0
; NumSGPRsForWavesPerEU: 4
; NumVGPRsForWavesPerEU: 1
; AccumOffset: 4
; Occupancy: 8
; WaveLimiterHint : 0
; COMPUTE_PGM_RSRC2:SCRATCH_EN: 0
; COMPUTE_PGM_RSRC2:USER_SGPR: 6
; COMPUTE_PGM_RSRC2:TRAP_HANDLER: 0
; COMPUTE_PGM_RSRC2:TGID_X_EN: 1
; COMPUTE_PGM_RSRC2:TGID_Y_EN: 0
; COMPUTE_PGM_RSRC2:TGID_Z_EN: 0
; COMPUTE_PGM_RSRC2:TIDIG_COMP_CNT: 0
; COMPUTE_PGM_RSRC3_GFX90A:ACCUM_OFFSET: 0
; COMPUTE_PGM_RSRC3_GFX90A:TG_SPLIT: 0
	.section	.text._ZN7rocprim17ROCPRIM_400000_NS6detail17trampoline_kernelINS0_14default_configENS1_21merge_config_selectorIdNS0_10empty_typeEEEZNS1_10merge_implIS3_N6thrust23THRUST_200600_302600_NS6detail15normal_iteratorINS9_10device_ptrIKdEEEESF_NSB_INSC_IdEEEEPS5_SI_SI_NS9_4lessIdEEEE10hipError_tPvRmT0_T1_T2_T3_T4_T5_mmT6_P12ihipStream_tbEUlT_E0_NS1_11comp_targetILNS1_3genE0ELNS1_11target_archE4294967295ELNS1_3gpuE0ELNS1_3repE0EEENS1_30default_config_static_selectorELNS0_4arch9wavefront6targetE1EEEvSP_,"axG",@progbits,_ZN7rocprim17ROCPRIM_400000_NS6detail17trampoline_kernelINS0_14default_configENS1_21merge_config_selectorIdNS0_10empty_typeEEEZNS1_10merge_implIS3_N6thrust23THRUST_200600_302600_NS6detail15normal_iteratorINS9_10device_ptrIKdEEEESF_NSB_INSC_IdEEEEPS5_SI_SI_NS9_4lessIdEEEE10hipError_tPvRmT0_T1_T2_T3_T4_T5_mmT6_P12ihipStream_tbEUlT_E0_NS1_11comp_targetILNS1_3genE0ELNS1_11target_archE4294967295ELNS1_3gpuE0ELNS1_3repE0EEENS1_30default_config_static_selectorELNS0_4arch9wavefront6targetE1EEEvSP_,comdat
	.protected	_ZN7rocprim17ROCPRIM_400000_NS6detail17trampoline_kernelINS0_14default_configENS1_21merge_config_selectorIdNS0_10empty_typeEEEZNS1_10merge_implIS3_N6thrust23THRUST_200600_302600_NS6detail15normal_iteratorINS9_10device_ptrIKdEEEESF_NSB_INSC_IdEEEEPS5_SI_SI_NS9_4lessIdEEEE10hipError_tPvRmT0_T1_T2_T3_T4_T5_mmT6_P12ihipStream_tbEUlT_E0_NS1_11comp_targetILNS1_3genE0ELNS1_11target_archE4294967295ELNS1_3gpuE0ELNS1_3repE0EEENS1_30default_config_static_selectorELNS0_4arch9wavefront6targetE1EEEvSP_ ; -- Begin function _ZN7rocprim17ROCPRIM_400000_NS6detail17trampoline_kernelINS0_14default_configENS1_21merge_config_selectorIdNS0_10empty_typeEEEZNS1_10merge_implIS3_N6thrust23THRUST_200600_302600_NS6detail15normal_iteratorINS9_10device_ptrIKdEEEESF_NSB_INSC_IdEEEEPS5_SI_SI_NS9_4lessIdEEEE10hipError_tPvRmT0_T1_T2_T3_T4_T5_mmT6_P12ihipStream_tbEUlT_E0_NS1_11comp_targetILNS1_3genE0ELNS1_11target_archE4294967295ELNS1_3gpuE0ELNS1_3repE0EEENS1_30default_config_static_selectorELNS0_4arch9wavefront6targetE1EEEvSP_
	.globl	_ZN7rocprim17ROCPRIM_400000_NS6detail17trampoline_kernelINS0_14default_configENS1_21merge_config_selectorIdNS0_10empty_typeEEEZNS1_10merge_implIS3_N6thrust23THRUST_200600_302600_NS6detail15normal_iteratorINS9_10device_ptrIKdEEEESF_NSB_INSC_IdEEEEPS5_SI_SI_NS9_4lessIdEEEE10hipError_tPvRmT0_T1_T2_T3_T4_T5_mmT6_P12ihipStream_tbEUlT_E0_NS1_11comp_targetILNS1_3genE0ELNS1_11target_archE4294967295ELNS1_3gpuE0ELNS1_3repE0EEENS1_30default_config_static_selectorELNS0_4arch9wavefront6targetE1EEEvSP_
	.p2align	8
	.type	_ZN7rocprim17ROCPRIM_400000_NS6detail17trampoline_kernelINS0_14default_configENS1_21merge_config_selectorIdNS0_10empty_typeEEEZNS1_10merge_implIS3_N6thrust23THRUST_200600_302600_NS6detail15normal_iteratorINS9_10device_ptrIKdEEEESF_NSB_INSC_IdEEEEPS5_SI_SI_NS9_4lessIdEEEE10hipError_tPvRmT0_T1_T2_T3_T4_T5_mmT6_P12ihipStream_tbEUlT_E0_NS1_11comp_targetILNS1_3genE0ELNS1_11target_archE4294967295ELNS1_3gpuE0ELNS1_3repE0EEENS1_30default_config_static_selectorELNS0_4arch9wavefront6targetE1EEEvSP_,@function
_ZN7rocprim17ROCPRIM_400000_NS6detail17trampoline_kernelINS0_14default_configENS1_21merge_config_selectorIdNS0_10empty_typeEEEZNS1_10merge_implIS3_N6thrust23THRUST_200600_302600_NS6detail15normal_iteratorINS9_10device_ptrIKdEEEESF_NSB_INSC_IdEEEEPS5_SI_SI_NS9_4lessIdEEEE10hipError_tPvRmT0_T1_T2_T3_T4_T5_mmT6_P12ihipStream_tbEUlT_E0_NS1_11comp_targetILNS1_3genE0ELNS1_11target_archE4294967295ELNS1_3gpuE0ELNS1_3repE0EEENS1_30default_config_static_selectorELNS0_4arch9wavefront6targetE1EEEvSP_: ; @_ZN7rocprim17ROCPRIM_400000_NS6detail17trampoline_kernelINS0_14default_configENS1_21merge_config_selectorIdNS0_10empty_typeEEEZNS1_10merge_implIS3_N6thrust23THRUST_200600_302600_NS6detail15normal_iteratorINS9_10device_ptrIKdEEEESF_NSB_INSC_IdEEEEPS5_SI_SI_NS9_4lessIdEEEE10hipError_tPvRmT0_T1_T2_T3_T4_T5_mmT6_P12ihipStream_tbEUlT_E0_NS1_11comp_targetILNS1_3genE0ELNS1_11target_archE4294967295ELNS1_3gpuE0ELNS1_3repE0EEENS1_30default_config_static_selectorELNS0_4arch9wavefront6targetE1EEEvSP_
; %bb.0:
	.section	.rodata,"a",@progbits
	.p2align	6, 0x0
	.amdhsa_kernel _ZN7rocprim17ROCPRIM_400000_NS6detail17trampoline_kernelINS0_14default_configENS1_21merge_config_selectorIdNS0_10empty_typeEEEZNS1_10merge_implIS3_N6thrust23THRUST_200600_302600_NS6detail15normal_iteratorINS9_10device_ptrIKdEEEESF_NSB_INSC_IdEEEEPS5_SI_SI_NS9_4lessIdEEEE10hipError_tPvRmT0_T1_T2_T3_T4_T5_mmT6_P12ihipStream_tbEUlT_E0_NS1_11comp_targetILNS1_3genE0ELNS1_11target_archE4294967295ELNS1_3gpuE0ELNS1_3repE0EEENS1_30default_config_static_selectorELNS0_4arch9wavefront6targetE1EEEvSP_
		.amdhsa_group_segment_fixed_size 0
		.amdhsa_private_segment_fixed_size 0
		.amdhsa_kernarg_size 88
		.amdhsa_user_sgpr_count 6
		.amdhsa_user_sgpr_private_segment_buffer 1
		.amdhsa_user_sgpr_dispatch_ptr 0
		.amdhsa_user_sgpr_queue_ptr 0
		.amdhsa_user_sgpr_kernarg_segment_ptr 1
		.amdhsa_user_sgpr_dispatch_id 0
		.amdhsa_user_sgpr_flat_scratch_init 0
		.amdhsa_user_sgpr_kernarg_preload_length 0
		.amdhsa_user_sgpr_kernarg_preload_offset 0
		.amdhsa_user_sgpr_private_segment_size 0
		.amdhsa_uses_dynamic_stack 0
		.amdhsa_system_sgpr_private_segment_wavefront_offset 0
		.amdhsa_system_sgpr_workgroup_id_x 1
		.amdhsa_system_sgpr_workgroup_id_y 0
		.amdhsa_system_sgpr_workgroup_id_z 0
		.amdhsa_system_sgpr_workgroup_info 0
		.amdhsa_system_vgpr_workitem_id 0
		.amdhsa_next_free_vgpr 1
		.amdhsa_next_free_sgpr 0
		.amdhsa_accum_offset 4
		.amdhsa_reserve_vcc 0
		.amdhsa_reserve_flat_scratch 0
		.amdhsa_float_round_mode_32 0
		.amdhsa_float_round_mode_16_64 0
		.amdhsa_float_denorm_mode_32 3
		.amdhsa_float_denorm_mode_16_64 3
		.amdhsa_dx10_clamp 1
		.amdhsa_ieee_mode 1
		.amdhsa_fp16_overflow 0
		.amdhsa_tg_split 0
		.amdhsa_exception_fp_ieee_invalid_op 0
		.amdhsa_exception_fp_denorm_src 0
		.amdhsa_exception_fp_ieee_div_zero 0
		.amdhsa_exception_fp_ieee_overflow 0
		.amdhsa_exception_fp_ieee_underflow 0
		.amdhsa_exception_fp_ieee_inexact 0
		.amdhsa_exception_int_div_zero 0
	.end_amdhsa_kernel
	.section	.text._ZN7rocprim17ROCPRIM_400000_NS6detail17trampoline_kernelINS0_14default_configENS1_21merge_config_selectorIdNS0_10empty_typeEEEZNS1_10merge_implIS3_N6thrust23THRUST_200600_302600_NS6detail15normal_iteratorINS9_10device_ptrIKdEEEESF_NSB_INSC_IdEEEEPS5_SI_SI_NS9_4lessIdEEEE10hipError_tPvRmT0_T1_T2_T3_T4_T5_mmT6_P12ihipStream_tbEUlT_E0_NS1_11comp_targetILNS1_3genE0ELNS1_11target_archE4294967295ELNS1_3gpuE0ELNS1_3repE0EEENS1_30default_config_static_selectorELNS0_4arch9wavefront6targetE1EEEvSP_,"axG",@progbits,_ZN7rocprim17ROCPRIM_400000_NS6detail17trampoline_kernelINS0_14default_configENS1_21merge_config_selectorIdNS0_10empty_typeEEEZNS1_10merge_implIS3_N6thrust23THRUST_200600_302600_NS6detail15normal_iteratorINS9_10device_ptrIKdEEEESF_NSB_INSC_IdEEEEPS5_SI_SI_NS9_4lessIdEEEE10hipError_tPvRmT0_T1_T2_T3_T4_T5_mmT6_P12ihipStream_tbEUlT_E0_NS1_11comp_targetILNS1_3genE0ELNS1_11target_archE4294967295ELNS1_3gpuE0ELNS1_3repE0EEENS1_30default_config_static_selectorELNS0_4arch9wavefront6targetE1EEEvSP_,comdat
.Lfunc_end10:
	.size	_ZN7rocprim17ROCPRIM_400000_NS6detail17trampoline_kernelINS0_14default_configENS1_21merge_config_selectorIdNS0_10empty_typeEEEZNS1_10merge_implIS3_N6thrust23THRUST_200600_302600_NS6detail15normal_iteratorINS9_10device_ptrIKdEEEESF_NSB_INSC_IdEEEEPS5_SI_SI_NS9_4lessIdEEEE10hipError_tPvRmT0_T1_T2_T3_T4_T5_mmT6_P12ihipStream_tbEUlT_E0_NS1_11comp_targetILNS1_3genE0ELNS1_11target_archE4294967295ELNS1_3gpuE0ELNS1_3repE0EEENS1_30default_config_static_selectorELNS0_4arch9wavefront6targetE1EEEvSP_, .Lfunc_end10-_ZN7rocprim17ROCPRIM_400000_NS6detail17trampoline_kernelINS0_14default_configENS1_21merge_config_selectorIdNS0_10empty_typeEEEZNS1_10merge_implIS3_N6thrust23THRUST_200600_302600_NS6detail15normal_iteratorINS9_10device_ptrIKdEEEESF_NSB_INSC_IdEEEEPS5_SI_SI_NS9_4lessIdEEEE10hipError_tPvRmT0_T1_T2_T3_T4_T5_mmT6_P12ihipStream_tbEUlT_E0_NS1_11comp_targetILNS1_3genE0ELNS1_11target_archE4294967295ELNS1_3gpuE0ELNS1_3repE0EEENS1_30default_config_static_selectorELNS0_4arch9wavefront6targetE1EEEvSP_
                                        ; -- End function
	.section	.AMDGPU.csdata,"",@progbits
; Kernel info:
; codeLenInByte = 0
; NumSgprs: 4
; NumVgprs: 0
; NumAgprs: 0
; TotalNumVgprs: 0
; ScratchSize: 0
; MemoryBound: 0
; FloatMode: 240
; IeeeMode: 1
; LDSByteSize: 0 bytes/workgroup (compile time only)
; SGPRBlocks: 0
; VGPRBlocks: 0
; NumSGPRsForWavesPerEU: 4
; NumVGPRsForWavesPerEU: 1
; AccumOffset: 4
; Occupancy: 8
; WaveLimiterHint : 0
; COMPUTE_PGM_RSRC2:SCRATCH_EN: 0
; COMPUTE_PGM_RSRC2:USER_SGPR: 6
; COMPUTE_PGM_RSRC2:TRAP_HANDLER: 0
; COMPUTE_PGM_RSRC2:TGID_X_EN: 1
; COMPUTE_PGM_RSRC2:TGID_Y_EN: 0
; COMPUTE_PGM_RSRC2:TGID_Z_EN: 0
; COMPUTE_PGM_RSRC2:TIDIG_COMP_CNT: 0
; COMPUTE_PGM_RSRC3_GFX90A:ACCUM_OFFSET: 0
; COMPUTE_PGM_RSRC3_GFX90A:TG_SPLIT: 0
	.section	.text._ZN7rocprim17ROCPRIM_400000_NS6detail17trampoline_kernelINS0_14default_configENS1_21merge_config_selectorIdNS0_10empty_typeEEEZNS1_10merge_implIS3_N6thrust23THRUST_200600_302600_NS6detail15normal_iteratorINS9_10device_ptrIKdEEEESF_NSB_INSC_IdEEEEPS5_SI_SI_NS9_4lessIdEEEE10hipError_tPvRmT0_T1_T2_T3_T4_T5_mmT6_P12ihipStream_tbEUlT_E0_NS1_11comp_targetILNS1_3genE5ELNS1_11target_archE942ELNS1_3gpuE9ELNS1_3repE0EEENS1_30default_config_static_selectorELNS0_4arch9wavefront6targetE1EEEvSP_,"axG",@progbits,_ZN7rocprim17ROCPRIM_400000_NS6detail17trampoline_kernelINS0_14default_configENS1_21merge_config_selectorIdNS0_10empty_typeEEEZNS1_10merge_implIS3_N6thrust23THRUST_200600_302600_NS6detail15normal_iteratorINS9_10device_ptrIKdEEEESF_NSB_INSC_IdEEEEPS5_SI_SI_NS9_4lessIdEEEE10hipError_tPvRmT0_T1_T2_T3_T4_T5_mmT6_P12ihipStream_tbEUlT_E0_NS1_11comp_targetILNS1_3genE5ELNS1_11target_archE942ELNS1_3gpuE9ELNS1_3repE0EEENS1_30default_config_static_selectorELNS0_4arch9wavefront6targetE1EEEvSP_,comdat
	.protected	_ZN7rocprim17ROCPRIM_400000_NS6detail17trampoline_kernelINS0_14default_configENS1_21merge_config_selectorIdNS0_10empty_typeEEEZNS1_10merge_implIS3_N6thrust23THRUST_200600_302600_NS6detail15normal_iteratorINS9_10device_ptrIKdEEEESF_NSB_INSC_IdEEEEPS5_SI_SI_NS9_4lessIdEEEE10hipError_tPvRmT0_T1_T2_T3_T4_T5_mmT6_P12ihipStream_tbEUlT_E0_NS1_11comp_targetILNS1_3genE5ELNS1_11target_archE942ELNS1_3gpuE9ELNS1_3repE0EEENS1_30default_config_static_selectorELNS0_4arch9wavefront6targetE1EEEvSP_ ; -- Begin function _ZN7rocprim17ROCPRIM_400000_NS6detail17trampoline_kernelINS0_14default_configENS1_21merge_config_selectorIdNS0_10empty_typeEEEZNS1_10merge_implIS3_N6thrust23THRUST_200600_302600_NS6detail15normal_iteratorINS9_10device_ptrIKdEEEESF_NSB_INSC_IdEEEEPS5_SI_SI_NS9_4lessIdEEEE10hipError_tPvRmT0_T1_T2_T3_T4_T5_mmT6_P12ihipStream_tbEUlT_E0_NS1_11comp_targetILNS1_3genE5ELNS1_11target_archE942ELNS1_3gpuE9ELNS1_3repE0EEENS1_30default_config_static_selectorELNS0_4arch9wavefront6targetE1EEEvSP_
	.globl	_ZN7rocprim17ROCPRIM_400000_NS6detail17trampoline_kernelINS0_14default_configENS1_21merge_config_selectorIdNS0_10empty_typeEEEZNS1_10merge_implIS3_N6thrust23THRUST_200600_302600_NS6detail15normal_iteratorINS9_10device_ptrIKdEEEESF_NSB_INSC_IdEEEEPS5_SI_SI_NS9_4lessIdEEEE10hipError_tPvRmT0_T1_T2_T3_T4_T5_mmT6_P12ihipStream_tbEUlT_E0_NS1_11comp_targetILNS1_3genE5ELNS1_11target_archE942ELNS1_3gpuE9ELNS1_3repE0EEENS1_30default_config_static_selectorELNS0_4arch9wavefront6targetE1EEEvSP_
	.p2align	8
	.type	_ZN7rocprim17ROCPRIM_400000_NS6detail17trampoline_kernelINS0_14default_configENS1_21merge_config_selectorIdNS0_10empty_typeEEEZNS1_10merge_implIS3_N6thrust23THRUST_200600_302600_NS6detail15normal_iteratorINS9_10device_ptrIKdEEEESF_NSB_INSC_IdEEEEPS5_SI_SI_NS9_4lessIdEEEE10hipError_tPvRmT0_T1_T2_T3_T4_T5_mmT6_P12ihipStream_tbEUlT_E0_NS1_11comp_targetILNS1_3genE5ELNS1_11target_archE942ELNS1_3gpuE9ELNS1_3repE0EEENS1_30default_config_static_selectorELNS0_4arch9wavefront6targetE1EEEvSP_,@function
_ZN7rocprim17ROCPRIM_400000_NS6detail17trampoline_kernelINS0_14default_configENS1_21merge_config_selectorIdNS0_10empty_typeEEEZNS1_10merge_implIS3_N6thrust23THRUST_200600_302600_NS6detail15normal_iteratorINS9_10device_ptrIKdEEEESF_NSB_INSC_IdEEEEPS5_SI_SI_NS9_4lessIdEEEE10hipError_tPvRmT0_T1_T2_T3_T4_T5_mmT6_P12ihipStream_tbEUlT_E0_NS1_11comp_targetILNS1_3genE5ELNS1_11target_archE942ELNS1_3gpuE9ELNS1_3repE0EEENS1_30default_config_static_selectorELNS0_4arch9wavefront6targetE1EEEvSP_: ; @_ZN7rocprim17ROCPRIM_400000_NS6detail17trampoline_kernelINS0_14default_configENS1_21merge_config_selectorIdNS0_10empty_typeEEEZNS1_10merge_implIS3_N6thrust23THRUST_200600_302600_NS6detail15normal_iteratorINS9_10device_ptrIKdEEEESF_NSB_INSC_IdEEEEPS5_SI_SI_NS9_4lessIdEEEE10hipError_tPvRmT0_T1_T2_T3_T4_T5_mmT6_P12ihipStream_tbEUlT_E0_NS1_11comp_targetILNS1_3genE5ELNS1_11target_archE942ELNS1_3gpuE9ELNS1_3repE0EEENS1_30default_config_static_selectorELNS0_4arch9wavefront6targetE1EEEvSP_
; %bb.0:
	.section	.rodata,"a",@progbits
	.p2align	6, 0x0
	.amdhsa_kernel _ZN7rocprim17ROCPRIM_400000_NS6detail17trampoline_kernelINS0_14default_configENS1_21merge_config_selectorIdNS0_10empty_typeEEEZNS1_10merge_implIS3_N6thrust23THRUST_200600_302600_NS6detail15normal_iteratorINS9_10device_ptrIKdEEEESF_NSB_INSC_IdEEEEPS5_SI_SI_NS9_4lessIdEEEE10hipError_tPvRmT0_T1_T2_T3_T4_T5_mmT6_P12ihipStream_tbEUlT_E0_NS1_11comp_targetILNS1_3genE5ELNS1_11target_archE942ELNS1_3gpuE9ELNS1_3repE0EEENS1_30default_config_static_selectorELNS0_4arch9wavefront6targetE1EEEvSP_
		.amdhsa_group_segment_fixed_size 0
		.amdhsa_private_segment_fixed_size 0
		.amdhsa_kernarg_size 88
		.amdhsa_user_sgpr_count 6
		.amdhsa_user_sgpr_private_segment_buffer 1
		.amdhsa_user_sgpr_dispatch_ptr 0
		.amdhsa_user_sgpr_queue_ptr 0
		.amdhsa_user_sgpr_kernarg_segment_ptr 1
		.amdhsa_user_sgpr_dispatch_id 0
		.amdhsa_user_sgpr_flat_scratch_init 0
		.amdhsa_user_sgpr_kernarg_preload_length 0
		.amdhsa_user_sgpr_kernarg_preload_offset 0
		.amdhsa_user_sgpr_private_segment_size 0
		.amdhsa_uses_dynamic_stack 0
		.amdhsa_system_sgpr_private_segment_wavefront_offset 0
		.amdhsa_system_sgpr_workgroup_id_x 1
		.amdhsa_system_sgpr_workgroup_id_y 0
		.amdhsa_system_sgpr_workgroup_id_z 0
		.amdhsa_system_sgpr_workgroup_info 0
		.amdhsa_system_vgpr_workitem_id 0
		.amdhsa_next_free_vgpr 1
		.amdhsa_next_free_sgpr 0
		.amdhsa_accum_offset 4
		.amdhsa_reserve_vcc 0
		.amdhsa_reserve_flat_scratch 0
		.amdhsa_float_round_mode_32 0
		.amdhsa_float_round_mode_16_64 0
		.amdhsa_float_denorm_mode_32 3
		.amdhsa_float_denorm_mode_16_64 3
		.amdhsa_dx10_clamp 1
		.amdhsa_ieee_mode 1
		.amdhsa_fp16_overflow 0
		.amdhsa_tg_split 0
		.amdhsa_exception_fp_ieee_invalid_op 0
		.amdhsa_exception_fp_denorm_src 0
		.amdhsa_exception_fp_ieee_div_zero 0
		.amdhsa_exception_fp_ieee_overflow 0
		.amdhsa_exception_fp_ieee_underflow 0
		.amdhsa_exception_fp_ieee_inexact 0
		.amdhsa_exception_int_div_zero 0
	.end_amdhsa_kernel
	.section	.text._ZN7rocprim17ROCPRIM_400000_NS6detail17trampoline_kernelINS0_14default_configENS1_21merge_config_selectorIdNS0_10empty_typeEEEZNS1_10merge_implIS3_N6thrust23THRUST_200600_302600_NS6detail15normal_iteratorINS9_10device_ptrIKdEEEESF_NSB_INSC_IdEEEEPS5_SI_SI_NS9_4lessIdEEEE10hipError_tPvRmT0_T1_T2_T3_T4_T5_mmT6_P12ihipStream_tbEUlT_E0_NS1_11comp_targetILNS1_3genE5ELNS1_11target_archE942ELNS1_3gpuE9ELNS1_3repE0EEENS1_30default_config_static_selectorELNS0_4arch9wavefront6targetE1EEEvSP_,"axG",@progbits,_ZN7rocprim17ROCPRIM_400000_NS6detail17trampoline_kernelINS0_14default_configENS1_21merge_config_selectorIdNS0_10empty_typeEEEZNS1_10merge_implIS3_N6thrust23THRUST_200600_302600_NS6detail15normal_iteratorINS9_10device_ptrIKdEEEESF_NSB_INSC_IdEEEEPS5_SI_SI_NS9_4lessIdEEEE10hipError_tPvRmT0_T1_T2_T3_T4_T5_mmT6_P12ihipStream_tbEUlT_E0_NS1_11comp_targetILNS1_3genE5ELNS1_11target_archE942ELNS1_3gpuE9ELNS1_3repE0EEENS1_30default_config_static_selectorELNS0_4arch9wavefront6targetE1EEEvSP_,comdat
.Lfunc_end11:
	.size	_ZN7rocprim17ROCPRIM_400000_NS6detail17trampoline_kernelINS0_14default_configENS1_21merge_config_selectorIdNS0_10empty_typeEEEZNS1_10merge_implIS3_N6thrust23THRUST_200600_302600_NS6detail15normal_iteratorINS9_10device_ptrIKdEEEESF_NSB_INSC_IdEEEEPS5_SI_SI_NS9_4lessIdEEEE10hipError_tPvRmT0_T1_T2_T3_T4_T5_mmT6_P12ihipStream_tbEUlT_E0_NS1_11comp_targetILNS1_3genE5ELNS1_11target_archE942ELNS1_3gpuE9ELNS1_3repE0EEENS1_30default_config_static_selectorELNS0_4arch9wavefront6targetE1EEEvSP_, .Lfunc_end11-_ZN7rocprim17ROCPRIM_400000_NS6detail17trampoline_kernelINS0_14default_configENS1_21merge_config_selectorIdNS0_10empty_typeEEEZNS1_10merge_implIS3_N6thrust23THRUST_200600_302600_NS6detail15normal_iteratorINS9_10device_ptrIKdEEEESF_NSB_INSC_IdEEEEPS5_SI_SI_NS9_4lessIdEEEE10hipError_tPvRmT0_T1_T2_T3_T4_T5_mmT6_P12ihipStream_tbEUlT_E0_NS1_11comp_targetILNS1_3genE5ELNS1_11target_archE942ELNS1_3gpuE9ELNS1_3repE0EEENS1_30default_config_static_selectorELNS0_4arch9wavefront6targetE1EEEvSP_
                                        ; -- End function
	.section	.AMDGPU.csdata,"",@progbits
; Kernel info:
; codeLenInByte = 0
; NumSgprs: 4
; NumVgprs: 0
; NumAgprs: 0
; TotalNumVgprs: 0
; ScratchSize: 0
; MemoryBound: 0
; FloatMode: 240
; IeeeMode: 1
; LDSByteSize: 0 bytes/workgroup (compile time only)
; SGPRBlocks: 0
; VGPRBlocks: 0
; NumSGPRsForWavesPerEU: 4
; NumVGPRsForWavesPerEU: 1
; AccumOffset: 4
; Occupancy: 8
; WaveLimiterHint : 0
; COMPUTE_PGM_RSRC2:SCRATCH_EN: 0
; COMPUTE_PGM_RSRC2:USER_SGPR: 6
; COMPUTE_PGM_RSRC2:TRAP_HANDLER: 0
; COMPUTE_PGM_RSRC2:TGID_X_EN: 1
; COMPUTE_PGM_RSRC2:TGID_Y_EN: 0
; COMPUTE_PGM_RSRC2:TGID_Z_EN: 0
; COMPUTE_PGM_RSRC2:TIDIG_COMP_CNT: 0
; COMPUTE_PGM_RSRC3_GFX90A:ACCUM_OFFSET: 0
; COMPUTE_PGM_RSRC3_GFX90A:TG_SPLIT: 0
	.section	.text._ZN7rocprim17ROCPRIM_400000_NS6detail17trampoline_kernelINS0_14default_configENS1_21merge_config_selectorIdNS0_10empty_typeEEEZNS1_10merge_implIS3_N6thrust23THRUST_200600_302600_NS6detail15normal_iteratorINS9_10device_ptrIKdEEEESF_NSB_INSC_IdEEEEPS5_SI_SI_NS9_4lessIdEEEE10hipError_tPvRmT0_T1_T2_T3_T4_T5_mmT6_P12ihipStream_tbEUlT_E0_NS1_11comp_targetILNS1_3genE4ELNS1_11target_archE910ELNS1_3gpuE8ELNS1_3repE0EEENS1_30default_config_static_selectorELNS0_4arch9wavefront6targetE1EEEvSP_,"axG",@progbits,_ZN7rocprim17ROCPRIM_400000_NS6detail17trampoline_kernelINS0_14default_configENS1_21merge_config_selectorIdNS0_10empty_typeEEEZNS1_10merge_implIS3_N6thrust23THRUST_200600_302600_NS6detail15normal_iteratorINS9_10device_ptrIKdEEEESF_NSB_INSC_IdEEEEPS5_SI_SI_NS9_4lessIdEEEE10hipError_tPvRmT0_T1_T2_T3_T4_T5_mmT6_P12ihipStream_tbEUlT_E0_NS1_11comp_targetILNS1_3genE4ELNS1_11target_archE910ELNS1_3gpuE8ELNS1_3repE0EEENS1_30default_config_static_selectorELNS0_4arch9wavefront6targetE1EEEvSP_,comdat
	.protected	_ZN7rocprim17ROCPRIM_400000_NS6detail17trampoline_kernelINS0_14default_configENS1_21merge_config_selectorIdNS0_10empty_typeEEEZNS1_10merge_implIS3_N6thrust23THRUST_200600_302600_NS6detail15normal_iteratorINS9_10device_ptrIKdEEEESF_NSB_INSC_IdEEEEPS5_SI_SI_NS9_4lessIdEEEE10hipError_tPvRmT0_T1_T2_T3_T4_T5_mmT6_P12ihipStream_tbEUlT_E0_NS1_11comp_targetILNS1_3genE4ELNS1_11target_archE910ELNS1_3gpuE8ELNS1_3repE0EEENS1_30default_config_static_selectorELNS0_4arch9wavefront6targetE1EEEvSP_ ; -- Begin function _ZN7rocprim17ROCPRIM_400000_NS6detail17trampoline_kernelINS0_14default_configENS1_21merge_config_selectorIdNS0_10empty_typeEEEZNS1_10merge_implIS3_N6thrust23THRUST_200600_302600_NS6detail15normal_iteratorINS9_10device_ptrIKdEEEESF_NSB_INSC_IdEEEEPS5_SI_SI_NS9_4lessIdEEEE10hipError_tPvRmT0_T1_T2_T3_T4_T5_mmT6_P12ihipStream_tbEUlT_E0_NS1_11comp_targetILNS1_3genE4ELNS1_11target_archE910ELNS1_3gpuE8ELNS1_3repE0EEENS1_30default_config_static_selectorELNS0_4arch9wavefront6targetE1EEEvSP_
	.globl	_ZN7rocprim17ROCPRIM_400000_NS6detail17trampoline_kernelINS0_14default_configENS1_21merge_config_selectorIdNS0_10empty_typeEEEZNS1_10merge_implIS3_N6thrust23THRUST_200600_302600_NS6detail15normal_iteratorINS9_10device_ptrIKdEEEESF_NSB_INSC_IdEEEEPS5_SI_SI_NS9_4lessIdEEEE10hipError_tPvRmT0_T1_T2_T3_T4_T5_mmT6_P12ihipStream_tbEUlT_E0_NS1_11comp_targetILNS1_3genE4ELNS1_11target_archE910ELNS1_3gpuE8ELNS1_3repE0EEENS1_30default_config_static_selectorELNS0_4arch9wavefront6targetE1EEEvSP_
	.p2align	8
	.type	_ZN7rocprim17ROCPRIM_400000_NS6detail17trampoline_kernelINS0_14default_configENS1_21merge_config_selectorIdNS0_10empty_typeEEEZNS1_10merge_implIS3_N6thrust23THRUST_200600_302600_NS6detail15normal_iteratorINS9_10device_ptrIKdEEEESF_NSB_INSC_IdEEEEPS5_SI_SI_NS9_4lessIdEEEE10hipError_tPvRmT0_T1_T2_T3_T4_T5_mmT6_P12ihipStream_tbEUlT_E0_NS1_11comp_targetILNS1_3genE4ELNS1_11target_archE910ELNS1_3gpuE8ELNS1_3repE0EEENS1_30default_config_static_selectorELNS0_4arch9wavefront6targetE1EEEvSP_,@function
_ZN7rocprim17ROCPRIM_400000_NS6detail17trampoline_kernelINS0_14default_configENS1_21merge_config_selectorIdNS0_10empty_typeEEEZNS1_10merge_implIS3_N6thrust23THRUST_200600_302600_NS6detail15normal_iteratorINS9_10device_ptrIKdEEEESF_NSB_INSC_IdEEEEPS5_SI_SI_NS9_4lessIdEEEE10hipError_tPvRmT0_T1_T2_T3_T4_T5_mmT6_P12ihipStream_tbEUlT_E0_NS1_11comp_targetILNS1_3genE4ELNS1_11target_archE910ELNS1_3gpuE8ELNS1_3repE0EEENS1_30default_config_static_selectorELNS0_4arch9wavefront6targetE1EEEvSP_: ; @_ZN7rocprim17ROCPRIM_400000_NS6detail17trampoline_kernelINS0_14default_configENS1_21merge_config_selectorIdNS0_10empty_typeEEEZNS1_10merge_implIS3_N6thrust23THRUST_200600_302600_NS6detail15normal_iteratorINS9_10device_ptrIKdEEEESF_NSB_INSC_IdEEEEPS5_SI_SI_NS9_4lessIdEEEE10hipError_tPvRmT0_T1_T2_T3_T4_T5_mmT6_P12ihipStream_tbEUlT_E0_NS1_11comp_targetILNS1_3genE4ELNS1_11target_archE910ELNS1_3gpuE8ELNS1_3repE0EEENS1_30default_config_static_selectorELNS0_4arch9wavefront6targetE1EEEvSP_
; %bb.0:
	s_load_dwordx4 s[0:3], s[4:5], 0x40
	s_load_dwordx8 s[8:15], s[4:5], 0x8
	s_lshl_b32 s16, s6, 10
	s_mov_b32 s7, 0
	s_waitcnt lgkmcnt(0)
	s_mov_b32 s3, s7
	s_add_i32 s17, s2, s0
	s_add_i32 s0, s17, 0x3ff
	s_lshr_b32 s0, s0, 10
	s_min_u32 s1, s6, s0
	s_lshl_b32 s1, s1, 2
	s_add_i32 s6, s6, 1
	s_min_u32 s0, s6, s0
	s_load_dword s6, s[8:9], s1 offset:0x0
	s_lshl_b32 s0, s0, 2
	s_load_dword s8, s[8:9], s0 offset:0x0
	s_add_i32 s0, s16, 0x400
	s_min_u32 s9, s17, s0
	s_waitcnt lgkmcnt(0)
	s_sub_i32 s2, s16, s6
	s_lshl_b64 s[0:1], s[6:7], 3
	s_add_u32 s0, s10, s0
	s_addc_u32 s1, s11, s1
	s_lshl_b64 s[4:5], s[2:3], 3
	s_add_u32 s11, s12, s4
	s_addc_u32 s12, s13, s5
	s_add_i32 s2, s2, s8
	s_sub_i32 s6, s8, s6
	s_sub_i32 s10, s9, s2
	s_add_u32 s2, s10, s6
	s_addc_u32 s3, 0, 0
	v_mov_b32_e32 v1, 0
	v_cmp_le_u32_e32 vcc, s6, v0
	s_and_saveexec_b64 s[4:5], vcc
	s_xor_b64 s[4:5], exec, s[4:5]
	s_cbranch_execz .LBB12_4
; %bb.1:
	v_cmp_gt_u64_e32 vcc, s[2:3], v[0:1]
	s_and_saveexec_b64 s[8:9], vcc
	s_cbranch_execz .LBB12_3
; %bb.2:
	v_mov_b32_e32 v1, s7
	v_subrev_co_u32_e32 v2, vcc, s6, v0
	v_subb_co_u32_e32 v3, vcc, 0, v1, vcc
	v_lshlrev_b64 v[2:3], 3, v[2:3]
	v_mov_b32_e32 v1, s12
	v_add_co_u32_e32 v2, vcc, s11, v2
	v_addc_co_u32_e32 v3, vcc, v1, v3, vcc
	global_load_dwordx2 v[2:3], v[2:3], off
	v_lshlrev_b32_e32 v1, 3, v0
	s_waitcnt vmcnt(0)
	ds_write_b64 v1, v[2:3]
.LBB12_3:
	s_or_b64 exec, exec, s[8:9]
.LBB12_4:
	s_or_saveexec_b64 s[4:5], s[4:5]
	v_lshlrev_b32_e32 v1, 3, v0
	s_xor_b64 exec, exec, s[4:5]
	s_cbranch_execz .LBB12_6
; %bb.5:
	global_load_dwordx2 v[2:3], v1, s[0:1]
	s_waitcnt vmcnt(0)
	ds_write_b64 v1, v[2:3]
.LBB12_6:
	s_or_b64 exec, exec, s[4:5]
	v_or_b32_e32 v10, 0x100, v0
	v_mov_b32_e32 v11, 0
	v_cmp_le_u32_e32 vcc, s6, v10
	s_and_saveexec_b64 s[4:5], vcc
	s_xor_b64 s[4:5], exec, s[4:5]
	s_cbranch_execz .LBB12_10
; %bb.7:
	v_cmp_gt_u64_e32 vcc, s[2:3], v[10:11]
	s_and_saveexec_b64 s[8:9], vcc
	s_cbranch_execz .LBB12_9
; %bb.8:
	v_mov_b32_e32 v3, s7
	v_subrev_co_u32_e32 v2, vcc, s6, v0
	v_subb_co_u32_e32 v3, vcc, 0, v3, vcc
	v_lshlrev_b64 v[2:3], 3, v[2:3]
	v_mov_b32_e32 v4, s12
	v_add_co_u32_e32 v2, vcc, s11, v2
	v_addc_co_u32_e32 v3, vcc, v4, v3, vcc
	global_load_dwordx2 v[2:3], v[2:3], off offset:2048
	s_waitcnt vmcnt(0)
	ds_write_b64 v1, v[2:3] offset:2048
.LBB12_9:
	s_or_b64 exec, exec, s[8:9]
.LBB12_10:
	s_andn2_saveexec_b64 s[4:5], s[4:5]
	s_cbranch_execz .LBB12_12
; %bb.11:
	global_load_dwordx2 v[2:3], v1, s[0:1] offset:2048
	s_waitcnt vmcnt(0)
	ds_write_b64 v1, v[2:3] offset:2048
.LBB12_12:
	s_or_b64 exec, exec, s[4:5]
	v_or_b32_e32 v12, 0x200, v0
	v_mov_b32_e32 v13, 0
	v_cmp_le_u32_e32 vcc, s6, v12
	s_and_saveexec_b64 s[4:5], vcc
	s_xor_b64 s[4:5], exec, s[4:5]
	s_cbranch_execz .LBB12_16
; %bb.13:
	v_cmp_gt_u64_e32 vcc, s[2:3], v[12:13]
	s_and_saveexec_b64 s[8:9], vcc
	s_cbranch_execz .LBB12_15
; %bb.14:
	v_mov_b32_e32 v3, s7
	v_subrev_co_u32_e32 v2, vcc, s6, v12
	v_subb_co_u32_e32 v3, vcc, 0, v3, vcc
	v_lshlrev_b64 v[2:3], 3, v[2:3]
	v_mov_b32_e32 v4, s12
	v_add_co_u32_e32 v2, vcc, s11, v2
	v_addc_co_u32_e32 v3, vcc, v4, v3, vcc
	global_load_dwordx2 v[2:3], v[2:3], off
	s_waitcnt vmcnt(0)
	ds_write_b64 v1, v[2:3] offset:4096
.LBB12_15:
	s_or_b64 exec, exec, s[8:9]
.LBB12_16:
	s_andn2_saveexec_b64 s[4:5], s[4:5]
	s_cbranch_execz .LBB12_18
; %bb.17:
	v_lshlrev_b32_e32 v2, 3, v12
	global_load_dwordx2 v[2:3], v2, s[0:1]
	s_waitcnt vmcnt(0)
	ds_write_b64 v1, v[2:3] offset:4096
.LBB12_18:
	s_or_b64 exec, exec, s[4:5]
	v_or_b32_e32 v14, 0x300, v0
	v_mov_b32_e32 v15, 0
	v_cmp_le_u32_e32 vcc, s6, v14
	s_and_saveexec_b64 s[4:5], vcc
	s_xor_b64 s[4:5], exec, s[4:5]
	s_cbranch_execz .LBB12_22
; %bb.19:
	v_cmp_gt_u64_e32 vcc, s[2:3], v[14:15]
	s_and_saveexec_b64 s[2:3], vcc
	s_cbranch_execz .LBB12_21
; %bb.20:
	v_mov_b32_e32 v3, s7
	v_subrev_co_u32_e32 v2, vcc, s6, v14
	v_subb_co_u32_e32 v3, vcc, 0, v3, vcc
	v_lshlrev_b64 v[2:3], 3, v[2:3]
	v_mov_b32_e32 v4, s12
	v_add_co_u32_e32 v2, vcc, s11, v2
	v_addc_co_u32_e32 v3, vcc, v4, v3, vcc
	global_load_dwordx2 v[2:3], v[2:3], off
	s_waitcnt vmcnt(0)
	ds_write_b64 v1, v[2:3] offset:6144
.LBB12_21:
	s_or_b64 exec, exec, s[2:3]
.LBB12_22:
	s_andn2_saveexec_b64 s[2:3], s[4:5]
	s_cbranch_execz .LBB12_24
; %bb.23:
	v_lshlrev_b32_e32 v2, 3, v14
	global_load_dwordx2 v[2:3], v2, s[0:1]
	s_waitcnt vmcnt(0)
	ds_write_b64 v1, v[2:3] offset:6144
.LBB12_24:
	s_or_b64 exec, exec, s[2:3]
	v_lshlrev_b32_e32 v11, 2, v0
	v_sub_u32_e64 v13, v11, s10 clamp
	v_min_u32_e32 v2, s6, v11
	v_cmp_lt_u32_e32 vcc, v13, v2
	s_waitcnt lgkmcnt(0)
	s_barrier
	s_and_saveexec_b64 s[0:1], vcc
	s_cbranch_execz .LBB12_28
; %bb.25:
	v_lshlrev_b32_e32 v3, 3, v11
	v_lshl_add_u32 v3, s6, 3, v3
	s_mov_b64 s[2:3], 0
.LBB12_26:                              ; =>This Inner Loop Header: Depth=1
	v_add_u32_e32 v4, v2, v13
	v_lshrrev_b32_e32 v8, 1, v4
	v_not_b32_e32 v4, v8
	v_lshlrev_b32_e32 v5, 3, v8
	v_lshl_add_u32 v6, v4, 3, v3
	ds_read_b64 v[4:5], v5
	ds_read_b64 v[6:7], v6
	v_add_u32_e32 v9, 1, v8
	s_waitcnt lgkmcnt(0)
	v_cmp_lt_f64_e32 vcc, v[6:7], v[4:5]
	v_cndmask_b32_e32 v2, v2, v8, vcc
	v_cndmask_b32_e32 v13, v9, v13, vcc
	v_cmp_ge_u32_e32 vcc, v13, v2
	s_or_b64 s[2:3], vcc, s[2:3]
	s_andn2_b64 exec, exec, s[2:3]
	s_cbranch_execnz .LBB12_26
; %bb.27:
	s_or_b64 exec, exec, s[2:3]
.LBB12_28:
	s_or_b64 exec, exec, s[0:1]
	v_add_u32_e32 v2, s6, v11
	s_add_i32 s7, s10, s6
	v_sub_u32_e32 v15, v2, v13
	v_cmp_ge_u32_e32 vcc, s6, v13
	v_cmp_ge_u32_e64 s[0:1], s7, v15
	s_or_b64 s[0:1], vcc, s[0:1]
                                        ; implicit-def: $vgpr18_vgpr19
                                        ; implicit-def: $vgpr16_vgpr17
	s_and_saveexec_b64 s[8:9], s[0:1]
                                        ; implicit-def: $vgpr6_vgpr7_vgpr8_vgpr9
                                        ; implicit-def: $vgpr2_vgpr3_vgpr4_vgpr5
	s_cbranch_execz .LBB12_34
; %bb.29:
	v_cmp_gt_u32_e32 vcc, s6, v13
                                        ; implicit-def: $vgpr2_vgpr3
	s_and_saveexec_b64 s[0:1], vcc
	s_cbranch_execz .LBB12_31
; %bb.30:
	v_lshlrev_b32_e32 v2, 3, v13
	ds_read_b64 v[2:3], v2
.LBB12_31:
	s_or_b64 exec, exec, s[0:1]
	v_cmp_le_u32_e64 s[0:1], s7, v15
	v_cmp_gt_u32_e64 s[2:3], s7, v15
                                        ; implicit-def: $vgpr4_vgpr5
	s_and_saveexec_b64 s[4:5], s[2:3]
	s_cbranch_execz .LBB12_33
; %bb.32:
	v_lshlrev_b32_e32 v4, 3, v15
	ds_read_b64 v[4:5], v4
.LBB12_33:
	s_or_b64 exec, exec, s[4:5]
	s_waitcnt lgkmcnt(0)
	v_cmp_nlt_f64_e64 s[2:3], v[4:5], v[2:3]
	s_and_b64 s[2:3], vcc, s[2:3]
	s_or_b64 vcc, s[0:1], s[2:3]
	v_mov_b32_e32 v20, s7
	v_mov_b32_e32 v21, s6
	v_cndmask_b32_e32 v6, v15, v13, vcc
	v_cndmask_b32_e32 v7, v20, v21, vcc
	v_add_u32_e32 v16, 1, v6
	v_add_u32_e32 v6, -1, v7
	v_min_u32_e32 v6, v16, v6
	v_lshlrev_b32_e32 v6, 3, v6
	ds_read_b64 v[6:7], v6
	v_cndmask_b32_e32 v13, v13, v16, vcc
	v_cndmask_b32_e32 v15, v16, v15, vcc
	v_cmp_gt_u32_e64 s[2:3], s6, v13
	v_cmp_le_u32_e64 s[0:1], s7, v15
	s_waitcnt lgkmcnt(0)
	v_cndmask_b32_e32 v9, v7, v5, vcc
	v_cndmask_b32_e32 v8, v6, v4, vcc
	;; [unrolled: 1-line block ×4, first 2 shown]
	v_cmp_nlt_f64_e64 s[4:5], v[8:9], v[6:7]
	s_and_b64 s[2:3], s[2:3], s[4:5]
	s_or_b64 s[0:1], s[0:1], s[2:3]
	v_cndmask_b32_e64 v16, v15, v13, s[0:1]
	v_cndmask_b32_e64 v17, v20, v21, s[0:1]
	v_add_u32_e32 v22, 1, v16
	v_add_u32_e32 v16, -1, v17
	v_min_u32_e32 v16, v22, v16
	v_lshlrev_b32_e32 v16, 3, v16
	ds_read_b64 v[16:17], v16
	v_cndmask_b32_e32 v3, v5, v3, vcc
	v_cndmask_b32_e32 v2, v4, v2, vcc
	v_cndmask_b32_e64 v13, v13, v22, s[0:1]
	v_cndmask_b32_e64 v15, v22, v15, s[0:1]
	s_waitcnt lgkmcnt(0)
	v_cndmask_b32_e64 v5, v17, v9, s[0:1]
	v_cndmask_b32_e64 v4, v16, v8, s[0:1]
	;; [unrolled: 1-line block ×4, first 2 shown]
	v_cmp_gt_u32_e64 s[2:3], s6, v13
	v_cmp_nlt_f64_e64 s[4:5], v[4:5], v[18:19]
	v_cmp_le_u32_e32 vcc, s7, v15
	s_and_b64 s[2:3], s[2:3], s[4:5]
	s_or_b64 vcc, vcc, s[2:3]
	v_cndmask_b32_e32 v16, v15, v13, vcc
	v_cndmask_b32_e32 v17, v20, v21, vcc
	v_add_u32_e32 v22, 1, v16
	v_add_u32_e32 v16, -1, v17
	v_min_u32_e32 v16, v22, v16
	v_lshlrev_b32_e32 v16, 3, v16
	ds_read_b64 v[20:21], v16
	v_cndmask_b32_e64 v17, v9, v7, s[0:1]
	v_cndmask_b32_e64 v16, v8, v6, s[0:1]
	v_cndmask_b32_e32 v7, v5, v19, vcc
	v_cndmask_b32_e32 v6, v4, v18, vcc
	s_waitcnt lgkmcnt(0)
	v_cndmask_b32_e32 v5, v21, v5, vcc
	v_cndmask_b32_e32 v4, v20, v4, vcc
	;; [unrolled: 1-line block ×6, first 2 shown]
	v_cmp_gt_u32_e64 s[0:1], s6, v13
	v_cmp_nlt_f64_e64 s[2:3], v[4:5], v[8:9]
	v_cmp_le_u32_e32 vcc, s7, v15
	s_and_b64 s[0:1], s[0:1], s[2:3]
	s_or_b64 vcc, vcc, s[0:1]
	v_cndmask_b32_e32 v19, v5, v9, vcc
	v_cndmask_b32_e32 v18, v4, v8, vcc
.LBB12_34:
	s_or_b64 exec, exec, s[8:9]
	s_sub_i32 s6, s17, s16
	s_mov_b32 s17, 0
	s_lshl_b64 s[0:1], s[16:17], 3
	s_add_u32 s0, s14, s0
	v_and_b32_e32 v4, 0xf8, v0
	s_addc_u32 s1, s15, s1
	v_lshl_add_u32 v4, v11, 3, v4
	s_cmpk_gt_u32 s6, 0x3ff
	s_barrier
	ds_write2_b64 v4, v[2:3], v[16:17] offset1:1
	ds_write2_b64 v4, v[6:7], v[18:19] offset0:2 offset1:3
	v_lshrrev_b32_e32 v6, 5, v10
	v_lshrrev_b32_e32 v5, 5, v12
	;; [unrolled: 1-line block ×3, first 2 shown]
	s_waitcnt lgkmcnt(0)
	s_cbranch_scc0 .LBB12_36
; %bb.35:
	v_lshrrev_b32_e32 v2, 5, v0
	v_add_lshl_u32 v2, v2, v0, 3
	v_add_lshl_u32 v3, v6, v0, 3
	s_barrier
	v_add_lshl_u32 v7, v5, v0, 3
	v_add_lshl_u32 v11, v4, v0, 3
	ds_read_b64 v[8:9], v2
	ds_read_b64 v[16:17], v3 offset:2048
	ds_read_b64 v[18:19], v7 offset:4096
	;; [unrolled: 1-line block ×3, first 2 shown]
	v_mov_b32_e32 v7, s1
	v_add_co_u32_e32 v11, vcc, s0, v1
	v_addc_co_u32_e32 v7, vcc, 0, v7, vcc
	s_waitcnt lgkmcnt(3)
	global_store_dwordx2 v1, v[8:9], s[0:1]
	s_waitcnt lgkmcnt(2)
	global_store_dwordx2 v1, v[16:17], s[0:1] offset:2048
	v_add_co_u32_e32 v8, vcc, 0x1000, v11
	v_addc_co_u32_e32 v9, vcc, 0, v7, vcc
	s_waitcnt lgkmcnt(1)
	global_store_dwordx2 v[8:9], v[18:19], off
	s_mov_b64 s[2:3], -1
	s_cbranch_execz .LBB12_37
	s_branch .LBB12_42
.LBB12_36:
	s_mov_b64 s[2:3], 0
                                        ; implicit-def: $vgpr2_vgpr3
.LBB12_37:
	s_waitcnt lgkmcnt(0)
	v_add_lshl_u32 v2, v6, v0, 3
	v_add_lshl_u32 v3, v5, v0, 3
	s_barrier
	v_add_lshl_u32 v6, v4, v0, 3
	ds_read_b64 v[8:9], v2 offset:2048
	ds_read_b64 v[4:5], v3 offset:4096
	;; [unrolled: 1-line block ×3, first 2 shown]
	v_mov_b32_e32 v7, s1
	v_add_co_u32_e32 v6, vcc, s0, v1
	v_addc_co_u32_e32 v7, vcc, 0, v7, vcc
	v_cmp_gt_u32_e32 vcc, s6, v0
	s_and_saveexec_b64 s[2:3], vcc
	s_cbranch_execnz .LBB12_45
; %bb.38:
	s_or_b64 exec, exec, s[2:3]
	v_cmp_gt_u32_e32 vcc, s6, v10
	s_and_saveexec_b64 s[2:3], vcc
	s_cbranch_execnz .LBB12_46
.LBB12_39:
	s_or_b64 exec, exec, s[2:3]
	v_cmp_gt_u32_e32 vcc, s6, v12
	s_and_saveexec_b64 s[2:3], vcc
	s_cbranch_execz .LBB12_41
.LBB12_40:
	v_add_co_u32_e32 v6, vcc, 0x1000, v6
	v_addc_co_u32_e32 v7, vcc, 0, v7, vcc
	s_waitcnt lgkmcnt(1)
	global_store_dwordx2 v[6:7], v[4:5], off
.LBB12_41:
	s_or_b64 exec, exec, s[2:3]
	v_cmp_gt_u32_e64 s[2:3], s6, v14
.LBB12_42:
	s_and_saveexec_b64 s[4:5], s[2:3]
	s_cbranch_execnz .LBB12_44
; %bb.43:
	s_endpgm
.LBB12_44:
	v_mov_b32_e32 v0, s1
	v_add_co_u32_e32 v1, vcc, s0, v1
	s_waitcnt lgkmcnt(1)
	v_addc_co_u32_e32 v4, vcc, 0, v0, vcc
	v_add_co_u32_e32 v0, vcc, 0x1000, v1
	v_addc_co_u32_e32 v1, vcc, 0, v4, vcc
	s_waitcnt lgkmcnt(0)
	global_store_dwordx2 v[0:1], v[2:3], off offset:2048
	s_endpgm
.LBB12_45:
	v_lshrrev_b32_e32 v11, 5, v0
	v_add_lshl_u32 v0, v11, v0, 3
	ds_read_b64 v[16:17], v0
	s_waitcnt lgkmcnt(0)
	global_store_dwordx2 v[6:7], v[16:17], off
	s_or_b64 exec, exec, s[2:3]
	v_cmp_gt_u32_e32 vcc, s6, v10
	s_and_saveexec_b64 s[2:3], vcc
	s_cbranch_execz .LBB12_39
.LBB12_46:
	s_waitcnt lgkmcnt(2)
	global_store_dwordx2 v[6:7], v[8:9], off offset:2048
	s_or_b64 exec, exec, s[2:3]
	v_cmp_gt_u32_e32 vcc, s6, v12
	s_and_saveexec_b64 s[2:3], vcc
	s_cbranch_execnz .LBB12_40
	s_branch .LBB12_41
	.section	.rodata,"a",@progbits
	.p2align	6, 0x0
	.amdhsa_kernel _ZN7rocprim17ROCPRIM_400000_NS6detail17trampoline_kernelINS0_14default_configENS1_21merge_config_selectorIdNS0_10empty_typeEEEZNS1_10merge_implIS3_N6thrust23THRUST_200600_302600_NS6detail15normal_iteratorINS9_10device_ptrIKdEEEESF_NSB_INSC_IdEEEEPS5_SI_SI_NS9_4lessIdEEEE10hipError_tPvRmT0_T1_T2_T3_T4_T5_mmT6_P12ihipStream_tbEUlT_E0_NS1_11comp_targetILNS1_3genE4ELNS1_11target_archE910ELNS1_3gpuE8ELNS1_3repE0EEENS1_30default_config_static_selectorELNS0_4arch9wavefront6targetE1EEEvSP_
		.amdhsa_group_segment_fixed_size 8448
		.amdhsa_private_segment_fixed_size 0
		.amdhsa_kernarg_size 88
		.amdhsa_user_sgpr_count 6
		.amdhsa_user_sgpr_private_segment_buffer 1
		.amdhsa_user_sgpr_dispatch_ptr 0
		.amdhsa_user_sgpr_queue_ptr 0
		.amdhsa_user_sgpr_kernarg_segment_ptr 1
		.amdhsa_user_sgpr_dispatch_id 0
		.amdhsa_user_sgpr_flat_scratch_init 0
		.amdhsa_user_sgpr_kernarg_preload_length 0
		.amdhsa_user_sgpr_kernarg_preload_offset 0
		.amdhsa_user_sgpr_private_segment_size 0
		.amdhsa_uses_dynamic_stack 0
		.amdhsa_system_sgpr_private_segment_wavefront_offset 0
		.amdhsa_system_sgpr_workgroup_id_x 1
		.amdhsa_system_sgpr_workgroup_id_y 0
		.amdhsa_system_sgpr_workgroup_id_z 0
		.amdhsa_system_sgpr_workgroup_info 0
		.amdhsa_system_vgpr_workitem_id 0
		.amdhsa_next_free_vgpr 23
		.amdhsa_next_free_sgpr 18
		.amdhsa_accum_offset 24
		.amdhsa_reserve_vcc 1
		.amdhsa_reserve_flat_scratch 0
		.amdhsa_float_round_mode_32 0
		.amdhsa_float_round_mode_16_64 0
		.amdhsa_float_denorm_mode_32 3
		.amdhsa_float_denorm_mode_16_64 3
		.amdhsa_dx10_clamp 1
		.amdhsa_ieee_mode 1
		.amdhsa_fp16_overflow 0
		.amdhsa_tg_split 0
		.amdhsa_exception_fp_ieee_invalid_op 0
		.amdhsa_exception_fp_denorm_src 0
		.amdhsa_exception_fp_ieee_div_zero 0
		.amdhsa_exception_fp_ieee_overflow 0
		.amdhsa_exception_fp_ieee_underflow 0
		.amdhsa_exception_fp_ieee_inexact 0
		.amdhsa_exception_int_div_zero 0
	.end_amdhsa_kernel
	.section	.text._ZN7rocprim17ROCPRIM_400000_NS6detail17trampoline_kernelINS0_14default_configENS1_21merge_config_selectorIdNS0_10empty_typeEEEZNS1_10merge_implIS3_N6thrust23THRUST_200600_302600_NS6detail15normal_iteratorINS9_10device_ptrIKdEEEESF_NSB_INSC_IdEEEEPS5_SI_SI_NS9_4lessIdEEEE10hipError_tPvRmT0_T1_T2_T3_T4_T5_mmT6_P12ihipStream_tbEUlT_E0_NS1_11comp_targetILNS1_3genE4ELNS1_11target_archE910ELNS1_3gpuE8ELNS1_3repE0EEENS1_30default_config_static_selectorELNS0_4arch9wavefront6targetE1EEEvSP_,"axG",@progbits,_ZN7rocprim17ROCPRIM_400000_NS6detail17trampoline_kernelINS0_14default_configENS1_21merge_config_selectorIdNS0_10empty_typeEEEZNS1_10merge_implIS3_N6thrust23THRUST_200600_302600_NS6detail15normal_iteratorINS9_10device_ptrIKdEEEESF_NSB_INSC_IdEEEEPS5_SI_SI_NS9_4lessIdEEEE10hipError_tPvRmT0_T1_T2_T3_T4_T5_mmT6_P12ihipStream_tbEUlT_E0_NS1_11comp_targetILNS1_3genE4ELNS1_11target_archE910ELNS1_3gpuE8ELNS1_3repE0EEENS1_30default_config_static_selectorELNS0_4arch9wavefront6targetE1EEEvSP_,comdat
.Lfunc_end12:
	.size	_ZN7rocprim17ROCPRIM_400000_NS6detail17trampoline_kernelINS0_14default_configENS1_21merge_config_selectorIdNS0_10empty_typeEEEZNS1_10merge_implIS3_N6thrust23THRUST_200600_302600_NS6detail15normal_iteratorINS9_10device_ptrIKdEEEESF_NSB_INSC_IdEEEEPS5_SI_SI_NS9_4lessIdEEEE10hipError_tPvRmT0_T1_T2_T3_T4_T5_mmT6_P12ihipStream_tbEUlT_E0_NS1_11comp_targetILNS1_3genE4ELNS1_11target_archE910ELNS1_3gpuE8ELNS1_3repE0EEENS1_30default_config_static_selectorELNS0_4arch9wavefront6targetE1EEEvSP_, .Lfunc_end12-_ZN7rocprim17ROCPRIM_400000_NS6detail17trampoline_kernelINS0_14default_configENS1_21merge_config_selectorIdNS0_10empty_typeEEEZNS1_10merge_implIS3_N6thrust23THRUST_200600_302600_NS6detail15normal_iteratorINS9_10device_ptrIKdEEEESF_NSB_INSC_IdEEEEPS5_SI_SI_NS9_4lessIdEEEE10hipError_tPvRmT0_T1_T2_T3_T4_T5_mmT6_P12ihipStream_tbEUlT_E0_NS1_11comp_targetILNS1_3genE4ELNS1_11target_archE910ELNS1_3gpuE8ELNS1_3repE0EEENS1_30default_config_static_selectorELNS0_4arch9wavefront6targetE1EEEvSP_
                                        ; -- End function
	.section	.AMDGPU.csdata,"",@progbits
; Kernel info:
; codeLenInByte = 1796
; NumSgprs: 22
; NumVgprs: 23
; NumAgprs: 0
; TotalNumVgprs: 23
; ScratchSize: 0
; MemoryBound: 0
; FloatMode: 240
; IeeeMode: 1
; LDSByteSize: 8448 bytes/workgroup (compile time only)
; SGPRBlocks: 2
; VGPRBlocks: 2
; NumSGPRsForWavesPerEU: 22
; NumVGPRsForWavesPerEU: 23
; AccumOffset: 24
; Occupancy: 7
; WaveLimiterHint : 1
; COMPUTE_PGM_RSRC2:SCRATCH_EN: 0
; COMPUTE_PGM_RSRC2:USER_SGPR: 6
; COMPUTE_PGM_RSRC2:TRAP_HANDLER: 0
; COMPUTE_PGM_RSRC2:TGID_X_EN: 1
; COMPUTE_PGM_RSRC2:TGID_Y_EN: 0
; COMPUTE_PGM_RSRC2:TGID_Z_EN: 0
; COMPUTE_PGM_RSRC2:TIDIG_COMP_CNT: 0
; COMPUTE_PGM_RSRC3_GFX90A:ACCUM_OFFSET: 5
; COMPUTE_PGM_RSRC3_GFX90A:TG_SPLIT: 0
	.section	.text._ZN7rocprim17ROCPRIM_400000_NS6detail17trampoline_kernelINS0_14default_configENS1_21merge_config_selectorIdNS0_10empty_typeEEEZNS1_10merge_implIS3_N6thrust23THRUST_200600_302600_NS6detail15normal_iteratorINS9_10device_ptrIKdEEEESF_NSB_INSC_IdEEEEPS5_SI_SI_NS9_4lessIdEEEE10hipError_tPvRmT0_T1_T2_T3_T4_T5_mmT6_P12ihipStream_tbEUlT_E0_NS1_11comp_targetILNS1_3genE3ELNS1_11target_archE908ELNS1_3gpuE7ELNS1_3repE0EEENS1_30default_config_static_selectorELNS0_4arch9wavefront6targetE1EEEvSP_,"axG",@progbits,_ZN7rocprim17ROCPRIM_400000_NS6detail17trampoline_kernelINS0_14default_configENS1_21merge_config_selectorIdNS0_10empty_typeEEEZNS1_10merge_implIS3_N6thrust23THRUST_200600_302600_NS6detail15normal_iteratorINS9_10device_ptrIKdEEEESF_NSB_INSC_IdEEEEPS5_SI_SI_NS9_4lessIdEEEE10hipError_tPvRmT0_T1_T2_T3_T4_T5_mmT6_P12ihipStream_tbEUlT_E0_NS1_11comp_targetILNS1_3genE3ELNS1_11target_archE908ELNS1_3gpuE7ELNS1_3repE0EEENS1_30default_config_static_selectorELNS0_4arch9wavefront6targetE1EEEvSP_,comdat
	.protected	_ZN7rocprim17ROCPRIM_400000_NS6detail17trampoline_kernelINS0_14default_configENS1_21merge_config_selectorIdNS0_10empty_typeEEEZNS1_10merge_implIS3_N6thrust23THRUST_200600_302600_NS6detail15normal_iteratorINS9_10device_ptrIKdEEEESF_NSB_INSC_IdEEEEPS5_SI_SI_NS9_4lessIdEEEE10hipError_tPvRmT0_T1_T2_T3_T4_T5_mmT6_P12ihipStream_tbEUlT_E0_NS1_11comp_targetILNS1_3genE3ELNS1_11target_archE908ELNS1_3gpuE7ELNS1_3repE0EEENS1_30default_config_static_selectorELNS0_4arch9wavefront6targetE1EEEvSP_ ; -- Begin function _ZN7rocprim17ROCPRIM_400000_NS6detail17trampoline_kernelINS0_14default_configENS1_21merge_config_selectorIdNS0_10empty_typeEEEZNS1_10merge_implIS3_N6thrust23THRUST_200600_302600_NS6detail15normal_iteratorINS9_10device_ptrIKdEEEESF_NSB_INSC_IdEEEEPS5_SI_SI_NS9_4lessIdEEEE10hipError_tPvRmT0_T1_T2_T3_T4_T5_mmT6_P12ihipStream_tbEUlT_E0_NS1_11comp_targetILNS1_3genE3ELNS1_11target_archE908ELNS1_3gpuE7ELNS1_3repE0EEENS1_30default_config_static_selectorELNS0_4arch9wavefront6targetE1EEEvSP_
	.globl	_ZN7rocprim17ROCPRIM_400000_NS6detail17trampoline_kernelINS0_14default_configENS1_21merge_config_selectorIdNS0_10empty_typeEEEZNS1_10merge_implIS3_N6thrust23THRUST_200600_302600_NS6detail15normal_iteratorINS9_10device_ptrIKdEEEESF_NSB_INSC_IdEEEEPS5_SI_SI_NS9_4lessIdEEEE10hipError_tPvRmT0_T1_T2_T3_T4_T5_mmT6_P12ihipStream_tbEUlT_E0_NS1_11comp_targetILNS1_3genE3ELNS1_11target_archE908ELNS1_3gpuE7ELNS1_3repE0EEENS1_30default_config_static_selectorELNS0_4arch9wavefront6targetE1EEEvSP_
	.p2align	8
	.type	_ZN7rocprim17ROCPRIM_400000_NS6detail17trampoline_kernelINS0_14default_configENS1_21merge_config_selectorIdNS0_10empty_typeEEEZNS1_10merge_implIS3_N6thrust23THRUST_200600_302600_NS6detail15normal_iteratorINS9_10device_ptrIKdEEEESF_NSB_INSC_IdEEEEPS5_SI_SI_NS9_4lessIdEEEE10hipError_tPvRmT0_T1_T2_T3_T4_T5_mmT6_P12ihipStream_tbEUlT_E0_NS1_11comp_targetILNS1_3genE3ELNS1_11target_archE908ELNS1_3gpuE7ELNS1_3repE0EEENS1_30default_config_static_selectorELNS0_4arch9wavefront6targetE1EEEvSP_,@function
_ZN7rocprim17ROCPRIM_400000_NS6detail17trampoline_kernelINS0_14default_configENS1_21merge_config_selectorIdNS0_10empty_typeEEEZNS1_10merge_implIS3_N6thrust23THRUST_200600_302600_NS6detail15normal_iteratorINS9_10device_ptrIKdEEEESF_NSB_INSC_IdEEEEPS5_SI_SI_NS9_4lessIdEEEE10hipError_tPvRmT0_T1_T2_T3_T4_T5_mmT6_P12ihipStream_tbEUlT_E0_NS1_11comp_targetILNS1_3genE3ELNS1_11target_archE908ELNS1_3gpuE7ELNS1_3repE0EEENS1_30default_config_static_selectorELNS0_4arch9wavefront6targetE1EEEvSP_: ; @_ZN7rocprim17ROCPRIM_400000_NS6detail17trampoline_kernelINS0_14default_configENS1_21merge_config_selectorIdNS0_10empty_typeEEEZNS1_10merge_implIS3_N6thrust23THRUST_200600_302600_NS6detail15normal_iteratorINS9_10device_ptrIKdEEEESF_NSB_INSC_IdEEEEPS5_SI_SI_NS9_4lessIdEEEE10hipError_tPvRmT0_T1_T2_T3_T4_T5_mmT6_P12ihipStream_tbEUlT_E0_NS1_11comp_targetILNS1_3genE3ELNS1_11target_archE908ELNS1_3gpuE7ELNS1_3repE0EEENS1_30default_config_static_selectorELNS0_4arch9wavefront6targetE1EEEvSP_
; %bb.0:
	.section	.rodata,"a",@progbits
	.p2align	6, 0x0
	.amdhsa_kernel _ZN7rocprim17ROCPRIM_400000_NS6detail17trampoline_kernelINS0_14default_configENS1_21merge_config_selectorIdNS0_10empty_typeEEEZNS1_10merge_implIS3_N6thrust23THRUST_200600_302600_NS6detail15normal_iteratorINS9_10device_ptrIKdEEEESF_NSB_INSC_IdEEEEPS5_SI_SI_NS9_4lessIdEEEE10hipError_tPvRmT0_T1_T2_T3_T4_T5_mmT6_P12ihipStream_tbEUlT_E0_NS1_11comp_targetILNS1_3genE3ELNS1_11target_archE908ELNS1_3gpuE7ELNS1_3repE0EEENS1_30default_config_static_selectorELNS0_4arch9wavefront6targetE1EEEvSP_
		.amdhsa_group_segment_fixed_size 0
		.amdhsa_private_segment_fixed_size 0
		.amdhsa_kernarg_size 88
		.amdhsa_user_sgpr_count 6
		.amdhsa_user_sgpr_private_segment_buffer 1
		.amdhsa_user_sgpr_dispatch_ptr 0
		.amdhsa_user_sgpr_queue_ptr 0
		.amdhsa_user_sgpr_kernarg_segment_ptr 1
		.amdhsa_user_sgpr_dispatch_id 0
		.amdhsa_user_sgpr_flat_scratch_init 0
		.amdhsa_user_sgpr_kernarg_preload_length 0
		.amdhsa_user_sgpr_kernarg_preload_offset 0
		.amdhsa_user_sgpr_private_segment_size 0
		.amdhsa_uses_dynamic_stack 0
		.amdhsa_system_sgpr_private_segment_wavefront_offset 0
		.amdhsa_system_sgpr_workgroup_id_x 1
		.amdhsa_system_sgpr_workgroup_id_y 0
		.amdhsa_system_sgpr_workgroup_id_z 0
		.amdhsa_system_sgpr_workgroup_info 0
		.amdhsa_system_vgpr_workitem_id 0
		.amdhsa_next_free_vgpr 1
		.amdhsa_next_free_sgpr 0
		.amdhsa_accum_offset 4
		.amdhsa_reserve_vcc 0
		.amdhsa_reserve_flat_scratch 0
		.amdhsa_float_round_mode_32 0
		.amdhsa_float_round_mode_16_64 0
		.amdhsa_float_denorm_mode_32 3
		.amdhsa_float_denorm_mode_16_64 3
		.amdhsa_dx10_clamp 1
		.amdhsa_ieee_mode 1
		.amdhsa_fp16_overflow 0
		.amdhsa_tg_split 0
		.amdhsa_exception_fp_ieee_invalid_op 0
		.amdhsa_exception_fp_denorm_src 0
		.amdhsa_exception_fp_ieee_div_zero 0
		.amdhsa_exception_fp_ieee_overflow 0
		.amdhsa_exception_fp_ieee_underflow 0
		.amdhsa_exception_fp_ieee_inexact 0
		.amdhsa_exception_int_div_zero 0
	.end_amdhsa_kernel
	.section	.text._ZN7rocprim17ROCPRIM_400000_NS6detail17trampoline_kernelINS0_14default_configENS1_21merge_config_selectorIdNS0_10empty_typeEEEZNS1_10merge_implIS3_N6thrust23THRUST_200600_302600_NS6detail15normal_iteratorINS9_10device_ptrIKdEEEESF_NSB_INSC_IdEEEEPS5_SI_SI_NS9_4lessIdEEEE10hipError_tPvRmT0_T1_T2_T3_T4_T5_mmT6_P12ihipStream_tbEUlT_E0_NS1_11comp_targetILNS1_3genE3ELNS1_11target_archE908ELNS1_3gpuE7ELNS1_3repE0EEENS1_30default_config_static_selectorELNS0_4arch9wavefront6targetE1EEEvSP_,"axG",@progbits,_ZN7rocprim17ROCPRIM_400000_NS6detail17trampoline_kernelINS0_14default_configENS1_21merge_config_selectorIdNS0_10empty_typeEEEZNS1_10merge_implIS3_N6thrust23THRUST_200600_302600_NS6detail15normal_iteratorINS9_10device_ptrIKdEEEESF_NSB_INSC_IdEEEEPS5_SI_SI_NS9_4lessIdEEEE10hipError_tPvRmT0_T1_T2_T3_T4_T5_mmT6_P12ihipStream_tbEUlT_E0_NS1_11comp_targetILNS1_3genE3ELNS1_11target_archE908ELNS1_3gpuE7ELNS1_3repE0EEENS1_30default_config_static_selectorELNS0_4arch9wavefront6targetE1EEEvSP_,comdat
.Lfunc_end13:
	.size	_ZN7rocprim17ROCPRIM_400000_NS6detail17trampoline_kernelINS0_14default_configENS1_21merge_config_selectorIdNS0_10empty_typeEEEZNS1_10merge_implIS3_N6thrust23THRUST_200600_302600_NS6detail15normal_iteratorINS9_10device_ptrIKdEEEESF_NSB_INSC_IdEEEEPS5_SI_SI_NS9_4lessIdEEEE10hipError_tPvRmT0_T1_T2_T3_T4_T5_mmT6_P12ihipStream_tbEUlT_E0_NS1_11comp_targetILNS1_3genE3ELNS1_11target_archE908ELNS1_3gpuE7ELNS1_3repE0EEENS1_30default_config_static_selectorELNS0_4arch9wavefront6targetE1EEEvSP_, .Lfunc_end13-_ZN7rocprim17ROCPRIM_400000_NS6detail17trampoline_kernelINS0_14default_configENS1_21merge_config_selectorIdNS0_10empty_typeEEEZNS1_10merge_implIS3_N6thrust23THRUST_200600_302600_NS6detail15normal_iteratorINS9_10device_ptrIKdEEEESF_NSB_INSC_IdEEEEPS5_SI_SI_NS9_4lessIdEEEE10hipError_tPvRmT0_T1_T2_T3_T4_T5_mmT6_P12ihipStream_tbEUlT_E0_NS1_11comp_targetILNS1_3genE3ELNS1_11target_archE908ELNS1_3gpuE7ELNS1_3repE0EEENS1_30default_config_static_selectorELNS0_4arch9wavefront6targetE1EEEvSP_
                                        ; -- End function
	.section	.AMDGPU.csdata,"",@progbits
; Kernel info:
; codeLenInByte = 0
; NumSgprs: 4
; NumVgprs: 0
; NumAgprs: 0
; TotalNumVgprs: 0
; ScratchSize: 0
; MemoryBound: 0
; FloatMode: 240
; IeeeMode: 1
; LDSByteSize: 0 bytes/workgroup (compile time only)
; SGPRBlocks: 0
; VGPRBlocks: 0
; NumSGPRsForWavesPerEU: 4
; NumVGPRsForWavesPerEU: 1
; AccumOffset: 4
; Occupancy: 8
; WaveLimiterHint : 0
; COMPUTE_PGM_RSRC2:SCRATCH_EN: 0
; COMPUTE_PGM_RSRC2:USER_SGPR: 6
; COMPUTE_PGM_RSRC2:TRAP_HANDLER: 0
; COMPUTE_PGM_RSRC2:TGID_X_EN: 1
; COMPUTE_PGM_RSRC2:TGID_Y_EN: 0
; COMPUTE_PGM_RSRC2:TGID_Z_EN: 0
; COMPUTE_PGM_RSRC2:TIDIG_COMP_CNT: 0
; COMPUTE_PGM_RSRC3_GFX90A:ACCUM_OFFSET: 0
; COMPUTE_PGM_RSRC3_GFX90A:TG_SPLIT: 0
	.section	.text._ZN7rocprim17ROCPRIM_400000_NS6detail17trampoline_kernelINS0_14default_configENS1_21merge_config_selectorIdNS0_10empty_typeEEEZNS1_10merge_implIS3_N6thrust23THRUST_200600_302600_NS6detail15normal_iteratorINS9_10device_ptrIKdEEEESF_NSB_INSC_IdEEEEPS5_SI_SI_NS9_4lessIdEEEE10hipError_tPvRmT0_T1_T2_T3_T4_T5_mmT6_P12ihipStream_tbEUlT_E0_NS1_11comp_targetILNS1_3genE2ELNS1_11target_archE906ELNS1_3gpuE6ELNS1_3repE0EEENS1_30default_config_static_selectorELNS0_4arch9wavefront6targetE1EEEvSP_,"axG",@progbits,_ZN7rocprim17ROCPRIM_400000_NS6detail17trampoline_kernelINS0_14default_configENS1_21merge_config_selectorIdNS0_10empty_typeEEEZNS1_10merge_implIS3_N6thrust23THRUST_200600_302600_NS6detail15normal_iteratorINS9_10device_ptrIKdEEEESF_NSB_INSC_IdEEEEPS5_SI_SI_NS9_4lessIdEEEE10hipError_tPvRmT0_T1_T2_T3_T4_T5_mmT6_P12ihipStream_tbEUlT_E0_NS1_11comp_targetILNS1_3genE2ELNS1_11target_archE906ELNS1_3gpuE6ELNS1_3repE0EEENS1_30default_config_static_selectorELNS0_4arch9wavefront6targetE1EEEvSP_,comdat
	.protected	_ZN7rocprim17ROCPRIM_400000_NS6detail17trampoline_kernelINS0_14default_configENS1_21merge_config_selectorIdNS0_10empty_typeEEEZNS1_10merge_implIS3_N6thrust23THRUST_200600_302600_NS6detail15normal_iteratorINS9_10device_ptrIKdEEEESF_NSB_INSC_IdEEEEPS5_SI_SI_NS9_4lessIdEEEE10hipError_tPvRmT0_T1_T2_T3_T4_T5_mmT6_P12ihipStream_tbEUlT_E0_NS1_11comp_targetILNS1_3genE2ELNS1_11target_archE906ELNS1_3gpuE6ELNS1_3repE0EEENS1_30default_config_static_selectorELNS0_4arch9wavefront6targetE1EEEvSP_ ; -- Begin function _ZN7rocprim17ROCPRIM_400000_NS6detail17trampoline_kernelINS0_14default_configENS1_21merge_config_selectorIdNS0_10empty_typeEEEZNS1_10merge_implIS3_N6thrust23THRUST_200600_302600_NS6detail15normal_iteratorINS9_10device_ptrIKdEEEESF_NSB_INSC_IdEEEEPS5_SI_SI_NS9_4lessIdEEEE10hipError_tPvRmT0_T1_T2_T3_T4_T5_mmT6_P12ihipStream_tbEUlT_E0_NS1_11comp_targetILNS1_3genE2ELNS1_11target_archE906ELNS1_3gpuE6ELNS1_3repE0EEENS1_30default_config_static_selectorELNS0_4arch9wavefront6targetE1EEEvSP_
	.globl	_ZN7rocprim17ROCPRIM_400000_NS6detail17trampoline_kernelINS0_14default_configENS1_21merge_config_selectorIdNS0_10empty_typeEEEZNS1_10merge_implIS3_N6thrust23THRUST_200600_302600_NS6detail15normal_iteratorINS9_10device_ptrIKdEEEESF_NSB_INSC_IdEEEEPS5_SI_SI_NS9_4lessIdEEEE10hipError_tPvRmT0_T1_T2_T3_T4_T5_mmT6_P12ihipStream_tbEUlT_E0_NS1_11comp_targetILNS1_3genE2ELNS1_11target_archE906ELNS1_3gpuE6ELNS1_3repE0EEENS1_30default_config_static_selectorELNS0_4arch9wavefront6targetE1EEEvSP_
	.p2align	8
	.type	_ZN7rocprim17ROCPRIM_400000_NS6detail17trampoline_kernelINS0_14default_configENS1_21merge_config_selectorIdNS0_10empty_typeEEEZNS1_10merge_implIS3_N6thrust23THRUST_200600_302600_NS6detail15normal_iteratorINS9_10device_ptrIKdEEEESF_NSB_INSC_IdEEEEPS5_SI_SI_NS9_4lessIdEEEE10hipError_tPvRmT0_T1_T2_T3_T4_T5_mmT6_P12ihipStream_tbEUlT_E0_NS1_11comp_targetILNS1_3genE2ELNS1_11target_archE906ELNS1_3gpuE6ELNS1_3repE0EEENS1_30default_config_static_selectorELNS0_4arch9wavefront6targetE1EEEvSP_,@function
_ZN7rocprim17ROCPRIM_400000_NS6detail17trampoline_kernelINS0_14default_configENS1_21merge_config_selectorIdNS0_10empty_typeEEEZNS1_10merge_implIS3_N6thrust23THRUST_200600_302600_NS6detail15normal_iteratorINS9_10device_ptrIKdEEEESF_NSB_INSC_IdEEEEPS5_SI_SI_NS9_4lessIdEEEE10hipError_tPvRmT0_T1_T2_T3_T4_T5_mmT6_P12ihipStream_tbEUlT_E0_NS1_11comp_targetILNS1_3genE2ELNS1_11target_archE906ELNS1_3gpuE6ELNS1_3repE0EEENS1_30default_config_static_selectorELNS0_4arch9wavefront6targetE1EEEvSP_: ; @_ZN7rocprim17ROCPRIM_400000_NS6detail17trampoline_kernelINS0_14default_configENS1_21merge_config_selectorIdNS0_10empty_typeEEEZNS1_10merge_implIS3_N6thrust23THRUST_200600_302600_NS6detail15normal_iteratorINS9_10device_ptrIKdEEEESF_NSB_INSC_IdEEEEPS5_SI_SI_NS9_4lessIdEEEE10hipError_tPvRmT0_T1_T2_T3_T4_T5_mmT6_P12ihipStream_tbEUlT_E0_NS1_11comp_targetILNS1_3genE2ELNS1_11target_archE906ELNS1_3gpuE6ELNS1_3repE0EEENS1_30default_config_static_selectorELNS0_4arch9wavefront6targetE1EEEvSP_
; %bb.0:
	.section	.rodata,"a",@progbits
	.p2align	6, 0x0
	.amdhsa_kernel _ZN7rocprim17ROCPRIM_400000_NS6detail17trampoline_kernelINS0_14default_configENS1_21merge_config_selectorIdNS0_10empty_typeEEEZNS1_10merge_implIS3_N6thrust23THRUST_200600_302600_NS6detail15normal_iteratorINS9_10device_ptrIKdEEEESF_NSB_INSC_IdEEEEPS5_SI_SI_NS9_4lessIdEEEE10hipError_tPvRmT0_T1_T2_T3_T4_T5_mmT6_P12ihipStream_tbEUlT_E0_NS1_11comp_targetILNS1_3genE2ELNS1_11target_archE906ELNS1_3gpuE6ELNS1_3repE0EEENS1_30default_config_static_selectorELNS0_4arch9wavefront6targetE1EEEvSP_
		.amdhsa_group_segment_fixed_size 0
		.amdhsa_private_segment_fixed_size 0
		.amdhsa_kernarg_size 88
		.amdhsa_user_sgpr_count 6
		.amdhsa_user_sgpr_private_segment_buffer 1
		.amdhsa_user_sgpr_dispatch_ptr 0
		.amdhsa_user_sgpr_queue_ptr 0
		.amdhsa_user_sgpr_kernarg_segment_ptr 1
		.amdhsa_user_sgpr_dispatch_id 0
		.amdhsa_user_sgpr_flat_scratch_init 0
		.amdhsa_user_sgpr_kernarg_preload_length 0
		.amdhsa_user_sgpr_kernarg_preload_offset 0
		.amdhsa_user_sgpr_private_segment_size 0
		.amdhsa_uses_dynamic_stack 0
		.amdhsa_system_sgpr_private_segment_wavefront_offset 0
		.amdhsa_system_sgpr_workgroup_id_x 1
		.amdhsa_system_sgpr_workgroup_id_y 0
		.amdhsa_system_sgpr_workgroup_id_z 0
		.amdhsa_system_sgpr_workgroup_info 0
		.amdhsa_system_vgpr_workitem_id 0
		.amdhsa_next_free_vgpr 1
		.amdhsa_next_free_sgpr 0
		.amdhsa_accum_offset 4
		.amdhsa_reserve_vcc 0
		.amdhsa_reserve_flat_scratch 0
		.amdhsa_float_round_mode_32 0
		.amdhsa_float_round_mode_16_64 0
		.amdhsa_float_denorm_mode_32 3
		.amdhsa_float_denorm_mode_16_64 3
		.amdhsa_dx10_clamp 1
		.amdhsa_ieee_mode 1
		.amdhsa_fp16_overflow 0
		.amdhsa_tg_split 0
		.amdhsa_exception_fp_ieee_invalid_op 0
		.amdhsa_exception_fp_denorm_src 0
		.amdhsa_exception_fp_ieee_div_zero 0
		.amdhsa_exception_fp_ieee_overflow 0
		.amdhsa_exception_fp_ieee_underflow 0
		.amdhsa_exception_fp_ieee_inexact 0
		.amdhsa_exception_int_div_zero 0
	.end_amdhsa_kernel
	.section	.text._ZN7rocprim17ROCPRIM_400000_NS6detail17trampoline_kernelINS0_14default_configENS1_21merge_config_selectorIdNS0_10empty_typeEEEZNS1_10merge_implIS3_N6thrust23THRUST_200600_302600_NS6detail15normal_iteratorINS9_10device_ptrIKdEEEESF_NSB_INSC_IdEEEEPS5_SI_SI_NS9_4lessIdEEEE10hipError_tPvRmT0_T1_T2_T3_T4_T5_mmT6_P12ihipStream_tbEUlT_E0_NS1_11comp_targetILNS1_3genE2ELNS1_11target_archE906ELNS1_3gpuE6ELNS1_3repE0EEENS1_30default_config_static_selectorELNS0_4arch9wavefront6targetE1EEEvSP_,"axG",@progbits,_ZN7rocprim17ROCPRIM_400000_NS6detail17trampoline_kernelINS0_14default_configENS1_21merge_config_selectorIdNS0_10empty_typeEEEZNS1_10merge_implIS3_N6thrust23THRUST_200600_302600_NS6detail15normal_iteratorINS9_10device_ptrIKdEEEESF_NSB_INSC_IdEEEEPS5_SI_SI_NS9_4lessIdEEEE10hipError_tPvRmT0_T1_T2_T3_T4_T5_mmT6_P12ihipStream_tbEUlT_E0_NS1_11comp_targetILNS1_3genE2ELNS1_11target_archE906ELNS1_3gpuE6ELNS1_3repE0EEENS1_30default_config_static_selectorELNS0_4arch9wavefront6targetE1EEEvSP_,comdat
.Lfunc_end14:
	.size	_ZN7rocprim17ROCPRIM_400000_NS6detail17trampoline_kernelINS0_14default_configENS1_21merge_config_selectorIdNS0_10empty_typeEEEZNS1_10merge_implIS3_N6thrust23THRUST_200600_302600_NS6detail15normal_iteratorINS9_10device_ptrIKdEEEESF_NSB_INSC_IdEEEEPS5_SI_SI_NS9_4lessIdEEEE10hipError_tPvRmT0_T1_T2_T3_T4_T5_mmT6_P12ihipStream_tbEUlT_E0_NS1_11comp_targetILNS1_3genE2ELNS1_11target_archE906ELNS1_3gpuE6ELNS1_3repE0EEENS1_30default_config_static_selectorELNS0_4arch9wavefront6targetE1EEEvSP_, .Lfunc_end14-_ZN7rocprim17ROCPRIM_400000_NS6detail17trampoline_kernelINS0_14default_configENS1_21merge_config_selectorIdNS0_10empty_typeEEEZNS1_10merge_implIS3_N6thrust23THRUST_200600_302600_NS6detail15normal_iteratorINS9_10device_ptrIKdEEEESF_NSB_INSC_IdEEEEPS5_SI_SI_NS9_4lessIdEEEE10hipError_tPvRmT0_T1_T2_T3_T4_T5_mmT6_P12ihipStream_tbEUlT_E0_NS1_11comp_targetILNS1_3genE2ELNS1_11target_archE906ELNS1_3gpuE6ELNS1_3repE0EEENS1_30default_config_static_selectorELNS0_4arch9wavefront6targetE1EEEvSP_
                                        ; -- End function
	.section	.AMDGPU.csdata,"",@progbits
; Kernel info:
; codeLenInByte = 0
; NumSgprs: 4
; NumVgprs: 0
; NumAgprs: 0
; TotalNumVgprs: 0
; ScratchSize: 0
; MemoryBound: 0
; FloatMode: 240
; IeeeMode: 1
; LDSByteSize: 0 bytes/workgroup (compile time only)
; SGPRBlocks: 0
; VGPRBlocks: 0
; NumSGPRsForWavesPerEU: 4
; NumVGPRsForWavesPerEU: 1
; AccumOffset: 4
; Occupancy: 8
; WaveLimiterHint : 0
; COMPUTE_PGM_RSRC2:SCRATCH_EN: 0
; COMPUTE_PGM_RSRC2:USER_SGPR: 6
; COMPUTE_PGM_RSRC2:TRAP_HANDLER: 0
; COMPUTE_PGM_RSRC2:TGID_X_EN: 1
; COMPUTE_PGM_RSRC2:TGID_Y_EN: 0
; COMPUTE_PGM_RSRC2:TGID_Z_EN: 0
; COMPUTE_PGM_RSRC2:TIDIG_COMP_CNT: 0
; COMPUTE_PGM_RSRC3_GFX90A:ACCUM_OFFSET: 0
; COMPUTE_PGM_RSRC3_GFX90A:TG_SPLIT: 0
	.section	.text._ZN7rocprim17ROCPRIM_400000_NS6detail17trampoline_kernelINS0_14default_configENS1_21merge_config_selectorIdNS0_10empty_typeEEEZNS1_10merge_implIS3_N6thrust23THRUST_200600_302600_NS6detail15normal_iteratorINS9_10device_ptrIKdEEEESF_NSB_INSC_IdEEEEPS5_SI_SI_NS9_4lessIdEEEE10hipError_tPvRmT0_T1_T2_T3_T4_T5_mmT6_P12ihipStream_tbEUlT_E0_NS1_11comp_targetILNS1_3genE10ELNS1_11target_archE1201ELNS1_3gpuE5ELNS1_3repE0EEENS1_30default_config_static_selectorELNS0_4arch9wavefront6targetE1EEEvSP_,"axG",@progbits,_ZN7rocprim17ROCPRIM_400000_NS6detail17trampoline_kernelINS0_14default_configENS1_21merge_config_selectorIdNS0_10empty_typeEEEZNS1_10merge_implIS3_N6thrust23THRUST_200600_302600_NS6detail15normal_iteratorINS9_10device_ptrIKdEEEESF_NSB_INSC_IdEEEEPS5_SI_SI_NS9_4lessIdEEEE10hipError_tPvRmT0_T1_T2_T3_T4_T5_mmT6_P12ihipStream_tbEUlT_E0_NS1_11comp_targetILNS1_3genE10ELNS1_11target_archE1201ELNS1_3gpuE5ELNS1_3repE0EEENS1_30default_config_static_selectorELNS0_4arch9wavefront6targetE1EEEvSP_,comdat
	.protected	_ZN7rocprim17ROCPRIM_400000_NS6detail17trampoline_kernelINS0_14default_configENS1_21merge_config_selectorIdNS0_10empty_typeEEEZNS1_10merge_implIS3_N6thrust23THRUST_200600_302600_NS6detail15normal_iteratorINS9_10device_ptrIKdEEEESF_NSB_INSC_IdEEEEPS5_SI_SI_NS9_4lessIdEEEE10hipError_tPvRmT0_T1_T2_T3_T4_T5_mmT6_P12ihipStream_tbEUlT_E0_NS1_11comp_targetILNS1_3genE10ELNS1_11target_archE1201ELNS1_3gpuE5ELNS1_3repE0EEENS1_30default_config_static_selectorELNS0_4arch9wavefront6targetE1EEEvSP_ ; -- Begin function _ZN7rocprim17ROCPRIM_400000_NS6detail17trampoline_kernelINS0_14default_configENS1_21merge_config_selectorIdNS0_10empty_typeEEEZNS1_10merge_implIS3_N6thrust23THRUST_200600_302600_NS6detail15normal_iteratorINS9_10device_ptrIKdEEEESF_NSB_INSC_IdEEEEPS5_SI_SI_NS9_4lessIdEEEE10hipError_tPvRmT0_T1_T2_T3_T4_T5_mmT6_P12ihipStream_tbEUlT_E0_NS1_11comp_targetILNS1_3genE10ELNS1_11target_archE1201ELNS1_3gpuE5ELNS1_3repE0EEENS1_30default_config_static_selectorELNS0_4arch9wavefront6targetE1EEEvSP_
	.globl	_ZN7rocprim17ROCPRIM_400000_NS6detail17trampoline_kernelINS0_14default_configENS1_21merge_config_selectorIdNS0_10empty_typeEEEZNS1_10merge_implIS3_N6thrust23THRUST_200600_302600_NS6detail15normal_iteratorINS9_10device_ptrIKdEEEESF_NSB_INSC_IdEEEEPS5_SI_SI_NS9_4lessIdEEEE10hipError_tPvRmT0_T1_T2_T3_T4_T5_mmT6_P12ihipStream_tbEUlT_E0_NS1_11comp_targetILNS1_3genE10ELNS1_11target_archE1201ELNS1_3gpuE5ELNS1_3repE0EEENS1_30default_config_static_selectorELNS0_4arch9wavefront6targetE1EEEvSP_
	.p2align	8
	.type	_ZN7rocprim17ROCPRIM_400000_NS6detail17trampoline_kernelINS0_14default_configENS1_21merge_config_selectorIdNS0_10empty_typeEEEZNS1_10merge_implIS3_N6thrust23THRUST_200600_302600_NS6detail15normal_iteratorINS9_10device_ptrIKdEEEESF_NSB_INSC_IdEEEEPS5_SI_SI_NS9_4lessIdEEEE10hipError_tPvRmT0_T1_T2_T3_T4_T5_mmT6_P12ihipStream_tbEUlT_E0_NS1_11comp_targetILNS1_3genE10ELNS1_11target_archE1201ELNS1_3gpuE5ELNS1_3repE0EEENS1_30default_config_static_selectorELNS0_4arch9wavefront6targetE1EEEvSP_,@function
_ZN7rocprim17ROCPRIM_400000_NS6detail17trampoline_kernelINS0_14default_configENS1_21merge_config_selectorIdNS0_10empty_typeEEEZNS1_10merge_implIS3_N6thrust23THRUST_200600_302600_NS6detail15normal_iteratorINS9_10device_ptrIKdEEEESF_NSB_INSC_IdEEEEPS5_SI_SI_NS9_4lessIdEEEE10hipError_tPvRmT0_T1_T2_T3_T4_T5_mmT6_P12ihipStream_tbEUlT_E0_NS1_11comp_targetILNS1_3genE10ELNS1_11target_archE1201ELNS1_3gpuE5ELNS1_3repE0EEENS1_30default_config_static_selectorELNS0_4arch9wavefront6targetE1EEEvSP_: ; @_ZN7rocprim17ROCPRIM_400000_NS6detail17trampoline_kernelINS0_14default_configENS1_21merge_config_selectorIdNS0_10empty_typeEEEZNS1_10merge_implIS3_N6thrust23THRUST_200600_302600_NS6detail15normal_iteratorINS9_10device_ptrIKdEEEESF_NSB_INSC_IdEEEEPS5_SI_SI_NS9_4lessIdEEEE10hipError_tPvRmT0_T1_T2_T3_T4_T5_mmT6_P12ihipStream_tbEUlT_E0_NS1_11comp_targetILNS1_3genE10ELNS1_11target_archE1201ELNS1_3gpuE5ELNS1_3repE0EEENS1_30default_config_static_selectorELNS0_4arch9wavefront6targetE1EEEvSP_
; %bb.0:
	.section	.rodata,"a",@progbits
	.p2align	6, 0x0
	.amdhsa_kernel _ZN7rocprim17ROCPRIM_400000_NS6detail17trampoline_kernelINS0_14default_configENS1_21merge_config_selectorIdNS0_10empty_typeEEEZNS1_10merge_implIS3_N6thrust23THRUST_200600_302600_NS6detail15normal_iteratorINS9_10device_ptrIKdEEEESF_NSB_INSC_IdEEEEPS5_SI_SI_NS9_4lessIdEEEE10hipError_tPvRmT0_T1_T2_T3_T4_T5_mmT6_P12ihipStream_tbEUlT_E0_NS1_11comp_targetILNS1_3genE10ELNS1_11target_archE1201ELNS1_3gpuE5ELNS1_3repE0EEENS1_30default_config_static_selectorELNS0_4arch9wavefront6targetE1EEEvSP_
		.amdhsa_group_segment_fixed_size 0
		.amdhsa_private_segment_fixed_size 0
		.amdhsa_kernarg_size 88
		.amdhsa_user_sgpr_count 6
		.amdhsa_user_sgpr_private_segment_buffer 1
		.amdhsa_user_sgpr_dispatch_ptr 0
		.amdhsa_user_sgpr_queue_ptr 0
		.amdhsa_user_sgpr_kernarg_segment_ptr 1
		.amdhsa_user_sgpr_dispatch_id 0
		.amdhsa_user_sgpr_flat_scratch_init 0
		.amdhsa_user_sgpr_kernarg_preload_length 0
		.amdhsa_user_sgpr_kernarg_preload_offset 0
		.amdhsa_user_sgpr_private_segment_size 0
		.amdhsa_uses_dynamic_stack 0
		.amdhsa_system_sgpr_private_segment_wavefront_offset 0
		.amdhsa_system_sgpr_workgroup_id_x 1
		.amdhsa_system_sgpr_workgroup_id_y 0
		.amdhsa_system_sgpr_workgroup_id_z 0
		.amdhsa_system_sgpr_workgroup_info 0
		.amdhsa_system_vgpr_workitem_id 0
		.amdhsa_next_free_vgpr 1
		.amdhsa_next_free_sgpr 0
		.amdhsa_accum_offset 4
		.amdhsa_reserve_vcc 0
		.amdhsa_reserve_flat_scratch 0
		.amdhsa_float_round_mode_32 0
		.amdhsa_float_round_mode_16_64 0
		.amdhsa_float_denorm_mode_32 3
		.amdhsa_float_denorm_mode_16_64 3
		.amdhsa_dx10_clamp 1
		.amdhsa_ieee_mode 1
		.amdhsa_fp16_overflow 0
		.amdhsa_tg_split 0
		.amdhsa_exception_fp_ieee_invalid_op 0
		.amdhsa_exception_fp_denorm_src 0
		.amdhsa_exception_fp_ieee_div_zero 0
		.amdhsa_exception_fp_ieee_overflow 0
		.amdhsa_exception_fp_ieee_underflow 0
		.amdhsa_exception_fp_ieee_inexact 0
		.amdhsa_exception_int_div_zero 0
	.end_amdhsa_kernel
	.section	.text._ZN7rocprim17ROCPRIM_400000_NS6detail17trampoline_kernelINS0_14default_configENS1_21merge_config_selectorIdNS0_10empty_typeEEEZNS1_10merge_implIS3_N6thrust23THRUST_200600_302600_NS6detail15normal_iteratorINS9_10device_ptrIKdEEEESF_NSB_INSC_IdEEEEPS5_SI_SI_NS9_4lessIdEEEE10hipError_tPvRmT0_T1_T2_T3_T4_T5_mmT6_P12ihipStream_tbEUlT_E0_NS1_11comp_targetILNS1_3genE10ELNS1_11target_archE1201ELNS1_3gpuE5ELNS1_3repE0EEENS1_30default_config_static_selectorELNS0_4arch9wavefront6targetE1EEEvSP_,"axG",@progbits,_ZN7rocprim17ROCPRIM_400000_NS6detail17trampoline_kernelINS0_14default_configENS1_21merge_config_selectorIdNS0_10empty_typeEEEZNS1_10merge_implIS3_N6thrust23THRUST_200600_302600_NS6detail15normal_iteratorINS9_10device_ptrIKdEEEESF_NSB_INSC_IdEEEEPS5_SI_SI_NS9_4lessIdEEEE10hipError_tPvRmT0_T1_T2_T3_T4_T5_mmT6_P12ihipStream_tbEUlT_E0_NS1_11comp_targetILNS1_3genE10ELNS1_11target_archE1201ELNS1_3gpuE5ELNS1_3repE0EEENS1_30default_config_static_selectorELNS0_4arch9wavefront6targetE1EEEvSP_,comdat
.Lfunc_end15:
	.size	_ZN7rocprim17ROCPRIM_400000_NS6detail17trampoline_kernelINS0_14default_configENS1_21merge_config_selectorIdNS0_10empty_typeEEEZNS1_10merge_implIS3_N6thrust23THRUST_200600_302600_NS6detail15normal_iteratorINS9_10device_ptrIKdEEEESF_NSB_INSC_IdEEEEPS5_SI_SI_NS9_4lessIdEEEE10hipError_tPvRmT0_T1_T2_T3_T4_T5_mmT6_P12ihipStream_tbEUlT_E0_NS1_11comp_targetILNS1_3genE10ELNS1_11target_archE1201ELNS1_3gpuE5ELNS1_3repE0EEENS1_30default_config_static_selectorELNS0_4arch9wavefront6targetE1EEEvSP_, .Lfunc_end15-_ZN7rocprim17ROCPRIM_400000_NS6detail17trampoline_kernelINS0_14default_configENS1_21merge_config_selectorIdNS0_10empty_typeEEEZNS1_10merge_implIS3_N6thrust23THRUST_200600_302600_NS6detail15normal_iteratorINS9_10device_ptrIKdEEEESF_NSB_INSC_IdEEEEPS5_SI_SI_NS9_4lessIdEEEE10hipError_tPvRmT0_T1_T2_T3_T4_T5_mmT6_P12ihipStream_tbEUlT_E0_NS1_11comp_targetILNS1_3genE10ELNS1_11target_archE1201ELNS1_3gpuE5ELNS1_3repE0EEENS1_30default_config_static_selectorELNS0_4arch9wavefront6targetE1EEEvSP_
                                        ; -- End function
	.section	.AMDGPU.csdata,"",@progbits
; Kernel info:
; codeLenInByte = 0
; NumSgprs: 4
; NumVgprs: 0
; NumAgprs: 0
; TotalNumVgprs: 0
; ScratchSize: 0
; MemoryBound: 0
; FloatMode: 240
; IeeeMode: 1
; LDSByteSize: 0 bytes/workgroup (compile time only)
; SGPRBlocks: 0
; VGPRBlocks: 0
; NumSGPRsForWavesPerEU: 4
; NumVGPRsForWavesPerEU: 1
; AccumOffset: 4
; Occupancy: 8
; WaveLimiterHint : 0
; COMPUTE_PGM_RSRC2:SCRATCH_EN: 0
; COMPUTE_PGM_RSRC2:USER_SGPR: 6
; COMPUTE_PGM_RSRC2:TRAP_HANDLER: 0
; COMPUTE_PGM_RSRC2:TGID_X_EN: 1
; COMPUTE_PGM_RSRC2:TGID_Y_EN: 0
; COMPUTE_PGM_RSRC2:TGID_Z_EN: 0
; COMPUTE_PGM_RSRC2:TIDIG_COMP_CNT: 0
; COMPUTE_PGM_RSRC3_GFX90A:ACCUM_OFFSET: 0
; COMPUTE_PGM_RSRC3_GFX90A:TG_SPLIT: 0
	.section	.text._ZN7rocprim17ROCPRIM_400000_NS6detail17trampoline_kernelINS0_14default_configENS1_21merge_config_selectorIdNS0_10empty_typeEEEZNS1_10merge_implIS3_N6thrust23THRUST_200600_302600_NS6detail15normal_iteratorINS9_10device_ptrIKdEEEESF_NSB_INSC_IdEEEEPS5_SI_SI_NS9_4lessIdEEEE10hipError_tPvRmT0_T1_T2_T3_T4_T5_mmT6_P12ihipStream_tbEUlT_E0_NS1_11comp_targetILNS1_3genE10ELNS1_11target_archE1200ELNS1_3gpuE4ELNS1_3repE0EEENS1_30default_config_static_selectorELNS0_4arch9wavefront6targetE1EEEvSP_,"axG",@progbits,_ZN7rocprim17ROCPRIM_400000_NS6detail17trampoline_kernelINS0_14default_configENS1_21merge_config_selectorIdNS0_10empty_typeEEEZNS1_10merge_implIS3_N6thrust23THRUST_200600_302600_NS6detail15normal_iteratorINS9_10device_ptrIKdEEEESF_NSB_INSC_IdEEEEPS5_SI_SI_NS9_4lessIdEEEE10hipError_tPvRmT0_T1_T2_T3_T4_T5_mmT6_P12ihipStream_tbEUlT_E0_NS1_11comp_targetILNS1_3genE10ELNS1_11target_archE1200ELNS1_3gpuE4ELNS1_3repE0EEENS1_30default_config_static_selectorELNS0_4arch9wavefront6targetE1EEEvSP_,comdat
	.protected	_ZN7rocprim17ROCPRIM_400000_NS6detail17trampoline_kernelINS0_14default_configENS1_21merge_config_selectorIdNS0_10empty_typeEEEZNS1_10merge_implIS3_N6thrust23THRUST_200600_302600_NS6detail15normal_iteratorINS9_10device_ptrIKdEEEESF_NSB_INSC_IdEEEEPS5_SI_SI_NS9_4lessIdEEEE10hipError_tPvRmT0_T1_T2_T3_T4_T5_mmT6_P12ihipStream_tbEUlT_E0_NS1_11comp_targetILNS1_3genE10ELNS1_11target_archE1200ELNS1_3gpuE4ELNS1_3repE0EEENS1_30default_config_static_selectorELNS0_4arch9wavefront6targetE1EEEvSP_ ; -- Begin function _ZN7rocprim17ROCPRIM_400000_NS6detail17trampoline_kernelINS0_14default_configENS1_21merge_config_selectorIdNS0_10empty_typeEEEZNS1_10merge_implIS3_N6thrust23THRUST_200600_302600_NS6detail15normal_iteratorINS9_10device_ptrIKdEEEESF_NSB_INSC_IdEEEEPS5_SI_SI_NS9_4lessIdEEEE10hipError_tPvRmT0_T1_T2_T3_T4_T5_mmT6_P12ihipStream_tbEUlT_E0_NS1_11comp_targetILNS1_3genE10ELNS1_11target_archE1200ELNS1_3gpuE4ELNS1_3repE0EEENS1_30default_config_static_selectorELNS0_4arch9wavefront6targetE1EEEvSP_
	.globl	_ZN7rocprim17ROCPRIM_400000_NS6detail17trampoline_kernelINS0_14default_configENS1_21merge_config_selectorIdNS0_10empty_typeEEEZNS1_10merge_implIS3_N6thrust23THRUST_200600_302600_NS6detail15normal_iteratorINS9_10device_ptrIKdEEEESF_NSB_INSC_IdEEEEPS5_SI_SI_NS9_4lessIdEEEE10hipError_tPvRmT0_T1_T2_T3_T4_T5_mmT6_P12ihipStream_tbEUlT_E0_NS1_11comp_targetILNS1_3genE10ELNS1_11target_archE1200ELNS1_3gpuE4ELNS1_3repE0EEENS1_30default_config_static_selectorELNS0_4arch9wavefront6targetE1EEEvSP_
	.p2align	8
	.type	_ZN7rocprim17ROCPRIM_400000_NS6detail17trampoline_kernelINS0_14default_configENS1_21merge_config_selectorIdNS0_10empty_typeEEEZNS1_10merge_implIS3_N6thrust23THRUST_200600_302600_NS6detail15normal_iteratorINS9_10device_ptrIKdEEEESF_NSB_INSC_IdEEEEPS5_SI_SI_NS9_4lessIdEEEE10hipError_tPvRmT0_T1_T2_T3_T4_T5_mmT6_P12ihipStream_tbEUlT_E0_NS1_11comp_targetILNS1_3genE10ELNS1_11target_archE1200ELNS1_3gpuE4ELNS1_3repE0EEENS1_30default_config_static_selectorELNS0_4arch9wavefront6targetE1EEEvSP_,@function
_ZN7rocprim17ROCPRIM_400000_NS6detail17trampoline_kernelINS0_14default_configENS1_21merge_config_selectorIdNS0_10empty_typeEEEZNS1_10merge_implIS3_N6thrust23THRUST_200600_302600_NS6detail15normal_iteratorINS9_10device_ptrIKdEEEESF_NSB_INSC_IdEEEEPS5_SI_SI_NS9_4lessIdEEEE10hipError_tPvRmT0_T1_T2_T3_T4_T5_mmT6_P12ihipStream_tbEUlT_E0_NS1_11comp_targetILNS1_3genE10ELNS1_11target_archE1200ELNS1_3gpuE4ELNS1_3repE0EEENS1_30default_config_static_selectorELNS0_4arch9wavefront6targetE1EEEvSP_: ; @_ZN7rocprim17ROCPRIM_400000_NS6detail17trampoline_kernelINS0_14default_configENS1_21merge_config_selectorIdNS0_10empty_typeEEEZNS1_10merge_implIS3_N6thrust23THRUST_200600_302600_NS6detail15normal_iteratorINS9_10device_ptrIKdEEEESF_NSB_INSC_IdEEEEPS5_SI_SI_NS9_4lessIdEEEE10hipError_tPvRmT0_T1_T2_T3_T4_T5_mmT6_P12ihipStream_tbEUlT_E0_NS1_11comp_targetILNS1_3genE10ELNS1_11target_archE1200ELNS1_3gpuE4ELNS1_3repE0EEENS1_30default_config_static_selectorELNS0_4arch9wavefront6targetE1EEEvSP_
; %bb.0:
	.section	.rodata,"a",@progbits
	.p2align	6, 0x0
	.amdhsa_kernel _ZN7rocprim17ROCPRIM_400000_NS6detail17trampoline_kernelINS0_14default_configENS1_21merge_config_selectorIdNS0_10empty_typeEEEZNS1_10merge_implIS3_N6thrust23THRUST_200600_302600_NS6detail15normal_iteratorINS9_10device_ptrIKdEEEESF_NSB_INSC_IdEEEEPS5_SI_SI_NS9_4lessIdEEEE10hipError_tPvRmT0_T1_T2_T3_T4_T5_mmT6_P12ihipStream_tbEUlT_E0_NS1_11comp_targetILNS1_3genE10ELNS1_11target_archE1200ELNS1_3gpuE4ELNS1_3repE0EEENS1_30default_config_static_selectorELNS0_4arch9wavefront6targetE1EEEvSP_
		.amdhsa_group_segment_fixed_size 0
		.amdhsa_private_segment_fixed_size 0
		.amdhsa_kernarg_size 88
		.amdhsa_user_sgpr_count 6
		.amdhsa_user_sgpr_private_segment_buffer 1
		.amdhsa_user_sgpr_dispatch_ptr 0
		.amdhsa_user_sgpr_queue_ptr 0
		.amdhsa_user_sgpr_kernarg_segment_ptr 1
		.amdhsa_user_sgpr_dispatch_id 0
		.amdhsa_user_sgpr_flat_scratch_init 0
		.amdhsa_user_sgpr_kernarg_preload_length 0
		.amdhsa_user_sgpr_kernarg_preload_offset 0
		.amdhsa_user_sgpr_private_segment_size 0
		.amdhsa_uses_dynamic_stack 0
		.amdhsa_system_sgpr_private_segment_wavefront_offset 0
		.amdhsa_system_sgpr_workgroup_id_x 1
		.amdhsa_system_sgpr_workgroup_id_y 0
		.amdhsa_system_sgpr_workgroup_id_z 0
		.amdhsa_system_sgpr_workgroup_info 0
		.amdhsa_system_vgpr_workitem_id 0
		.amdhsa_next_free_vgpr 1
		.amdhsa_next_free_sgpr 0
		.amdhsa_accum_offset 4
		.amdhsa_reserve_vcc 0
		.amdhsa_reserve_flat_scratch 0
		.amdhsa_float_round_mode_32 0
		.amdhsa_float_round_mode_16_64 0
		.amdhsa_float_denorm_mode_32 3
		.amdhsa_float_denorm_mode_16_64 3
		.amdhsa_dx10_clamp 1
		.amdhsa_ieee_mode 1
		.amdhsa_fp16_overflow 0
		.amdhsa_tg_split 0
		.amdhsa_exception_fp_ieee_invalid_op 0
		.amdhsa_exception_fp_denorm_src 0
		.amdhsa_exception_fp_ieee_div_zero 0
		.amdhsa_exception_fp_ieee_overflow 0
		.amdhsa_exception_fp_ieee_underflow 0
		.amdhsa_exception_fp_ieee_inexact 0
		.amdhsa_exception_int_div_zero 0
	.end_amdhsa_kernel
	.section	.text._ZN7rocprim17ROCPRIM_400000_NS6detail17trampoline_kernelINS0_14default_configENS1_21merge_config_selectorIdNS0_10empty_typeEEEZNS1_10merge_implIS3_N6thrust23THRUST_200600_302600_NS6detail15normal_iteratorINS9_10device_ptrIKdEEEESF_NSB_INSC_IdEEEEPS5_SI_SI_NS9_4lessIdEEEE10hipError_tPvRmT0_T1_T2_T3_T4_T5_mmT6_P12ihipStream_tbEUlT_E0_NS1_11comp_targetILNS1_3genE10ELNS1_11target_archE1200ELNS1_3gpuE4ELNS1_3repE0EEENS1_30default_config_static_selectorELNS0_4arch9wavefront6targetE1EEEvSP_,"axG",@progbits,_ZN7rocprim17ROCPRIM_400000_NS6detail17trampoline_kernelINS0_14default_configENS1_21merge_config_selectorIdNS0_10empty_typeEEEZNS1_10merge_implIS3_N6thrust23THRUST_200600_302600_NS6detail15normal_iteratorINS9_10device_ptrIKdEEEESF_NSB_INSC_IdEEEEPS5_SI_SI_NS9_4lessIdEEEE10hipError_tPvRmT0_T1_T2_T3_T4_T5_mmT6_P12ihipStream_tbEUlT_E0_NS1_11comp_targetILNS1_3genE10ELNS1_11target_archE1200ELNS1_3gpuE4ELNS1_3repE0EEENS1_30default_config_static_selectorELNS0_4arch9wavefront6targetE1EEEvSP_,comdat
.Lfunc_end16:
	.size	_ZN7rocprim17ROCPRIM_400000_NS6detail17trampoline_kernelINS0_14default_configENS1_21merge_config_selectorIdNS0_10empty_typeEEEZNS1_10merge_implIS3_N6thrust23THRUST_200600_302600_NS6detail15normal_iteratorINS9_10device_ptrIKdEEEESF_NSB_INSC_IdEEEEPS5_SI_SI_NS9_4lessIdEEEE10hipError_tPvRmT0_T1_T2_T3_T4_T5_mmT6_P12ihipStream_tbEUlT_E0_NS1_11comp_targetILNS1_3genE10ELNS1_11target_archE1200ELNS1_3gpuE4ELNS1_3repE0EEENS1_30default_config_static_selectorELNS0_4arch9wavefront6targetE1EEEvSP_, .Lfunc_end16-_ZN7rocprim17ROCPRIM_400000_NS6detail17trampoline_kernelINS0_14default_configENS1_21merge_config_selectorIdNS0_10empty_typeEEEZNS1_10merge_implIS3_N6thrust23THRUST_200600_302600_NS6detail15normal_iteratorINS9_10device_ptrIKdEEEESF_NSB_INSC_IdEEEEPS5_SI_SI_NS9_4lessIdEEEE10hipError_tPvRmT0_T1_T2_T3_T4_T5_mmT6_P12ihipStream_tbEUlT_E0_NS1_11comp_targetILNS1_3genE10ELNS1_11target_archE1200ELNS1_3gpuE4ELNS1_3repE0EEENS1_30default_config_static_selectorELNS0_4arch9wavefront6targetE1EEEvSP_
                                        ; -- End function
	.section	.AMDGPU.csdata,"",@progbits
; Kernel info:
; codeLenInByte = 0
; NumSgprs: 4
; NumVgprs: 0
; NumAgprs: 0
; TotalNumVgprs: 0
; ScratchSize: 0
; MemoryBound: 0
; FloatMode: 240
; IeeeMode: 1
; LDSByteSize: 0 bytes/workgroup (compile time only)
; SGPRBlocks: 0
; VGPRBlocks: 0
; NumSGPRsForWavesPerEU: 4
; NumVGPRsForWavesPerEU: 1
; AccumOffset: 4
; Occupancy: 8
; WaveLimiterHint : 0
; COMPUTE_PGM_RSRC2:SCRATCH_EN: 0
; COMPUTE_PGM_RSRC2:USER_SGPR: 6
; COMPUTE_PGM_RSRC2:TRAP_HANDLER: 0
; COMPUTE_PGM_RSRC2:TGID_X_EN: 1
; COMPUTE_PGM_RSRC2:TGID_Y_EN: 0
; COMPUTE_PGM_RSRC2:TGID_Z_EN: 0
; COMPUTE_PGM_RSRC2:TIDIG_COMP_CNT: 0
; COMPUTE_PGM_RSRC3_GFX90A:ACCUM_OFFSET: 0
; COMPUTE_PGM_RSRC3_GFX90A:TG_SPLIT: 0
	.section	.text._ZN7rocprim17ROCPRIM_400000_NS6detail17trampoline_kernelINS0_14default_configENS1_21merge_config_selectorIdNS0_10empty_typeEEEZNS1_10merge_implIS3_N6thrust23THRUST_200600_302600_NS6detail15normal_iteratorINS9_10device_ptrIKdEEEESF_NSB_INSC_IdEEEEPS5_SI_SI_NS9_4lessIdEEEE10hipError_tPvRmT0_T1_T2_T3_T4_T5_mmT6_P12ihipStream_tbEUlT_E0_NS1_11comp_targetILNS1_3genE9ELNS1_11target_archE1100ELNS1_3gpuE3ELNS1_3repE0EEENS1_30default_config_static_selectorELNS0_4arch9wavefront6targetE1EEEvSP_,"axG",@progbits,_ZN7rocprim17ROCPRIM_400000_NS6detail17trampoline_kernelINS0_14default_configENS1_21merge_config_selectorIdNS0_10empty_typeEEEZNS1_10merge_implIS3_N6thrust23THRUST_200600_302600_NS6detail15normal_iteratorINS9_10device_ptrIKdEEEESF_NSB_INSC_IdEEEEPS5_SI_SI_NS9_4lessIdEEEE10hipError_tPvRmT0_T1_T2_T3_T4_T5_mmT6_P12ihipStream_tbEUlT_E0_NS1_11comp_targetILNS1_3genE9ELNS1_11target_archE1100ELNS1_3gpuE3ELNS1_3repE0EEENS1_30default_config_static_selectorELNS0_4arch9wavefront6targetE1EEEvSP_,comdat
	.protected	_ZN7rocprim17ROCPRIM_400000_NS6detail17trampoline_kernelINS0_14default_configENS1_21merge_config_selectorIdNS0_10empty_typeEEEZNS1_10merge_implIS3_N6thrust23THRUST_200600_302600_NS6detail15normal_iteratorINS9_10device_ptrIKdEEEESF_NSB_INSC_IdEEEEPS5_SI_SI_NS9_4lessIdEEEE10hipError_tPvRmT0_T1_T2_T3_T4_T5_mmT6_P12ihipStream_tbEUlT_E0_NS1_11comp_targetILNS1_3genE9ELNS1_11target_archE1100ELNS1_3gpuE3ELNS1_3repE0EEENS1_30default_config_static_selectorELNS0_4arch9wavefront6targetE1EEEvSP_ ; -- Begin function _ZN7rocprim17ROCPRIM_400000_NS6detail17trampoline_kernelINS0_14default_configENS1_21merge_config_selectorIdNS0_10empty_typeEEEZNS1_10merge_implIS3_N6thrust23THRUST_200600_302600_NS6detail15normal_iteratorINS9_10device_ptrIKdEEEESF_NSB_INSC_IdEEEEPS5_SI_SI_NS9_4lessIdEEEE10hipError_tPvRmT0_T1_T2_T3_T4_T5_mmT6_P12ihipStream_tbEUlT_E0_NS1_11comp_targetILNS1_3genE9ELNS1_11target_archE1100ELNS1_3gpuE3ELNS1_3repE0EEENS1_30default_config_static_selectorELNS0_4arch9wavefront6targetE1EEEvSP_
	.globl	_ZN7rocprim17ROCPRIM_400000_NS6detail17trampoline_kernelINS0_14default_configENS1_21merge_config_selectorIdNS0_10empty_typeEEEZNS1_10merge_implIS3_N6thrust23THRUST_200600_302600_NS6detail15normal_iteratorINS9_10device_ptrIKdEEEESF_NSB_INSC_IdEEEEPS5_SI_SI_NS9_4lessIdEEEE10hipError_tPvRmT0_T1_T2_T3_T4_T5_mmT6_P12ihipStream_tbEUlT_E0_NS1_11comp_targetILNS1_3genE9ELNS1_11target_archE1100ELNS1_3gpuE3ELNS1_3repE0EEENS1_30default_config_static_selectorELNS0_4arch9wavefront6targetE1EEEvSP_
	.p2align	8
	.type	_ZN7rocprim17ROCPRIM_400000_NS6detail17trampoline_kernelINS0_14default_configENS1_21merge_config_selectorIdNS0_10empty_typeEEEZNS1_10merge_implIS3_N6thrust23THRUST_200600_302600_NS6detail15normal_iteratorINS9_10device_ptrIKdEEEESF_NSB_INSC_IdEEEEPS5_SI_SI_NS9_4lessIdEEEE10hipError_tPvRmT0_T1_T2_T3_T4_T5_mmT6_P12ihipStream_tbEUlT_E0_NS1_11comp_targetILNS1_3genE9ELNS1_11target_archE1100ELNS1_3gpuE3ELNS1_3repE0EEENS1_30default_config_static_selectorELNS0_4arch9wavefront6targetE1EEEvSP_,@function
_ZN7rocprim17ROCPRIM_400000_NS6detail17trampoline_kernelINS0_14default_configENS1_21merge_config_selectorIdNS0_10empty_typeEEEZNS1_10merge_implIS3_N6thrust23THRUST_200600_302600_NS6detail15normal_iteratorINS9_10device_ptrIKdEEEESF_NSB_INSC_IdEEEEPS5_SI_SI_NS9_4lessIdEEEE10hipError_tPvRmT0_T1_T2_T3_T4_T5_mmT6_P12ihipStream_tbEUlT_E0_NS1_11comp_targetILNS1_3genE9ELNS1_11target_archE1100ELNS1_3gpuE3ELNS1_3repE0EEENS1_30default_config_static_selectorELNS0_4arch9wavefront6targetE1EEEvSP_: ; @_ZN7rocprim17ROCPRIM_400000_NS6detail17trampoline_kernelINS0_14default_configENS1_21merge_config_selectorIdNS0_10empty_typeEEEZNS1_10merge_implIS3_N6thrust23THRUST_200600_302600_NS6detail15normal_iteratorINS9_10device_ptrIKdEEEESF_NSB_INSC_IdEEEEPS5_SI_SI_NS9_4lessIdEEEE10hipError_tPvRmT0_T1_T2_T3_T4_T5_mmT6_P12ihipStream_tbEUlT_E0_NS1_11comp_targetILNS1_3genE9ELNS1_11target_archE1100ELNS1_3gpuE3ELNS1_3repE0EEENS1_30default_config_static_selectorELNS0_4arch9wavefront6targetE1EEEvSP_
; %bb.0:
	.section	.rodata,"a",@progbits
	.p2align	6, 0x0
	.amdhsa_kernel _ZN7rocprim17ROCPRIM_400000_NS6detail17trampoline_kernelINS0_14default_configENS1_21merge_config_selectorIdNS0_10empty_typeEEEZNS1_10merge_implIS3_N6thrust23THRUST_200600_302600_NS6detail15normal_iteratorINS9_10device_ptrIKdEEEESF_NSB_INSC_IdEEEEPS5_SI_SI_NS9_4lessIdEEEE10hipError_tPvRmT0_T1_T2_T3_T4_T5_mmT6_P12ihipStream_tbEUlT_E0_NS1_11comp_targetILNS1_3genE9ELNS1_11target_archE1100ELNS1_3gpuE3ELNS1_3repE0EEENS1_30default_config_static_selectorELNS0_4arch9wavefront6targetE1EEEvSP_
		.amdhsa_group_segment_fixed_size 0
		.amdhsa_private_segment_fixed_size 0
		.amdhsa_kernarg_size 88
		.amdhsa_user_sgpr_count 6
		.amdhsa_user_sgpr_private_segment_buffer 1
		.amdhsa_user_sgpr_dispatch_ptr 0
		.amdhsa_user_sgpr_queue_ptr 0
		.amdhsa_user_sgpr_kernarg_segment_ptr 1
		.amdhsa_user_sgpr_dispatch_id 0
		.amdhsa_user_sgpr_flat_scratch_init 0
		.amdhsa_user_sgpr_kernarg_preload_length 0
		.amdhsa_user_sgpr_kernarg_preload_offset 0
		.amdhsa_user_sgpr_private_segment_size 0
		.amdhsa_uses_dynamic_stack 0
		.amdhsa_system_sgpr_private_segment_wavefront_offset 0
		.amdhsa_system_sgpr_workgroup_id_x 1
		.amdhsa_system_sgpr_workgroup_id_y 0
		.amdhsa_system_sgpr_workgroup_id_z 0
		.amdhsa_system_sgpr_workgroup_info 0
		.amdhsa_system_vgpr_workitem_id 0
		.amdhsa_next_free_vgpr 1
		.amdhsa_next_free_sgpr 0
		.amdhsa_accum_offset 4
		.amdhsa_reserve_vcc 0
		.amdhsa_reserve_flat_scratch 0
		.amdhsa_float_round_mode_32 0
		.amdhsa_float_round_mode_16_64 0
		.amdhsa_float_denorm_mode_32 3
		.amdhsa_float_denorm_mode_16_64 3
		.amdhsa_dx10_clamp 1
		.amdhsa_ieee_mode 1
		.amdhsa_fp16_overflow 0
		.amdhsa_tg_split 0
		.amdhsa_exception_fp_ieee_invalid_op 0
		.amdhsa_exception_fp_denorm_src 0
		.amdhsa_exception_fp_ieee_div_zero 0
		.amdhsa_exception_fp_ieee_overflow 0
		.amdhsa_exception_fp_ieee_underflow 0
		.amdhsa_exception_fp_ieee_inexact 0
		.amdhsa_exception_int_div_zero 0
	.end_amdhsa_kernel
	.section	.text._ZN7rocprim17ROCPRIM_400000_NS6detail17trampoline_kernelINS0_14default_configENS1_21merge_config_selectorIdNS0_10empty_typeEEEZNS1_10merge_implIS3_N6thrust23THRUST_200600_302600_NS6detail15normal_iteratorINS9_10device_ptrIKdEEEESF_NSB_INSC_IdEEEEPS5_SI_SI_NS9_4lessIdEEEE10hipError_tPvRmT0_T1_T2_T3_T4_T5_mmT6_P12ihipStream_tbEUlT_E0_NS1_11comp_targetILNS1_3genE9ELNS1_11target_archE1100ELNS1_3gpuE3ELNS1_3repE0EEENS1_30default_config_static_selectorELNS0_4arch9wavefront6targetE1EEEvSP_,"axG",@progbits,_ZN7rocprim17ROCPRIM_400000_NS6detail17trampoline_kernelINS0_14default_configENS1_21merge_config_selectorIdNS0_10empty_typeEEEZNS1_10merge_implIS3_N6thrust23THRUST_200600_302600_NS6detail15normal_iteratorINS9_10device_ptrIKdEEEESF_NSB_INSC_IdEEEEPS5_SI_SI_NS9_4lessIdEEEE10hipError_tPvRmT0_T1_T2_T3_T4_T5_mmT6_P12ihipStream_tbEUlT_E0_NS1_11comp_targetILNS1_3genE9ELNS1_11target_archE1100ELNS1_3gpuE3ELNS1_3repE0EEENS1_30default_config_static_selectorELNS0_4arch9wavefront6targetE1EEEvSP_,comdat
.Lfunc_end17:
	.size	_ZN7rocprim17ROCPRIM_400000_NS6detail17trampoline_kernelINS0_14default_configENS1_21merge_config_selectorIdNS0_10empty_typeEEEZNS1_10merge_implIS3_N6thrust23THRUST_200600_302600_NS6detail15normal_iteratorINS9_10device_ptrIKdEEEESF_NSB_INSC_IdEEEEPS5_SI_SI_NS9_4lessIdEEEE10hipError_tPvRmT0_T1_T2_T3_T4_T5_mmT6_P12ihipStream_tbEUlT_E0_NS1_11comp_targetILNS1_3genE9ELNS1_11target_archE1100ELNS1_3gpuE3ELNS1_3repE0EEENS1_30default_config_static_selectorELNS0_4arch9wavefront6targetE1EEEvSP_, .Lfunc_end17-_ZN7rocprim17ROCPRIM_400000_NS6detail17trampoline_kernelINS0_14default_configENS1_21merge_config_selectorIdNS0_10empty_typeEEEZNS1_10merge_implIS3_N6thrust23THRUST_200600_302600_NS6detail15normal_iteratorINS9_10device_ptrIKdEEEESF_NSB_INSC_IdEEEEPS5_SI_SI_NS9_4lessIdEEEE10hipError_tPvRmT0_T1_T2_T3_T4_T5_mmT6_P12ihipStream_tbEUlT_E0_NS1_11comp_targetILNS1_3genE9ELNS1_11target_archE1100ELNS1_3gpuE3ELNS1_3repE0EEENS1_30default_config_static_selectorELNS0_4arch9wavefront6targetE1EEEvSP_
                                        ; -- End function
	.section	.AMDGPU.csdata,"",@progbits
; Kernel info:
; codeLenInByte = 0
; NumSgprs: 4
; NumVgprs: 0
; NumAgprs: 0
; TotalNumVgprs: 0
; ScratchSize: 0
; MemoryBound: 0
; FloatMode: 240
; IeeeMode: 1
; LDSByteSize: 0 bytes/workgroup (compile time only)
; SGPRBlocks: 0
; VGPRBlocks: 0
; NumSGPRsForWavesPerEU: 4
; NumVGPRsForWavesPerEU: 1
; AccumOffset: 4
; Occupancy: 8
; WaveLimiterHint : 0
; COMPUTE_PGM_RSRC2:SCRATCH_EN: 0
; COMPUTE_PGM_RSRC2:USER_SGPR: 6
; COMPUTE_PGM_RSRC2:TRAP_HANDLER: 0
; COMPUTE_PGM_RSRC2:TGID_X_EN: 1
; COMPUTE_PGM_RSRC2:TGID_Y_EN: 0
; COMPUTE_PGM_RSRC2:TGID_Z_EN: 0
; COMPUTE_PGM_RSRC2:TIDIG_COMP_CNT: 0
; COMPUTE_PGM_RSRC3_GFX90A:ACCUM_OFFSET: 0
; COMPUTE_PGM_RSRC3_GFX90A:TG_SPLIT: 0
	.section	.text._ZN7rocprim17ROCPRIM_400000_NS6detail17trampoline_kernelINS0_14default_configENS1_21merge_config_selectorIdNS0_10empty_typeEEEZNS1_10merge_implIS3_N6thrust23THRUST_200600_302600_NS6detail15normal_iteratorINS9_10device_ptrIKdEEEESF_NSB_INSC_IdEEEEPS5_SI_SI_NS9_4lessIdEEEE10hipError_tPvRmT0_T1_T2_T3_T4_T5_mmT6_P12ihipStream_tbEUlT_E0_NS1_11comp_targetILNS1_3genE8ELNS1_11target_archE1030ELNS1_3gpuE2ELNS1_3repE0EEENS1_30default_config_static_selectorELNS0_4arch9wavefront6targetE1EEEvSP_,"axG",@progbits,_ZN7rocprim17ROCPRIM_400000_NS6detail17trampoline_kernelINS0_14default_configENS1_21merge_config_selectorIdNS0_10empty_typeEEEZNS1_10merge_implIS3_N6thrust23THRUST_200600_302600_NS6detail15normal_iteratorINS9_10device_ptrIKdEEEESF_NSB_INSC_IdEEEEPS5_SI_SI_NS9_4lessIdEEEE10hipError_tPvRmT0_T1_T2_T3_T4_T5_mmT6_P12ihipStream_tbEUlT_E0_NS1_11comp_targetILNS1_3genE8ELNS1_11target_archE1030ELNS1_3gpuE2ELNS1_3repE0EEENS1_30default_config_static_selectorELNS0_4arch9wavefront6targetE1EEEvSP_,comdat
	.protected	_ZN7rocprim17ROCPRIM_400000_NS6detail17trampoline_kernelINS0_14default_configENS1_21merge_config_selectorIdNS0_10empty_typeEEEZNS1_10merge_implIS3_N6thrust23THRUST_200600_302600_NS6detail15normal_iteratorINS9_10device_ptrIKdEEEESF_NSB_INSC_IdEEEEPS5_SI_SI_NS9_4lessIdEEEE10hipError_tPvRmT0_T1_T2_T3_T4_T5_mmT6_P12ihipStream_tbEUlT_E0_NS1_11comp_targetILNS1_3genE8ELNS1_11target_archE1030ELNS1_3gpuE2ELNS1_3repE0EEENS1_30default_config_static_selectorELNS0_4arch9wavefront6targetE1EEEvSP_ ; -- Begin function _ZN7rocprim17ROCPRIM_400000_NS6detail17trampoline_kernelINS0_14default_configENS1_21merge_config_selectorIdNS0_10empty_typeEEEZNS1_10merge_implIS3_N6thrust23THRUST_200600_302600_NS6detail15normal_iteratorINS9_10device_ptrIKdEEEESF_NSB_INSC_IdEEEEPS5_SI_SI_NS9_4lessIdEEEE10hipError_tPvRmT0_T1_T2_T3_T4_T5_mmT6_P12ihipStream_tbEUlT_E0_NS1_11comp_targetILNS1_3genE8ELNS1_11target_archE1030ELNS1_3gpuE2ELNS1_3repE0EEENS1_30default_config_static_selectorELNS0_4arch9wavefront6targetE1EEEvSP_
	.globl	_ZN7rocprim17ROCPRIM_400000_NS6detail17trampoline_kernelINS0_14default_configENS1_21merge_config_selectorIdNS0_10empty_typeEEEZNS1_10merge_implIS3_N6thrust23THRUST_200600_302600_NS6detail15normal_iteratorINS9_10device_ptrIKdEEEESF_NSB_INSC_IdEEEEPS5_SI_SI_NS9_4lessIdEEEE10hipError_tPvRmT0_T1_T2_T3_T4_T5_mmT6_P12ihipStream_tbEUlT_E0_NS1_11comp_targetILNS1_3genE8ELNS1_11target_archE1030ELNS1_3gpuE2ELNS1_3repE0EEENS1_30default_config_static_selectorELNS0_4arch9wavefront6targetE1EEEvSP_
	.p2align	8
	.type	_ZN7rocprim17ROCPRIM_400000_NS6detail17trampoline_kernelINS0_14default_configENS1_21merge_config_selectorIdNS0_10empty_typeEEEZNS1_10merge_implIS3_N6thrust23THRUST_200600_302600_NS6detail15normal_iteratorINS9_10device_ptrIKdEEEESF_NSB_INSC_IdEEEEPS5_SI_SI_NS9_4lessIdEEEE10hipError_tPvRmT0_T1_T2_T3_T4_T5_mmT6_P12ihipStream_tbEUlT_E0_NS1_11comp_targetILNS1_3genE8ELNS1_11target_archE1030ELNS1_3gpuE2ELNS1_3repE0EEENS1_30default_config_static_selectorELNS0_4arch9wavefront6targetE1EEEvSP_,@function
_ZN7rocprim17ROCPRIM_400000_NS6detail17trampoline_kernelINS0_14default_configENS1_21merge_config_selectorIdNS0_10empty_typeEEEZNS1_10merge_implIS3_N6thrust23THRUST_200600_302600_NS6detail15normal_iteratorINS9_10device_ptrIKdEEEESF_NSB_INSC_IdEEEEPS5_SI_SI_NS9_4lessIdEEEE10hipError_tPvRmT0_T1_T2_T3_T4_T5_mmT6_P12ihipStream_tbEUlT_E0_NS1_11comp_targetILNS1_3genE8ELNS1_11target_archE1030ELNS1_3gpuE2ELNS1_3repE0EEENS1_30default_config_static_selectorELNS0_4arch9wavefront6targetE1EEEvSP_: ; @_ZN7rocprim17ROCPRIM_400000_NS6detail17trampoline_kernelINS0_14default_configENS1_21merge_config_selectorIdNS0_10empty_typeEEEZNS1_10merge_implIS3_N6thrust23THRUST_200600_302600_NS6detail15normal_iteratorINS9_10device_ptrIKdEEEESF_NSB_INSC_IdEEEEPS5_SI_SI_NS9_4lessIdEEEE10hipError_tPvRmT0_T1_T2_T3_T4_T5_mmT6_P12ihipStream_tbEUlT_E0_NS1_11comp_targetILNS1_3genE8ELNS1_11target_archE1030ELNS1_3gpuE2ELNS1_3repE0EEENS1_30default_config_static_selectorELNS0_4arch9wavefront6targetE1EEEvSP_
; %bb.0:
	.section	.rodata,"a",@progbits
	.p2align	6, 0x0
	.amdhsa_kernel _ZN7rocprim17ROCPRIM_400000_NS6detail17trampoline_kernelINS0_14default_configENS1_21merge_config_selectorIdNS0_10empty_typeEEEZNS1_10merge_implIS3_N6thrust23THRUST_200600_302600_NS6detail15normal_iteratorINS9_10device_ptrIKdEEEESF_NSB_INSC_IdEEEEPS5_SI_SI_NS9_4lessIdEEEE10hipError_tPvRmT0_T1_T2_T3_T4_T5_mmT6_P12ihipStream_tbEUlT_E0_NS1_11comp_targetILNS1_3genE8ELNS1_11target_archE1030ELNS1_3gpuE2ELNS1_3repE0EEENS1_30default_config_static_selectorELNS0_4arch9wavefront6targetE1EEEvSP_
		.amdhsa_group_segment_fixed_size 0
		.amdhsa_private_segment_fixed_size 0
		.amdhsa_kernarg_size 88
		.amdhsa_user_sgpr_count 6
		.amdhsa_user_sgpr_private_segment_buffer 1
		.amdhsa_user_sgpr_dispatch_ptr 0
		.amdhsa_user_sgpr_queue_ptr 0
		.amdhsa_user_sgpr_kernarg_segment_ptr 1
		.amdhsa_user_sgpr_dispatch_id 0
		.amdhsa_user_sgpr_flat_scratch_init 0
		.amdhsa_user_sgpr_kernarg_preload_length 0
		.amdhsa_user_sgpr_kernarg_preload_offset 0
		.amdhsa_user_sgpr_private_segment_size 0
		.amdhsa_uses_dynamic_stack 0
		.amdhsa_system_sgpr_private_segment_wavefront_offset 0
		.amdhsa_system_sgpr_workgroup_id_x 1
		.amdhsa_system_sgpr_workgroup_id_y 0
		.amdhsa_system_sgpr_workgroup_id_z 0
		.amdhsa_system_sgpr_workgroup_info 0
		.amdhsa_system_vgpr_workitem_id 0
		.amdhsa_next_free_vgpr 1
		.amdhsa_next_free_sgpr 0
		.amdhsa_accum_offset 4
		.amdhsa_reserve_vcc 0
		.amdhsa_reserve_flat_scratch 0
		.amdhsa_float_round_mode_32 0
		.amdhsa_float_round_mode_16_64 0
		.amdhsa_float_denorm_mode_32 3
		.amdhsa_float_denorm_mode_16_64 3
		.amdhsa_dx10_clamp 1
		.amdhsa_ieee_mode 1
		.amdhsa_fp16_overflow 0
		.amdhsa_tg_split 0
		.amdhsa_exception_fp_ieee_invalid_op 0
		.amdhsa_exception_fp_denorm_src 0
		.amdhsa_exception_fp_ieee_div_zero 0
		.amdhsa_exception_fp_ieee_overflow 0
		.amdhsa_exception_fp_ieee_underflow 0
		.amdhsa_exception_fp_ieee_inexact 0
		.amdhsa_exception_int_div_zero 0
	.end_amdhsa_kernel
	.section	.text._ZN7rocprim17ROCPRIM_400000_NS6detail17trampoline_kernelINS0_14default_configENS1_21merge_config_selectorIdNS0_10empty_typeEEEZNS1_10merge_implIS3_N6thrust23THRUST_200600_302600_NS6detail15normal_iteratorINS9_10device_ptrIKdEEEESF_NSB_INSC_IdEEEEPS5_SI_SI_NS9_4lessIdEEEE10hipError_tPvRmT0_T1_T2_T3_T4_T5_mmT6_P12ihipStream_tbEUlT_E0_NS1_11comp_targetILNS1_3genE8ELNS1_11target_archE1030ELNS1_3gpuE2ELNS1_3repE0EEENS1_30default_config_static_selectorELNS0_4arch9wavefront6targetE1EEEvSP_,"axG",@progbits,_ZN7rocprim17ROCPRIM_400000_NS6detail17trampoline_kernelINS0_14default_configENS1_21merge_config_selectorIdNS0_10empty_typeEEEZNS1_10merge_implIS3_N6thrust23THRUST_200600_302600_NS6detail15normal_iteratorINS9_10device_ptrIKdEEEESF_NSB_INSC_IdEEEEPS5_SI_SI_NS9_4lessIdEEEE10hipError_tPvRmT0_T1_T2_T3_T4_T5_mmT6_P12ihipStream_tbEUlT_E0_NS1_11comp_targetILNS1_3genE8ELNS1_11target_archE1030ELNS1_3gpuE2ELNS1_3repE0EEENS1_30default_config_static_selectorELNS0_4arch9wavefront6targetE1EEEvSP_,comdat
.Lfunc_end18:
	.size	_ZN7rocprim17ROCPRIM_400000_NS6detail17trampoline_kernelINS0_14default_configENS1_21merge_config_selectorIdNS0_10empty_typeEEEZNS1_10merge_implIS3_N6thrust23THRUST_200600_302600_NS6detail15normal_iteratorINS9_10device_ptrIKdEEEESF_NSB_INSC_IdEEEEPS5_SI_SI_NS9_4lessIdEEEE10hipError_tPvRmT0_T1_T2_T3_T4_T5_mmT6_P12ihipStream_tbEUlT_E0_NS1_11comp_targetILNS1_3genE8ELNS1_11target_archE1030ELNS1_3gpuE2ELNS1_3repE0EEENS1_30default_config_static_selectorELNS0_4arch9wavefront6targetE1EEEvSP_, .Lfunc_end18-_ZN7rocprim17ROCPRIM_400000_NS6detail17trampoline_kernelINS0_14default_configENS1_21merge_config_selectorIdNS0_10empty_typeEEEZNS1_10merge_implIS3_N6thrust23THRUST_200600_302600_NS6detail15normal_iteratorINS9_10device_ptrIKdEEEESF_NSB_INSC_IdEEEEPS5_SI_SI_NS9_4lessIdEEEE10hipError_tPvRmT0_T1_T2_T3_T4_T5_mmT6_P12ihipStream_tbEUlT_E0_NS1_11comp_targetILNS1_3genE8ELNS1_11target_archE1030ELNS1_3gpuE2ELNS1_3repE0EEENS1_30default_config_static_selectorELNS0_4arch9wavefront6targetE1EEEvSP_
                                        ; -- End function
	.section	.AMDGPU.csdata,"",@progbits
; Kernel info:
; codeLenInByte = 0
; NumSgprs: 4
; NumVgprs: 0
; NumAgprs: 0
; TotalNumVgprs: 0
; ScratchSize: 0
; MemoryBound: 0
; FloatMode: 240
; IeeeMode: 1
; LDSByteSize: 0 bytes/workgroup (compile time only)
; SGPRBlocks: 0
; VGPRBlocks: 0
; NumSGPRsForWavesPerEU: 4
; NumVGPRsForWavesPerEU: 1
; AccumOffset: 4
; Occupancy: 8
; WaveLimiterHint : 0
; COMPUTE_PGM_RSRC2:SCRATCH_EN: 0
; COMPUTE_PGM_RSRC2:USER_SGPR: 6
; COMPUTE_PGM_RSRC2:TRAP_HANDLER: 0
; COMPUTE_PGM_RSRC2:TGID_X_EN: 1
; COMPUTE_PGM_RSRC2:TGID_Y_EN: 0
; COMPUTE_PGM_RSRC2:TGID_Z_EN: 0
; COMPUTE_PGM_RSRC2:TIDIG_COMP_CNT: 0
; COMPUTE_PGM_RSRC3_GFX90A:ACCUM_OFFSET: 0
; COMPUTE_PGM_RSRC3_GFX90A:TG_SPLIT: 0
	.section	.text._ZN7rocprim17ROCPRIM_400000_NS6detail17trampoline_kernelINS0_14default_configENS1_22reduce_config_selectorIN6thrust23THRUST_200600_302600_NS5tupleIblNS6_9null_typeES8_S8_S8_S8_S8_S8_S8_EEEEZNS1_11reduce_implILb1ES3_PS9_SC_S9_NS6_11hip_rocprim9__find_if7functorIS9_EEEE10hipError_tPvRmT1_T2_T3_mT4_P12ihipStream_tbEUlT_E0_NS1_11comp_targetILNS1_3genE0ELNS1_11target_archE4294967295ELNS1_3gpuE0ELNS1_3repE0EEENS1_30default_config_static_selectorELNS0_4arch9wavefront6targetE1EEEvSK_,"axG",@progbits,_ZN7rocprim17ROCPRIM_400000_NS6detail17trampoline_kernelINS0_14default_configENS1_22reduce_config_selectorIN6thrust23THRUST_200600_302600_NS5tupleIblNS6_9null_typeES8_S8_S8_S8_S8_S8_S8_EEEEZNS1_11reduce_implILb1ES3_PS9_SC_S9_NS6_11hip_rocprim9__find_if7functorIS9_EEEE10hipError_tPvRmT1_T2_T3_mT4_P12ihipStream_tbEUlT_E0_NS1_11comp_targetILNS1_3genE0ELNS1_11target_archE4294967295ELNS1_3gpuE0ELNS1_3repE0EEENS1_30default_config_static_selectorELNS0_4arch9wavefront6targetE1EEEvSK_,comdat
	.protected	_ZN7rocprim17ROCPRIM_400000_NS6detail17trampoline_kernelINS0_14default_configENS1_22reduce_config_selectorIN6thrust23THRUST_200600_302600_NS5tupleIblNS6_9null_typeES8_S8_S8_S8_S8_S8_S8_EEEEZNS1_11reduce_implILb1ES3_PS9_SC_S9_NS6_11hip_rocprim9__find_if7functorIS9_EEEE10hipError_tPvRmT1_T2_T3_mT4_P12ihipStream_tbEUlT_E0_NS1_11comp_targetILNS1_3genE0ELNS1_11target_archE4294967295ELNS1_3gpuE0ELNS1_3repE0EEENS1_30default_config_static_selectorELNS0_4arch9wavefront6targetE1EEEvSK_ ; -- Begin function _ZN7rocprim17ROCPRIM_400000_NS6detail17trampoline_kernelINS0_14default_configENS1_22reduce_config_selectorIN6thrust23THRUST_200600_302600_NS5tupleIblNS6_9null_typeES8_S8_S8_S8_S8_S8_S8_EEEEZNS1_11reduce_implILb1ES3_PS9_SC_S9_NS6_11hip_rocprim9__find_if7functorIS9_EEEE10hipError_tPvRmT1_T2_T3_mT4_P12ihipStream_tbEUlT_E0_NS1_11comp_targetILNS1_3genE0ELNS1_11target_archE4294967295ELNS1_3gpuE0ELNS1_3repE0EEENS1_30default_config_static_selectorELNS0_4arch9wavefront6targetE1EEEvSK_
	.globl	_ZN7rocprim17ROCPRIM_400000_NS6detail17trampoline_kernelINS0_14default_configENS1_22reduce_config_selectorIN6thrust23THRUST_200600_302600_NS5tupleIblNS6_9null_typeES8_S8_S8_S8_S8_S8_S8_EEEEZNS1_11reduce_implILb1ES3_PS9_SC_S9_NS6_11hip_rocprim9__find_if7functorIS9_EEEE10hipError_tPvRmT1_T2_T3_mT4_P12ihipStream_tbEUlT_E0_NS1_11comp_targetILNS1_3genE0ELNS1_11target_archE4294967295ELNS1_3gpuE0ELNS1_3repE0EEENS1_30default_config_static_selectorELNS0_4arch9wavefront6targetE1EEEvSK_
	.p2align	8
	.type	_ZN7rocprim17ROCPRIM_400000_NS6detail17trampoline_kernelINS0_14default_configENS1_22reduce_config_selectorIN6thrust23THRUST_200600_302600_NS5tupleIblNS6_9null_typeES8_S8_S8_S8_S8_S8_S8_EEEEZNS1_11reduce_implILb1ES3_PS9_SC_S9_NS6_11hip_rocprim9__find_if7functorIS9_EEEE10hipError_tPvRmT1_T2_T3_mT4_P12ihipStream_tbEUlT_E0_NS1_11comp_targetILNS1_3genE0ELNS1_11target_archE4294967295ELNS1_3gpuE0ELNS1_3repE0EEENS1_30default_config_static_selectorELNS0_4arch9wavefront6targetE1EEEvSK_,@function
_ZN7rocprim17ROCPRIM_400000_NS6detail17trampoline_kernelINS0_14default_configENS1_22reduce_config_selectorIN6thrust23THRUST_200600_302600_NS5tupleIblNS6_9null_typeES8_S8_S8_S8_S8_S8_S8_EEEEZNS1_11reduce_implILb1ES3_PS9_SC_S9_NS6_11hip_rocprim9__find_if7functorIS9_EEEE10hipError_tPvRmT1_T2_T3_mT4_P12ihipStream_tbEUlT_E0_NS1_11comp_targetILNS1_3genE0ELNS1_11target_archE4294967295ELNS1_3gpuE0ELNS1_3repE0EEENS1_30default_config_static_selectorELNS0_4arch9wavefront6targetE1EEEvSK_: ; @_ZN7rocprim17ROCPRIM_400000_NS6detail17trampoline_kernelINS0_14default_configENS1_22reduce_config_selectorIN6thrust23THRUST_200600_302600_NS5tupleIblNS6_9null_typeES8_S8_S8_S8_S8_S8_S8_EEEEZNS1_11reduce_implILb1ES3_PS9_SC_S9_NS6_11hip_rocprim9__find_if7functorIS9_EEEE10hipError_tPvRmT1_T2_T3_mT4_P12ihipStream_tbEUlT_E0_NS1_11comp_targetILNS1_3genE0ELNS1_11target_archE4294967295ELNS1_3gpuE0ELNS1_3repE0EEENS1_30default_config_static_selectorELNS0_4arch9wavefront6targetE1EEEvSK_
; %bb.0:
	.section	.rodata,"a",@progbits
	.p2align	6, 0x0
	.amdhsa_kernel _ZN7rocprim17ROCPRIM_400000_NS6detail17trampoline_kernelINS0_14default_configENS1_22reduce_config_selectorIN6thrust23THRUST_200600_302600_NS5tupleIblNS6_9null_typeES8_S8_S8_S8_S8_S8_S8_EEEEZNS1_11reduce_implILb1ES3_PS9_SC_S9_NS6_11hip_rocprim9__find_if7functorIS9_EEEE10hipError_tPvRmT1_T2_T3_mT4_P12ihipStream_tbEUlT_E0_NS1_11comp_targetILNS1_3genE0ELNS1_11target_archE4294967295ELNS1_3gpuE0ELNS1_3repE0EEENS1_30default_config_static_selectorELNS0_4arch9wavefront6targetE1EEEvSK_
		.amdhsa_group_segment_fixed_size 0
		.amdhsa_private_segment_fixed_size 0
		.amdhsa_kernarg_size 72
		.amdhsa_user_sgpr_count 6
		.amdhsa_user_sgpr_private_segment_buffer 1
		.amdhsa_user_sgpr_dispatch_ptr 0
		.amdhsa_user_sgpr_queue_ptr 0
		.amdhsa_user_sgpr_kernarg_segment_ptr 1
		.amdhsa_user_sgpr_dispatch_id 0
		.amdhsa_user_sgpr_flat_scratch_init 0
		.amdhsa_user_sgpr_kernarg_preload_length 0
		.amdhsa_user_sgpr_kernarg_preload_offset 0
		.amdhsa_user_sgpr_private_segment_size 0
		.amdhsa_uses_dynamic_stack 0
		.amdhsa_system_sgpr_private_segment_wavefront_offset 0
		.amdhsa_system_sgpr_workgroup_id_x 1
		.amdhsa_system_sgpr_workgroup_id_y 0
		.amdhsa_system_sgpr_workgroup_id_z 0
		.amdhsa_system_sgpr_workgroup_info 0
		.amdhsa_system_vgpr_workitem_id 0
		.amdhsa_next_free_vgpr 1
		.amdhsa_next_free_sgpr 0
		.amdhsa_accum_offset 4
		.amdhsa_reserve_vcc 0
		.amdhsa_reserve_flat_scratch 0
		.amdhsa_float_round_mode_32 0
		.amdhsa_float_round_mode_16_64 0
		.amdhsa_float_denorm_mode_32 3
		.amdhsa_float_denorm_mode_16_64 3
		.amdhsa_dx10_clamp 1
		.amdhsa_ieee_mode 1
		.amdhsa_fp16_overflow 0
		.amdhsa_tg_split 0
		.amdhsa_exception_fp_ieee_invalid_op 0
		.amdhsa_exception_fp_denorm_src 0
		.amdhsa_exception_fp_ieee_div_zero 0
		.amdhsa_exception_fp_ieee_overflow 0
		.amdhsa_exception_fp_ieee_underflow 0
		.amdhsa_exception_fp_ieee_inexact 0
		.amdhsa_exception_int_div_zero 0
	.end_amdhsa_kernel
	.section	.text._ZN7rocprim17ROCPRIM_400000_NS6detail17trampoline_kernelINS0_14default_configENS1_22reduce_config_selectorIN6thrust23THRUST_200600_302600_NS5tupleIblNS6_9null_typeES8_S8_S8_S8_S8_S8_S8_EEEEZNS1_11reduce_implILb1ES3_PS9_SC_S9_NS6_11hip_rocprim9__find_if7functorIS9_EEEE10hipError_tPvRmT1_T2_T3_mT4_P12ihipStream_tbEUlT_E0_NS1_11comp_targetILNS1_3genE0ELNS1_11target_archE4294967295ELNS1_3gpuE0ELNS1_3repE0EEENS1_30default_config_static_selectorELNS0_4arch9wavefront6targetE1EEEvSK_,"axG",@progbits,_ZN7rocprim17ROCPRIM_400000_NS6detail17trampoline_kernelINS0_14default_configENS1_22reduce_config_selectorIN6thrust23THRUST_200600_302600_NS5tupleIblNS6_9null_typeES8_S8_S8_S8_S8_S8_S8_EEEEZNS1_11reduce_implILb1ES3_PS9_SC_S9_NS6_11hip_rocprim9__find_if7functorIS9_EEEE10hipError_tPvRmT1_T2_T3_mT4_P12ihipStream_tbEUlT_E0_NS1_11comp_targetILNS1_3genE0ELNS1_11target_archE4294967295ELNS1_3gpuE0ELNS1_3repE0EEENS1_30default_config_static_selectorELNS0_4arch9wavefront6targetE1EEEvSK_,comdat
.Lfunc_end19:
	.size	_ZN7rocprim17ROCPRIM_400000_NS6detail17trampoline_kernelINS0_14default_configENS1_22reduce_config_selectorIN6thrust23THRUST_200600_302600_NS5tupleIblNS6_9null_typeES8_S8_S8_S8_S8_S8_S8_EEEEZNS1_11reduce_implILb1ES3_PS9_SC_S9_NS6_11hip_rocprim9__find_if7functorIS9_EEEE10hipError_tPvRmT1_T2_T3_mT4_P12ihipStream_tbEUlT_E0_NS1_11comp_targetILNS1_3genE0ELNS1_11target_archE4294967295ELNS1_3gpuE0ELNS1_3repE0EEENS1_30default_config_static_selectorELNS0_4arch9wavefront6targetE1EEEvSK_, .Lfunc_end19-_ZN7rocprim17ROCPRIM_400000_NS6detail17trampoline_kernelINS0_14default_configENS1_22reduce_config_selectorIN6thrust23THRUST_200600_302600_NS5tupleIblNS6_9null_typeES8_S8_S8_S8_S8_S8_S8_EEEEZNS1_11reduce_implILb1ES3_PS9_SC_S9_NS6_11hip_rocprim9__find_if7functorIS9_EEEE10hipError_tPvRmT1_T2_T3_mT4_P12ihipStream_tbEUlT_E0_NS1_11comp_targetILNS1_3genE0ELNS1_11target_archE4294967295ELNS1_3gpuE0ELNS1_3repE0EEENS1_30default_config_static_selectorELNS0_4arch9wavefront6targetE1EEEvSK_
                                        ; -- End function
	.section	.AMDGPU.csdata,"",@progbits
; Kernel info:
; codeLenInByte = 0
; NumSgprs: 4
; NumVgprs: 0
; NumAgprs: 0
; TotalNumVgprs: 0
; ScratchSize: 0
; MemoryBound: 0
; FloatMode: 240
; IeeeMode: 1
; LDSByteSize: 0 bytes/workgroup (compile time only)
; SGPRBlocks: 0
; VGPRBlocks: 0
; NumSGPRsForWavesPerEU: 4
; NumVGPRsForWavesPerEU: 1
; AccumOffset: 4
; Occupancy: 8
; WaveLimiterHint : 0
; COMPUTE_PGM_RSRC2:SCRATCH_EN: 0
; COMPUTE_PGM_RSRC2:USER_SGPR: 6
; COMPUTE_PGM_RSRC2:TRAP_HANDLER: 0
; COMPUTE_PGM_RSRC2:TGID_X_EN: 1
; COMPUTE_PGM_RSRC2:TGID_Y_EN: 0
; COMPUTE_PGM_RSRC2:TGID_Z_EN: 0
; COMPUTE_PGM_RSRC2:TIDIG_COMP_CNT: 0
; COMPUTE_PGM_RSRC3_GFX90A:ACCUM_OFFSET: 0
; COMPUTE_PGM_RSRC3_GFX90A:TG_SPLIT: 0
	.section	.text._ZN7rocprim17ROCPRIM_400000_NS6detail17trampoline_kernelINS0_14default_configENS1_22reduce_config_selectorIN6thrust23THRUST_200600_302600_NS5tupleIblNS6_9null_typeES8_S8_S8_S8_S8_S8_S8_EEEEZNS1_11reduce_implILb1ES3_PS9_SC_S9_NS6_11hip_rocprim9__find_if7functorIS9_EEEE10hipError_tPvRmT1_T2_T3_mT4_P12ihipStream_tbEUlT_E0_NS1_11comp_targetILNS1_3genE5ELNS1_11target_archE942ELNS1_3gpuE9ELNS1_3repE0EEENS1_30default_config_static_selectorELNS0_4arch9wavefront6targetE1EEEvSK_,"axG",@progbits,_ZN7rocprim17ROCPRIM_400000_NS6detail17trampoline_kernelINS0_14default_configENS1_22reduce_config_selectorIN6thrust23THRUST_200600_302600_NS5tupleIblNS6_9null_typeES8_S8_S8_S8_S8_S8_S8_EEEEZNS1_11reduce_implILb1ES3_PS9_SC_S9_NS6_11hip_rocprim9__find_if7functorIS9_EEEE10hipError_tPvRmT1_T2_T3_mT4_P12ihipStream_tbEUlT_E0_NS1_11comp_targetILNS1_3genE5ELNS1_11target_archE942ELNS1_3gpuE9ELNS1_3repE0EEENS1_30default_config_static_selectorELNS0_4arch9wavefront6targetE1EEEvSK_,comdat
	.protected	_ZN7rocprim17ROCPRIM_400000_NS6detail17trampoline_kernelINS0_14default_configENS1_22reduce_config_selectorIN6thrust23THRUST_200600_302600_NS5tupleIblNS6_9null_typeES8_S8_S8_S8_S8_S8_S8_EEEEZNS1_11reduce_implILb1ES3_PS9_SC_S9_NS6_11hip_rocprim9__find_if7functorIS9_EEEE10hipError_tPvRmT1_T2_T3_mT4_P12ihipStream_tbEUlT_E0_NS1_11comp_targetILNS1_3genE5ELNS1_11target_archE942ELNS1_3gpuE9ELNS1_3repE0EEENS1_30default_config_static_selectorELNS0_4arch9wavefront6targetE1EEEvSK_ ; -- Begin function _ZN7rocprim17ROCPRIM_400000_NS6detail17trampoline_kernelINS0_14default_configENS1_22reduce_config_selectorIN6thrust23THRUST_200600_302600_NS5tupleIblNS6_9null_typeES8_S8_S8_S8_S8_S8_S8_EEEEZNS1_11reduce_implILb1ES3_PS9_SC_S9_NS6_11hip_rocprim9__find_if7functorIS9_EEEE10hipError_tPvRmT1_T2_T3_mT4_P12ihipStream_tbEUlT_E0_NS1_11comp_targetILNS1_3genE5ELNS1_11target_archE942ELNS1_3gpuE9ELNS1_3repE0EEENS1_30default_config_static_selectorELNS0_4arch9wavefront6targetE1EEEvSK_
	.globl	_ZN7rocprim17ROCPRIM_400000_NS6detail17trampoline_kernelINS0_14default_configENS1_22reduce_config_selectorIN6thrust23THRUST_200600_302600_NS5tupleIblNS6_9null_typeES8_S8_S8_S8_S8_S8_S8_EEEEZNS1_11reduce_implILb1ES3_PS9_SC_S9_NS6_11hip_rocprim9__find_if7functorIS9_EEEE10hipError_tPvRmT1_T2_T3_mT4_P12ihipStream_tbEUlT_E0_NS1_11comp_targetILNS1_3genE5ELNS1_11target_archE942ELNS1_3gpuE9ELNS1_3repE0EEENS1_30default_config_static_selectorELNS0_4arch9wavefront6targetE1EEEvSK_
	.p2align	8
	.type	_ZN7rocprim17ROCPRIM_400000_NS6detail17trampoline_kernelINS0_14default_configENS1_22reduce_config_selectorIN6thrust23THRUST_200600_302600_NS5tupleIblNS6_9null_typeES8_S8_S8_S8_S8_S8_S8_EEEEZNS1_11reduce_implILb1ES3_PS9_SC_S9_NS6_11hip_rocprim9__find_if7functorIS9_EEEE10hipError_tPvRmT1_T2_T3_mT4_P12ihipStream_tbEUlT_E0_NS1_11comp_targetILNS1_3genE5ELNS1_11target_archE942ELNS1_3gpuE9ELNS1_3repE0EEENS1_30default_config_static_selectorELNS0_4arch9wavefront6targetE1EEEvSK_,@function
_ZN7rocprim17ROCPRIM_400000_NS6detail17trampoline_kernelINS0_14default_configENS1_22reduce_config_selectorIN6thrust23THRUST_200600_302600_NS5tupleIblNS6_9null_typeES8_S8_S8_S8_S8_S8_S8_EEEEZNS1_11reduce_implILb1ES3_PS9_SC_S9_NS6_11hip_rocprim9__find_if7functorIS9_EEEE10hipError_tPvRmT1_T2_T3_mT4_P12ihipStream_tbEUlT_E0_NS1_11comp_targetILNS1_3genE5ELNS1_11target_archE942ELNS1_3gpuE9ELNS1_3repE0EEENS1_30default_config_static_selectorELNS0_4arch9wavefront6targetE1EEEvSK_: ; @_ZN7rocprim17ROCPRIM_400000_NS6detail17trampoline_kernelINS0_14default_configENS1_22reduce_config_selectorIN6thrust23THRUST_200600_302600_NS5tupleIblNS6_9null_typeES8_S8_S8_S8_S8_S8_S8_EEEEZNS1_11reduce_implILb1ES3_PS9_SC_S9_NS6_11hip_rocprim9__find_if7functorIS9_EEEE10hipError_tPvRmT1_T2_T3_mT4_P12ihipStream_tbEUlT_E0_NS1_11comp_targetILNS1_3genE5ELNS1_11target_archE942ELNS1_3gpuE9ELNS1_3repE0EEENS1_30default_config_static_selectorELNS0_4arch9wavefront6targetE1EEEvSK_
; %bb.0:
	.section	.rodata,"a",@progbits
	.p2align	6, 0x0
	.amdhsa_kernel _ZN7rocprim17ROCPRIM_400000_NS6detail17trampoline_kernelINS0_14default_configENS1_22reduce_config_selectorIN6thrust23THRUST_200600_302600_NS5tupleIblNS6_9null_typeES8_S8_S8_S8_S8_S8_S8_EEEEZNS1_11reduce_implILb1ES3_PS9_SC_S9_NS6_11hip_rocprim9__find_if7functorIS9_EEEE10hipError_tPvRmT1_T2_T3_mT4_P12ihipStream_tbEUlT_E0_NS1_11comp_targetILNS1_3genE5ELNS1_11target_archE942ELNS1_3gpuE9ELNS1_3repE0EEENS1_30default_config_static_selectorELNS0_4arch9wavefront6targetE1EEEvSK_
		.amdhsa_group_segment_fixed_size 0
		.amdhsa_private_segment_fixed_size 0
		.amdhsa_kernarg_size 72
		.amdhsa_user_sgpr_count 6
		.amdhsa_user_sgpr_private_segment_buffer 1
		.amdhsa_user_sgpr_dispatch_ptr 0
		.amdhsa_user_sgpr_queue_ptr 0
		.amdhsa_user_sgpr_kernarg_segment_ptr 1
		.amdhsa_user_sgpr_dispatch_id 0
		.amdhsa_user_sgpr_flat_scratch_init 0
		.amdhsa_user_sgpr_kernarg_preload_length 0
		.amdhsa_user_sgpr_kernarg_preload_offset 0
		.amdhsa_user_sgpr_private_segment_size 0
		.amdhsa_uses_dynamic_stack 0
		.amdhsa_system_sgpr_private_segment_wavefront_offset 0
		.amdhsa_system_sgpr_workgroup_id_x 1
		.amdhsa_system_sgpr_workgroup_id_y 0
		.amdhsa_system_sgpr_workgroup_id_z 0
		.amdhsa_system_sgpr_workgroup_info 0
		.amdhsa_system_vgpr_workitem_id 0
		.amdhsa_next_free_vgpr 1
		.amdhsa_next_free_sgpr 0
		.amdhsa_accum_offset 4
		.amdhsa_reserve_vcc 0
		.amdhsa_reserve_flat_scratch 0
		.amdhsa_float_round_mode_32 0
		.amdhsa_float_round_mode_16_64 0
		.amdhsa_float_denorm_mode_32 3
		.amdhsa_float_denorm_mode_16_64 3
		.amdhsa_dx10_clamp 1
		.amdhsa_ieee_mode 1
		.amdhsa_fp16_overflow 0
		.amdhsa_tg_split 0
		.amdhsa_exception_fp_ieee_invalid_op 0
		.amdhsa_exception_fp_denorm_src 0
		.amdhsa_exception_fp_ieee_div_zero 0
		.amdhsa_exception_fp_ieee_overflow 0
		.amdhsa_exception_fp_ieee_underflow 0
		.amdhsa_exception_fp_ieee_inexact 0
		.amdhsa_exception_int_div_zero 0
	.end_amdhsa_kernel
	.section	.text._ZN7rocprim17ROCPRIM_400000_NS6detail17trampoline_kernelINS0_14default_configENS1_22reduce_config_selectorIN6thrust23THRUST_200600_302600_NS5tupleIblNS6_9null_typeES8_S8_S8_S8_S8_S8_S8_EEEEZNS1_11reduce_implILb1ES3_PS9_SC_S9_NS6_11hip_rocprim9__find_if7functorIS9_EEEE10hipError_tPvRmT1_T2_T3_mT4_P12ihipStream_tbEUlT_E0_NS1_11comp_targetILNS1_3genE5ELNS1_11target_archE942ELNS1_3gpuE9ELNS1_3repE0EEENS1_30default_config_static_selectorELNS0_4arch9wavefront6targetE1EEEvSK_,"axG",@progbits,_ZN7rocprim17ROCPRIM_400000_NS6detail17trampoline_kernelINS0_14default_configENS1_22reduce_config_selectorIN6thrust23THRUST_200600_302600_NS5tupleIblNS6_9null_typeES8_S8_S8_S8_S8_S8_S8_EEEEZNS1_11reduce_implILb1ES3_PS9_SC_S9_NS6_11hip_rocprim9__find_if7functorIS9_EEEE10hipError_tPvRmT1_T2_T3_mT4_P12ihipStream_tbEUlT_E0_NS1_11comp_targetILNS1_3genE5ELNS1_11target_archE942ELNS1_3gpuE9ELNS1_3repE0EEENS1_30default_config_static_selectorELNS0_4arch9wavefront6targetE1EEEvSK_,comdat
.Lfunc_end20:
	.size	_ZN7rocprim17ROCPRIM_400000_NS6detail17trampoline_kernelINS0_14default_configENS1_22reduce_config_selectorIN6thrust23THRUST_200600_302600_NS5tupleIblNS6_9null_typeES8_S8_S8_S8_S8_S8_S8_EEEEZNS1_11reduce_implILb1ES3_PS9_SC_S9_NS6_11hip_rocprim9__find_if7functorIS9_EEEE10hipError_tPvRmT1_T2_T3_mT4_P12ihipStream_tbEUlT_E0_NS1_11comp_targetILNS1_3genE5ELNS1_11target_archE942ELNS1_3gpuE9ELNS1_3repE0EEENS1_30default_config_static_selectorELNS0_4arch9wavefront6targetE1EEEvSK_, .Lfunc_end20-_ZN7rocprim17ROCPRIM_400000_NS6detail17trampoline_kernelINS0_14default_configENS1_22reduce_config_selectorIN6thrust23THRUST_200600_302600_NS5tupleIblNS6_9null_typeES8_S8_S8_S8_S8_S8_S8_EEEEZNS1_11reduce_implILb1ES3_PS9_SC_S9_NS6_11hip_rocprim9__find_if7functorIS9_EEEE10hipError_tPvRmT1_T2_T3_mT4_P12ihipStream_tbEUlT_E0_NS1_11comp_targetILNS1_3genE5ELNS1_11target_archE942ELNS1_3gpuE9ELNS1_3repE0EEENS1_30default_config_static_selectorELNS0_4arch9wavefront6targetE1EEEvSK_
                                        ; -- End function
	.section	.AMDGPU.csdata,"",@progbits
; Kernel info:
; codeLenInByte = 0
; NumSgprs: 4
; NumVgprs: 0
; NumAgprs: 0
; TotalNumVgprs: 0
; ScratchSize: 0
; MemoryBound: 0
; FloatMode: 240
; IeeeMode: 1
; LDSByteSize: 0 bytes/workgroup (compile time only)
; SGPRBlocks: 0
; VGPRBlocks: 0
; NumSGPRsForWavesPerEU: 4
; NumVGPRsForWavesPerEU: 1
; AccumOffset: 4
; Occupancy: 8
; WaveLimiterHint : 0
; COMPUTE_PGM_RSRC2:SCRATCH_EN: 0
; COMPUTE_PGM_RSRC2:USER_SGPR: 6
; COMPUTE_PGM_RSRC2:TRAP_HANDLER: 0
; COMPUTE_PGM_RSRC2:TGID_X_EN: 1
; COMPUTE_PGM_RSRC2:TGID_Y_EN: 0
; COMPUTE_PGM_RSRC2:TGID_Z_EN: 0
; COMPUTE_PGM_RSRC2:TIDIG_COMP_CNT: 0
; COMPUTE_PGM_RSRC3_GFX90A:ACCUM_OFFSET: 0
; COMPUTE_PGM_RSRC3_GFX90A:TG_SPLIT: 0
	.section	.text._ZN7rocprim17ROCPRIM_400000_NS6detail17trampoline_kernelINS0_14default_configENS1_22reduce_config_selectorIN6thrust23THRUST_200600_302600_NS5tupleIblNS6_9null_typeES8_S8_S8_S8_S8_S8_S8_EEEEZNS1_11reduce_implILb1ES3_PS9_SC_S9_NS6_11hip_rocprim9__find_if7functorIS9_EEEE10hipError_tPvRmT1_T2_T3_mT4_P12ihipStream_tbEUlT_E0_NS1_11comp_targetILNS1_3genE4ELNS1_11target_archE910ELNS1_3gpuE8ELNS1_3repE0EEENS1_30default_config_static_selectorELNS0_4arch9wavefront6targetE1EEEvSK_,"axG",@progbits,_ZN7rocprim17ROCPRIM_400000_NS6detail17trampoline_kernelINS0_14default_configENS1_22reduce_config_selectorIN6thrust23THRUST_200600_302600_NS5tupleIblNS6_9null_typeES8_S8_S8_S8_S8_S8_S8_EEEEZNS1_11reduce_implILb1ES3_PS9_SC_S9_NS6_11hip_rocprim9__find_if7functorIS9_EEEE10hipError_tPvRmT1_T2_T3_mT4_P12ihipStream_tbEUlT_E0_NS1_11comp_targetILNS1_3genE4ELNS1_11target_archE910ELNS1_3gpuE8ELNS1_3repE0EEENS1_30default_config_static_selectorELNS0_4arch9wavefront6targetE1EEEvSK_,comdat
	.protected	_ZN7rocprim17ROCPRIM_400000_NS6detail17trampoline_kernelINS0_14default_configENS1_22reduce_config_selectorIN6thrust23THRUST_200600_302600_NS5tupleIblNS6_9null_typeES8_S8_S8_S8_S8_S8_S8_EEEEZNS1_11reduce_implILb1ES3_PS9_SC_S9_NS6_11hip_rocprim9__find_if7functorIS9_EEEE10hipError_tPvRmT1_T2_T3_mT4_P12ihipStream_tbEUlT_E0_NS1_11comp_targetILNS1_3genE4ELNS1_11target_archE910ELNS1_3gpuE8ELNS1_3repE0EEENS1_30default_config_static_selectorELNS0_4arch9wavefront6targetE1EEEvSK_ ; -- Begin function _ZN7rocprim17ROCPRIM_400000_NS6detail17trampoline_kernelINS0_14default_configENS1_22reduce_config_selectorIN6thrust23THRUST_200600_302600_NS5tupleIblNS6_9null_typeES8_S8_S8_S8_S8_S8_S8_EEEEZNS1_11reduce_implILb1ES3_PS9_SC_S9_NS6_11hip_rocprim9__find_if7functorIS9_EEEE10hipError_tPvRmT1_T2_T3_mT4_P12ihipStream_tbEUlT_E0_NS1_11comp_targetILNS1_3genE4ELNS1_11target_archE910ELNS1_3gpuE8ELNS1_3repE0EEENS1_30default_config_static_selectorELNS0_4arch9wavefront6targetE1EEEvSK_
	.globl	_ZN7rocprim17ROCPRIM_400000_NS6detail17trampoline_kernelINS0_14default_configENS1_22reduce_config_selectorIN6thrust23THRUST_200600_302600_NS5tupleIblNS6_9null_typeES8_S8_S8_S8_S8_S8_S8_EEEEZNS1_11reduce_implILb1ES3_PS9_SC_S9_NS6_11hip_rocprim9__find_if7functorIS9_EEEE10hipError_tPvRmT1_T2_T3_mT4_P12ihipStream_tbEUlT_E0_NS1_11comp_targetILNS1_3genE4ELNS1_11target_archE910ELNS1_3gpuE8ELNS1_3repE0EEENS1_30default_config_static_selectorELNS0_4arch9wavefront6targetE1EEEvSK_
	.p2align	8
	.type	_ZN7rocprim17ROCPRIM_400000_NS6detail17trampoline_kernelINS0_14default_configENS1_22reduce_config_selectorIN6thrust23THRUST_200600_302600_NS5tupleIblNS6_9null_typeES8_S8_S8_S8_S8_S8_S8_EEEEZNS1_11reduce_implILb1ES3_PS9_SC_S9_NS6_11hip_rocprim9__find_if7functorIS9_EEEE10hipError_tPvRmT1_T2_T3_mT4_P12ihipStream_tbEUlT_E0_NS1_11comp_targetILNS1_3genE4ELNS1_11target_archE910ELNS1_3gpuE8ELNS1_3repE0EEENS1_30default_config_static_selectorELNS0_4arch9wavefront6targetE1EEEvSK_,@function
_ZN7rocprim17ROCPRIM_400000_NS6detail17trampoline_kernelINS0_14default_configENS1_22reduce_config_selectorIN6thrust23THRUST_200600_302600_NS5tupleIblNS6_9null_typeES8_S8_S8_S8_S8_S8_S8_EEEEZNS1_11reduce_implILb1ES3_PS9_SC_S9_NS6_11hip_rocprim9__find_if7functorIS9_EEEE10hipError_tPvRmT1_T2_T3_mT4_P12ihipStream_tbEUlT_E0_NS1_11comp_targetILNS1_3genE4ELNS1_11target_archE910ELNS1_3gpuE8ELNS1_3repE0EEENS1_30default_config_static_selectorELNS0_4arch9wavefront6targetE1EEEvSK_: ; @_ZN7rocprim17ROCPRIM_400000_NS6detail17trampoline_kernelINS0_14default_configENS1_22reduce_config_selectorIN6thrust23THRUST_200600_302600_NS5tupleIblNS6_9null_typeES8_S8_S8_S8_S8_S8_S8_EEEEZNS1_11reduce_implILb1ES3_PS9_SC_S9_NS6_11hip_rocprim9__find_if7functorIS9_EEEE10hipError_tPvRmT1_T2_T3_mT4_P12ihipStream_tbEUlT_E0_NS1_11comp_targetILNS1_3genE4ELNS1_11target_archE910ELNS1_3gpuE8ELNS1_3repE0EEENS1_30default_config_static_selectorELNS0_4arch9wavefront6targetE1EEEvSK_
; %bb.0:
	s_load_dwordx8 s[8:15], s[4:5], 0x0
	s_load_dwordx4 s[16:19], s[4:5], 0x20
	s_waitcnt lgkmcnt(0)
	s_lshl_b64 s[0:1], s[10:11], 4
	s_add_u32 s8, s8, s0
	s_addc_u32 s9, s9, s1
	s_lshl_b32 s10, s6, 9
	s_mov_b32 s11, 0
	s_lshr_b64 s[0:1], s[12:13], 9
	s_lshl_b64 s[2:3], s[10:11], 4
	s_add_u32 s8, s8, s2
	s_mov_b32 s7, s11
	s_addc_u32 s9, s9, s3
	s_cmp_lg_u64 s[0:1], s[6:7]
	s_cbranch_scc0 .LBB21_20
; %bb.1:
	v_lshlrev_b32_e32 v7, 4, v0
	v_mov_b32_e32 v1, s9
	v_add_co_u32_e32 v4, vcc, s8, v7
	v_addc_co_u32_e32 v5, vcc, 0, v1, vcc
	v_add_co_u32_e32 v8, vcc, 0x1000, v4
	v_addc_co_u32_e32 v9, vcc, 0, v5, vcc
	global_load_ubyte v1, v7, s[8:9]
	global_load_ubyte v6, v[8:9], off
	global_load_dwordx2 v[2:3], v[8:9], off offset:8
	s_waitcnt vmcnt(2)
	v_and_b32_e32 v7, 1, v1
	v_cmp_eq_u32_e32 vcc, 1, v7
	s_and_saveexec_b64 s[2:3], vcc
	s_cbranch_execz .LBB21_3
; %bb.2:
	global_load_dwordx2 v[4:5], v[4:5], off offset:8
	s_waitcnt vmcnt(2)
	v_and_b32_e32 v6, 1, v6
	v_cmp_eq_u32_e32 vcc, 1, v6
	v_cndmask_b32_e64 v6, v1, 1, vcc
	s_waitcnt vmcnt(0)
	v_cmp_lt_i64_e64 s[0:1], v[2:3], v[4:5]
	v_cndmask_b32_e64 v1, v5, v3, s[0:1]
	v_cndmask_b32_e32 v3, v5, v1, vcc
	s_and_b64 vcc, vcc, s[0:1]
	v_cndmask_b32_e32 v2, v4, v2, vcc
.LBB21_3:
	s_or_b64 exec, exec, s[2:3]
	s_waitcnt vmcnt(1)
	v_and_b32_e32 v1, 0xff, v6
	v_and_b32_e32 v6, 1, v6
	s_waitcnt vmcnt(0)
	v_mov_b32_dpp v4, v2 quad_perm:[1,0,3,2] row_mask:0xf bank_mask:0xf bound_ctrl:1
	v_mov_b32_dpp v7, v1 quad_perm:[1,0,3,2] row_mask:0xf bank_mask:0xf bound_ctrl:1
	v_and_b32_e32 v8, 1, v7
	v_mov_b32_dpp v5, v3 quad_perm:[1,0,3,2] row_mask:0xf bank_mask:0xf bound_ctrl:1
	v_cmp_eq_u32_e32 vcc, 1, v8
	v_cmp_eq_u32_e64 s[0:1], 1, v6
	s_and_saveexec_b64 s[2:3], vcc
; %bb.4:
	v_cmp_lt_i64_e32 vcc, v[2:3], v[4:5]
	v_cndmask_b32_e64 v6, v7, 1, s[0:1]
	s_and_b64 vcc, s[0:1], vcc
	v_cndmask_b32_e32 v2, v4, v2, vcc
	v_and_b32_e32 v4, 1, v6
	v_cndmask_b32_e32 v3, v5, v3, vcc
	v_cmp_eq_u32_e32 vcc, 1, v4
	s_andn2_b64 s[0:1], s[0:1], exec
	s_and_b64 s[20:21], vcc, exec
	v_and_b32_e32 v1, 0xff, v6
	s_or_b64 s[0:1], s[0:1], s[20:21]
; %bb.5:
	s_or_b64 exec, exec, s[2:3]
	v_mov_b32_dpp v6, v1 quad_perm:[2,3,0,1] row_mask:0xf bank_mask:0xf bound_ctrl:1
	v_and_b32_e32 v7, 1, v6
	v_mov_b32_dpp v4, v2 quad_perm:[2,3,0,1] row_mask:0xf bank_mask:0xf bound_ctrl:1
	v_mov_b32_dpp v5, v3 quad_perm:[2,3,0,1] row_mask:0xf bank_mask:0xf bound_ctrl:1
	v_cmp_eq_u32_e32 vcc, 1, v7
	s_and_saveexec_b64 s[2:3], vcc
; %bb.6:
	v_cmp_lt_i64_e32 vcc, v[2:3], v[4:5]
	v_cndmask_b32_e64 v6, v6, 1, s[0:1]
	s_and_b64 vcc, s[0:1], vcc
	v_cndmask_b32_e32 v2, v4, v2, vcc
	v_and_b32_e32 v4, 1, v6
	v_cndmask_b32_e32 v3, v5, v3, vcc
	v_cmp_eq_u32_e32 vcc, 1, v4
	s_andn2_b64 s[0:1], s[0:1], exec
	s_and_b64 s[20:21], vcc, exec
	v_and_b32_e32 v1, 0xff, v6
	s_or_b64 s[0:1], s[0:1], s[20:21]
; %bb.7:
	s_or_b64 exec, exec, s[2:3]
	v_mov_b32_dpp v6, v1 row_ror:4 row_mask:0xf bank_mask:0xf bound_ctrl:1
	v_and_b32_e32 v7, 1, v6
	v_mov_b32_dpp v4, v2 row_ror:4 row_mask:0xf bank_mask:0xf bound_ctrl:1
	v_mov_b32_dpp v5, v3 row_ror:4 row_mask:0xf bank_mask:0xf bound_ctrl:1
	v_cmp_eq_u32_e32 vcc, 1, v7
	s_and_saveexec_b64 s[2:3], vcc
; %bb.8:
	v_cmp_lt_i64_e32 vcc, v[2:3], v[4:5]
	v_cndmask_b32_e64 v6, v6, 1, s[0:1]
	s_and_b64 vcc, s[0:1], vcc
	v_cndmask_b32_e32 v2, v4, v2, vcc
	v_and_b32_e32 v4, 1, v6
	v_cndmask_b32_e32 v3, v5, v3, vcc
	v_cmp_eq_u32_e32 vcc, 1, v4
	s_andn2_b64 s[0:1], s[0:1], exec
	s_and_b64 s[20:21], vcc, exec
	v_and_b32_e32 v1, 0xff, v6
	s_or_b64 s[0:1], s[0:1], s[20:21]
; %bb.9:
	s_or_b64 exec, exec, s[2:3]
	v_mov_b32_dpp v6, v1 row_ror:8 row_mask:0xf bank_mask:0xf bound_ctrl:1
	v_and_b32_e32 v7, 1, v6
	v_mov_b32_dpp v4, v2 row_ror:8 row_mask:0xf bank_mask:0xf bound_ctrl:1
	v_mov_b32_dpp v5, v3 row_ror:8 row_mask:0xf bank_mask:0xf bound_ctrl:1
	v_cmp_eq_u32_e32 vcc, 1, v7
	s_and_saveexec_b64 s[2:3], vcc
; %bb.10:
	v_cmp_lt_i64_e32 vcc, v[2:3], v[4:5]
	v_cndmask_b32_e64 v6, v6, 1, s[0:1]
	s_and_b64 vcc, s[0:1], vcc
	v_cndmask_b32_e32 v2, v4, v2, vcc
	v_and_b32_e32 v4, 1, v6
	v_cndmask_b32_e32 v3, v5, v3, vcc
	v_cmp_eq_u32_e32 vcc, 1, v4
	s_andn2_b64 s[0:1], s[0:1], exec
	s_and_b64 s[20:21], vcc, exec
	v_and_b32_e32 v1, 0xff, v6
	s_or_b64 s[0:1], s[0:1], s[20:21]
; %bb.11:
	s_or_b64 exec, exec, s[2:3]
	v_mov_b32_dpp v6, v1 row_bcast:15 row_mask:0xf bank_mask:0xf bound_ctrl:1
	v_and_b32_e32 v7, 1, v6
	v_mov_b32_dpp v4, v2 row_bcast:15 row_mask:0xf bank_mask:0xf bound_ctrl:1
	v_mov_b32_dpp v5, v3 row_bcast:15 row_mask:0xf bank_mask:0xf bound_ctrl:1
	v_cmp_eq_u32_e32 vcc, 1, v7
	s_and_saveexec_b64 s[2:3], vcc
; %bb.12:
	v_cmp_lt_i64_e32 vcc, v[2:3], v[4:5]
	v_cndmask_b32_e64 v6, v6, 1, s[0:1]
	s_and_b64 vcc, s[0:1], vcc
	v_cndmask_b32_e32 v2, v4, v2, vcc
	v_and_b32_e32 v4, 1, v6
	v_cndmask_b32_e32 v3, v5, v3, vcc
	v_cmp_eq_u32_e32 vcc, 1, v4
	s_andn2_b64 s[0:1], s[0:1], exec
	s_and_b64 s[20:21], vcc, exec
	v_and_b32_e32 v1, 0xff, v6
	s_or_b64 s[0:1], s[0:1], s[20:21]
; %bb.13:
	s_or_b64 exec, exec, s[2:3]
	v_mov_b32_dpp v6, v1 row_bcast:31 row_mask:0xf bank_mask:0xf bound_ctrl:1
	v_and_b32_e32 v7, 1, v6
	v_mov_b32_dpp v4, v2 row_bcast:31 row_mask:0xf bank_mask:0xf bound_ctrl:1
	v_mov_b32_dpp v5, v3 row_bcast:31 row_mask:0xf bank_mask:0xf bound_ctrl:1
	v_cmp_eq_u32_e32 vcc, 1, v7
	s_and_saveexec_b64 s[2:3], vcc
; %bb.14:
	v_cmp_lt_i64_e32 vcc, v[2:3], v[4:5]
	v_and_b32_e32 v1, 0xff, v6
	s_and_b64 vcc, s[0:1], vcc
	v_cndmask_b32_e32 v2, v4, v2, vcc
	v_cndmask_b32_e32 v3, v5, v3, vcc
	v_cndmask_b32_e64 v1, v1, 1, s[0:1]
; %bb.15:
	s_or_b64 exec, exec, s[2:3]
	v_mbcnt_lo_u32_b32 v4, -1, 0
	v_mbcnt_hi_u32_b32 v4, -1, v4
	v_bfrev_b32_e32 v5, 0.5
	v_lshl_or_b32 v5, v4, 2, v5
	ds_bpermute_b32 v6, v5, v1
	ds_bpermute_b32 v2, v5, v2
	ds_bpermute_b32 v3, v5, v3
	v_cmp_eq_u32_e32 vcc, 0, v4
	s_and_saveexec_b64 s[0:1], vcc
	s_cbranch_execz .LBB21_17
; %bb.16:
	v_lshrrev_b32_e32 v1, 2, v0
	v_and_b32_e32 v1, 48, v1
	s_waitcnt lgkmcnt(2)
	ds_write_b8 v1, v6
	s_waitcnt lgkmcnt(1)
	ds_write_b64 v1, v[2:3] offset:8
.LBB21_17:
	s_or_b64 exec, exec, s[0:1]
	v_cmp_gt_u32_e32 vcc, 64, v0
	s_waitcnt lgkmcnt(0)
	s_barrier
	s_and_saveexec_b64 s[2:3], vcc
	s_cbranch_execz .LBB21_19
; %bb.18:
	v_and_b32_e32 v1, 3, v4
	v_lshlrev_b32_e32 v2, 4, v1
	ds_read_u8 v5, v2
	ds_read_b64 v[2:3], v2 offset:8
	v_cmp_ne_u32_e32 vcc, 3, v1
	v_addc_co_u32_e32 v6, vcc, 0, v4, vcc
	s_waitcnt lgkmcnt(1)
	v_and_b32_e32 v7, 0xff, v5
	v_lshlrev_b32_e32 v8, 2, v6
	ds_bpermute_b32 v9, v8, v7
	s_waitcnt lgkmcnt(1)
	ds_bpermute_b32 v6, v8, v2
	ds_bpermute_b32 v7, v8, v3
	v_and_b32_e32 v8, 1, v5
	s_waitcnt lgkmcnt(2)
	v_and_b32_e32 v10, 1, v9
	v_cmp_eq_u32_e64 s[0:1], 1, v10
	s_waitcnt lgkmcnt(0)
	v_cmp_lt_i64_e32 vcc, v[6:7], v[2:3]
	s_and_b64 vcc, s[0:1], vcc
	v_cndmask_b32_e64 v5, v5, 1, s[0:1]
	v_cndmask_b32_e32 v2, v2, v6, vcc
	v_cndmask_b32_e32 v3, v3, v7, vcc
	v_cmp_eq_u32_e32 vcc, 1, v8
	v_cndmask_b32_e32 v8, v9, v5, vcc
	v_cndmask_b32_e32 v3, v7, v3, vcc
	v_cndmask_b32_e32 v2, v6, v2, vcc
	v_cmp_gt_u32_e32 vcc, 2, v1
	v_cndmask_b32_e64 v1, 0, 1, vcc
	v_lshlrev_b32_e32 v1, 1, v1
	v_and_b32_e32 v5, 0xff, v8
	v_add_lshl_u32 v1, v1, v4, 2
	ds_bpermute_b32 v6, v1, v5
	ds_bpermute_b32 v4, v1, v2
	;; [unrolled: 1-line block ×3, first 2 shown]
	v_and_b32_e32 v1, 1, v8
	s_waitcnt lgkmcnt(2)
	v_and_b32_e32 v7, 1, v6
	v_cmp_eq_u32_e64 s[0:1], 1, v7
	s_waitcnt lgkmcnt(0)
	v_cmp_lt_i64_e32 vcc, v[4:5], v[2:3]
	s_and_b64 vcc, s[0:1], vcc
	v_cndmask_b32_e64 v7, v8, 1, s[0:1]
	v_cndmask_b32_e32 v2, v2, v4, vcc
	v_cndmask_b32_e32 v3, v3, v5, vcc
	v_cmp_eq_u32_e32 vcc, 1, v1
	v_cndmask_b32_e32 v1, v6, v7, vcc
	v_cndmask_b32_e32 v3, v5, v3, vcc
	;; [unrolled: 1-line block ×3, first 2 shown]
	v_and_b32_e32 v6, 0xff, v1
.LBB21_19:
	s_or_b64 exec, exec, s[2:3]
	s_load_dword s11, s[4:5], 0x30
	s_load_dwordx2 s[2:3], s[4:5], 0x38
	s_branch .LBB21_48
.LBB21_20:
                                        ; implicit-def: $vgpr2_vgpr3
                                        ; implicit-def: $vgpr6
	s_load_dword s11, s[4:5], 0x30
	s_load_dwordx2 s[2:3], s[4:5], 0x38
	s_cbranch_execz .LBB21_48
; %bb.21:
	s_sub_i32 s10, s12, s10
	v_pk_mov_b32 v[4:5], 0, 0
	v_cmp_gt_u32_e32 vcc, s10, v0
	v_mov_b32_e32 v1, 0
	v_pk_mov_b32 v[2:3], v[4:5], v[4:5] op_sel:[0,1]
	v_mov_b32_e32 v7, 0
	s_and_saveexec_b64 s[0:1], vcc
	s_cbranch_execz .LBB21_23
; %bb.22:
	v_lshlrev_b32_e32 v6, 4, v0
	global_load_ubyte v7, v6, s[8:9]
	global_load_dwordx2 v[2:3], v6, s[8:9] offset:8
.LBB21_23:
	s_or_b64 exec, exec, s[0:1]
	v_or_b32_e32 v6, 0x100, v0
	v_cmp_gt_u32_e32 vcc, s10, v6
	s_and_saveexec_b64 s[0:1], vcc
	s_cbranch_execz .LBB21_25
; %bb.24:
	v_lshlrev_b32_e32 v6, 4, v6
	global_load_ubyte v1, v6, s[8:9]
	global_load_dwordx2 v[4:5], v6, s[8:9] offset:8
.LBB21_25:
	s_or_b64 exec, exec, s[0:1]
	s_and_saveexec_b64 s[4:5], vcc
	s_cbranch_execz .LBB21_27
; %bb.26:
	s_waitcnt vmcnt(1)
	v_and_b32_e32 v8, 1, v1
	s_waitcnt vmcnt(0)
	v_cmp_lt_i64_e32 vcc, v[4:5], v[2:3]
	v_cmp_eq_u32_e64 s[0:1], 1, v8
	v_and_b32_e32 v6, 1, v7
	s_and_b64 vcc, s[0:1], vcc
	v_cndmask_b32_e64 v7, v7, 1, s[0:1]
	v_cndmask_b32_e32 v2, v2, v4, vcc
	v_cndmask_b32_e32 v3, v3, v5, vcc
	v_cmp_eq_u32_e32 vcc, 1, v6
	v_cndmask_b32_e32 v7, v1, v7, vcc
	v_cndmask_b32_e32 v3, v5, v3, vcc
	;; [unrolled: 1-line block ×3, first 2 shown]
.LBB21_27:
	s_or_b64 exec, exec, s[4:5]
	s_waitcnt vmcnt(1)
	v_mbcnt_lo_u32_b32 v1, -1, 0
	v_mbcnt_hi_u32_b32 v1, -1, v1
	v_and_b32_e32 v8, 63, v1
	v_cmp_ne_u32_e32 vcc, 63, v8
	s_waitcnt vmcnt(0)
	v_addc_co_u32_e32 v4, vcc, 0, v1, vcc
	v_and_b32_e32 v6, 0xff, v7
	v_lshlrev_b32_e32 v5, 2, v4
	ds_bpermute_b32 v10, v5, v6
	ds_bpermute_b32 v4, v5, v2
	;; [unrolled: 1-line block ×3, first 2 shown]
	s_min_u32 s8, s10, 0x100
	v_and_b32_e32 v9, 0xc0, v0
	v_sub_u32_e64 v9, s8, v9 clamp
	v_add_u32_e32 v11, 1, v8
	v_cmp_lt_u32_e32 vcc, v11, v9
	s_and_saveexec_b64 s[4:5], vcc
	s_cbranch_execz .LBB21_29
; %bb.28:
	s_waitcnt lgkmcnt(0)
	v_and_b32_e32 v11, 1, v10
	v_cmp_lt_i64_e32 vcc, v[4:5], v[2:3]
	v_cmp_eq_u32_e64 s[0:1], 1, v11
	v_and_b32_e32 v6, 1, v7
	s_and_b64 vcc, s[0:1], vcc
	v_cndmask_b32_e64 v7, v7, 1, s[0:1]
	v_cndmask_b32_e32 v2, v2, v4, vcc
	v_cndmask_b32_e32 v3, v3, v5, vcc
	v_cmp_eq_u32_e32 vcc, 1, v6
	v_cndmask_b32_e32 v7, v10, v7, vcc
	v_cndmask_b32_e32 v3, v5, v3, vcc
	;; [unrolled: 1-line block ×3, first 2 shown]
	v_and_b32_e32 v6, 0xff, v7
.LBB21_29:
	s_or_b64 exec, exec, s[4:5]
	v_cmp_gt_u32_e32 vcc, 62, v8
	s_waitcnt lgkmcnt(0)
	v_cndmask_b32_e64 v4, 0, 1, vcc
	v_lshlrev_b32_e32 v4, 1, v4
	v_add_lshl_u32 v5, v4, v1, 2
	ds_bpermute_b32 v10, v5, v6
	ds_bpermute_b32 v4, v5, v2
	ds_bpermute_b32 v5, v5, v3
	v_add_u32_e32 v11, 2, v8
	v_cmp_lt_u32_e32 vcc, v11, v9
	s_and_saveexec_b64 s[4:5], vcc
	s_cbranch_execz .LBB21_31
; %bb.30:
	s_waitcnt lgkmcnt(2)
	v_and_b32_e32 v11, 1, v10
	s_waitcnt lgkmcnt(0)
	v_cmp_lt_i64_e32 vcc, v[4:5], v[2:3]
	v_cmp_eq_u32_e64 s[0:1], 1, v11
	v_and_b32_e32 v6, 1, v7
	s_and_b64 vcc, s[0:1], vcc
	v_cndmask_b32_e64 v7, v7, 1, s[0:1]
	v_cndmask_b32_e32 v2, v2, v4, vcc
	v_cndmask_b32_e32 v3, v3, v5, vcc
	v_cmp_eq_u32_e32 vcc, 1, v6
	v_cndmask_b32_e32 v7, v10, v7, vcc
	v_cndmask_b32_e32 v3, v5, v3, vcc
	v_cndmask_b32_e32 v2, v4, v2, vcc
	v_and_b32_e32 v6, 0xff, v7
.LBB21_31:
	s_or_b64 exec, exec, s[4:5]
	v_cmp_gt_u32_e32 vcc, 60, v8
	s_waitcnt lgkmcnt(1)
	v_cndmask_b32_e64 v4, 0, 1, vcc
	v_lshlrev_b32_e32 v4, 2, v4
	s_waitcnt lgkmcnt(0)
	v_add_lshl_u32 v5, v4, v1, 2
	ds_bpermute_b32 v10, v5, v6
	ds_bpermute_b32 v4, v5, v2
	ds_bpermute_b32 v5, v5, v3
	v_add_u32_e32 v11, 4, v8
	v_cmp_lt_u32_e32 vcc, v11, v9
	s_and_saveexec_b64 s[4:5], vcc
	s_cbranch_execz .LBB21_33
; %bb.32:
	s_waitcnt lgkmcnt(2)
	v_and_b32_e32 v11, 1, v10
	s_waitcnt lgkmcnt(0)
	v_cmp_lt_i64_e32 vcc, v[4:5], v[2:3]
	v_cmp_eq_u32_e64 s[0:1], 1, v11
	v_and_b32_e32 v6, 1, v7
	s_and_b64 vcc, s[0:1], vcc
	v_cndmask_b32_e64 v7, v7, 1, s[0:1]
	v_cndmask_b32_e32 v2, v2, v4, vcc
	v_cndmask_b32_e32 v3, v3, v5, vcc
	v_cmp_eq_u32_e32 vcc, 1, v6
	v_cndmask_b32_e32 v7, v10, v7, vcc
	v_cndmask_b32_e32 v3, v5, v3, vcc
	v_cndmask_b32_e32 v2, v4, v2, vcc
	v_and_b32_e32 v6, 0xff, v7
.LBB21_33:
	s_or_b64 exec, exec, s[4:5]
	v_cmp_gt_u32_e32 vcc, 56, v8
	s_waitcnt lgkmcnt(1)
	v_cndmask_b32_e64 v4, 0, 1, vcc
	v_lshlrev_b32_e32 v4, 3, v4
	s_waitcnt lgkmcnt(0)
	;; [unrolled: 31-line block ×4, first 2 shown]
	v_add_lshl_u32 v5, v4, v1, 2
	ds_bpermute_b32 v10, v5, v6
	ds_bpermute_b32 v4, v5, v2
	;; [unrolled: 1-line block ×3, first 2 shown]
	v_add_u32_e32 v8, 32, v8
	v_cmp_lt_u32_e32 vcc, v8, v9
	s_and_saveexec_b64 s[4:5], vcc
	s_cbranch_execz .LBB21_39
; %bb.38:
	s_waitcnt lgkmcnt(2)
	v_and_b32_e32 v8, 1, v10
	s_waitcnt lgkmcnt(0)
	v_cmp_lt_i64_e32 vcc, v[4:5], v[2:3]
	v_cmp_eq_u32_e64 s[0:1], 1, v8
	v_and_b32_e32 v6, 1, v7
	s_and_b64 vcc, s[0:1], vcc
	v_cndmask_b32_e64 v7, v7, 1, s[0:1]
	v_cndmask_b32_e32 v2, v2, v4, vcc
	v_cndmask_b32_e32 v3, v3, v5, vcc
	v_cmp_eq_u32_e32 vcc, 1, v6
	v_cndmask_b32_e32 v7, v10, v7, vcc
	v_cndmask_b32_e32 v3, v5, v3, vcc
	;; [unrolled: 1-line block ×3, first 2 shown]
	v_and_b32_e32 v6, 0xff, v7
.LBB21_39:
	s_or_b64 exec, exec, s[4:5]
	v_cmp_eq_u32_e32 vcc, 0, v1
	s_and_saveexec_b64 s[0:1], vcc
	s_cbranch_execz .LBB21_41
; %bb.40:
	s_waitcnt lgkmcnt(1)
	v_lshrrev_b32_e32 v4, 2, v0
	v_and_b32_e32 v4, 48, v4
	ds_write_b8 v4, v7 offset:64
	ds_write_b64 v4, v[2:3] offset:72
.LBB21_41:
	s_or_b64 exec, exec, s[0:1]
	v_cmp_gt_u32_e32 vcc, 4, v0
	s_waitcnt lgkmcnt(0)
	s_barrier
	s_and_saveexec_b64 s[4:5], vcc
	s_cbranch_execz .LBB21_47
; %bb.42:
	v_lshlrev_b32_e32 v2, 4, v1
	ds_read_u8 v7, v2 offset:64
	ds_read_b64 v[2:3], v2 offset:72
	v_and_b32_e32 v8, 3, v1
	v_cmp_ne_u32_e32 vcc, 3, v8
	v_addc_co_u32_e32 v4, vcc, 0, v1, vcc
	s_waitcnt lgkmcnt(1)
	v_and_b32_e32 v6, 0xff, v7
	v_lshlrev_b32_e32 v5, 2, v4
	ds_bpermute_b32 v9, v5, v6
	s_waitcnt lgkmcnt(1)
	ds_bpermute_b32 v4, v5, v2
	ds_bpermute_b32 v5, v5, v3
	s_add_i32 s8, s8, 63
	s_lshr_b32 s10, s8, 6
	v_add_u32_e32 v10, 1, v8
	v_cmp_gt_u32_e32 vcc, s10, v10
	s_and_saveexec_b64 s[8:9], vcc
	s_cbranch_execz .LBB21_44
; %bb.43:
	s_waitcnt lgkmcnt(2)
	v_and_b32_e32 v10, 1, v9
	s_waitcnt lgkmcnt(0)
	v_cmp_lt_i64_e32 vcc, v[4:5], v[2:3]
	v_cmp_eq_u32_e64 s[0:1], 1, v10
	v_and_b32_e32 v6, 1, v7
	s_and_b64 vcc, s[0:1], vcc
	v_cndmask_b32_e64 v7, v7, 1, s[0:1]
	v_cndmask_b32_e32 v2, v2, v4, vcc
	v_cndmask_b32_e32 v3, v3, v5, vcc
	v_cmp_eq_u32_e32 vcc, 1, v6
	v_cndmask_b32_e32 v7, v9, v7, vcc
	v_cndmask_b32_e32 v3, v5, v3, vcc
	;; [unrolled: 1-line block ×3, first 2 shown]
	v_and_b32_e32 v6, 0xff, v7
.LBB21_44:
	s_or_b64 exec, exec, s[8:9]
	v_cmp_gt_u32_e32 vcc, 2, v8
	s_waitcnt lgkmcnt(1)
	v_cndmask_b32_e64 v4, 0, 1, vcc
	v_lshlrev_b32_e32 v4, 1, v4
	s_waitcnt lgkmcnt(0)
	v_add_lshl_u32 v5, v4, v1, 2
	ds_bpermute_b32 v1, v5, v6
	ds_bpermute_b32 v4, v5, v2
	;; [unrolled: 1-line block ×3, first 2 shown]
	v_add_u32_e32 v8, 2, v8
	v_cmp_gt_u32_e32 vcc, s10, v8
	s_and_saveexec_b64 s[8:9], vcc
	s_cbranch_execz .LBB21_46
; %bb.45:
	s_waitcnt lgkmcnt(2)
	v_and_b32_e32 v8, 1, v1
	s_waitcnt lgkmcnt(0)
	v_cmp_lt_i64_e32 vcc, v[4:5], v[2:3]
	v_cmp_eq_u32_e64 s[0:1], 1, v8
	v_and_b32_e32 v6, 1, v7
	s_and_b64 vcc, s[0:1], vcc
	v_cndmask_b32_e64 v7, v7, 1, s[0:1]
	v_cndmask_b32_e32 v2, v2, v4, vcc
	v_cndmask_b32_e32 v3, v3, v5, vcc
	v_cmp_eq_u32_e32 vcc, 1, v6
	v_cndmask_b32_e32 v1, v1, v7, vcc
	v_cndmask_b32_e32 v3, v5, v3, vcc
	v_cndmask_b32_e32 v2, v4, v2, vcc
	v_and_b32_e32 v6, 0xff, v1
.LBB21_46:
	s_or_b64 exec, exec, s[8:9]
.LBB21_47:
	s_or_b64 exec, exec, s[4:5]
.LBB21_48:
	v_cmp_eq_u32_e32 vcc, 0, v0
	s_and_saveexec_b64 s[0:1], vcc
	s_cbranch_execnz .LBB21_50
; %bb.49:
	s_endpgm
.LBB21_50:
	s_mul_i32 s0, s18, s17
	s_mul_hi_u32 s1, s18, s16
	s_add_i32 s0, s1, s0
	s_mul_i32 s1, s19, s16
	s_add_i32 s1, s0, s1
	s_mul_i32 s0, s18, s16
	s_lshl_b64 s[0:1], s[0:1], 4
	s_add_u32 s4, s14, s0
	s_addc_u32 s5, s15, s1
	s_cmp_eq_u64 s[12:13], 0
	s_waitcnt lgkmcnt(0)
	v_mov_b32_e32 v0, s3
	s_cselect_b64 vcc, -1, 0
	v_cndmask_b32_e32 v1, v3, v0, vcc
	v_mov_b32_e32 v0, s2
	s_lshl_b64 s[0:1], s[6:7], 4
	v_cndmask_b32_e32 v0, v2, v0, vcc
	v_mov_b32_e32 v2, s11
	s_add_u32 s0, s4, s0
	v_cndmask_b32_e32 v2, v6, v2, vcc
	s_addc_u32 s1, s5, s1
	v_mov_b32_e32 v3, 0
	global_store_byte v3, v2, s[0:1]
	global_store_dwordx2 v3, v[0:1], s[0:1] offset:8
	s_endpgm
	.section	.rodata,"a",@progbits
	.p2align	6, 0x0
	.amdhsa_kernel _ZN7rocprim17ROCPRIM_400000_NS6detail17trampoline_kernelINS0_14default_configENS1_22reduce_config_selectorIN6thrust23THRUST_200600_302600_NS5tupleIblNS6_9null_typeES8_S8_S8_S8_S8_S8_S8_EEEEZNS1_11reduce_implILb1ES3_PS9_SC_S9_NS6_11hip_rocprim9__find_if7functorIS9_EEEE10hipError_tPvRmT1_T2_T3_mT4_P12ihipStream_tbEUlT_E0_NS1_11comp_targetILNS1_3genE4ELNS1_11target_archE910ELNS1_3gpuE8ELNS1_3repE0EEENS1_30default_config_static_selectorELNS0_4arch9wavefront6targetE1EEEvSK_
		.amdhsa_group_segment_fixed_size 128
		.amdhsa_private_segment_fixed_size 0
		.amdhsa_kernarg_size 72
		.amdhsa_user_sgpr_count 6
		.amdhsa_user_sgpr_private_segment_buffer 1
		.amdhsa_user_sgpr_dispatch_ptr 0
		.amdhsa_user_sgpr_queue_ptr 0
		.amdhsa_user_sgpr_kernarg_segment_ptr 1
		.amdhsa_user_sgpr_dispatch_id 0
		.amdhsa_user_sgpr_flat_scratch_init 0
		.amdhsa_user_sgpr_kernarg_preload_length 0
		.amdhsa_user_sgpr_kernarg_preload_offset 0
		.amdhsa_user_sgpr_private_segment_size 0
		.amdhsa_uses_dynamic_stack 0
		.amdhsa_system_sgpr_private_segment_wavefront_offset 0
		.amdhsa_system_sgpr_workgroup_id_x 1
		.amdhsa_system_sgpr_workgroup_id_y 0
		.amdhsa_system_sgpr_workgroup_id_z 0
		.amdhsa_system_sgpr_workgroup_info 0
		.amdhsa_system_vgpr_workitem_id 0
		.amdhsa_next_free_vgpr 12
		.amdhsa_next_free_sgpr 22
		.amdhsa_accum_offset 12
		.amdhsa_reserve_vcc 1
		.amdhsa_reserve_flat_scratch 0
		.amdhsa_float_round_mode_32 0
		.amdhsa_float_round_mode_16_64 0
		.amdhsa_float_denorm_mode_32 3
		.amdhsa_float_denorm_mode_16_64 3
		.amdhsa_dx10_clamp 1
		.amdhsa_ieee_mode 1
		.amdhsa_fp16_overflow 0
		.amdhsa_tg_split 0
		.amdhsa_exception_fp_ieee_invalid_op 0
		.amdhsa_exception_fp_denorm_src 0
		.amdhsa_exception_fp_ieee_div_zero 0
		.amdhsa_exception_fp_ieee_overflow 0
		.amdhsa_exception_fp_ieee_underflow 0
		.amdhsa_exception_fp_ieee_inexact 0
		.amdhsa_exception_int_div_zero 0
	.end_amdhsa_kernel
	.section	.text._ZN7rocprim17ROCPRIM_400000_NS6detail17trampoline_kernelINS0_14default_configENS1_22reduce_config_selectorIN6thrust23THRUST_200600_302600_NS5tupleIblNS6_9null_typeES8_S8_S8_S8_S8_S8_S8_EEEEZNS1_11reduce_implILb1ES3_PS9_SC_S9_NS6_11hip_rocprim9__find_if7functorIS9_EEEE10hipError_tPvRmT1_T2_T3_mT4_P12ihipStream_tbEUlT_E0_NS1_11comp_targetILNS1_3genE4ELNS1_11target_archE910ELNS1_3gpuE8ELNS1_3repE0EEENS1_30default_config_static_selectorELNS0_4arch9wavefront6targetE1EEEvSK_,"axG",@progbits,_ZN7rocprim17ROCPRIM_400000_NS6detail17trampoline_kernelINS0_14default_configENS1_22reduce_config_selectorIN6thrust23THRUST_200600_302600_NS5tupleIblNS6_9null_typeES8_S8_S8_S8_S8_S8_S8_EEEEZNS1_11reduce_implILb1ES3_PS9_SC_S9_NS6_11hip_rocprim9__find_if7functorIS9_EEEE10hipError_tPvRmT1_T2_T3_mT4_P12ihipStream_tbEUlT_E0_NS1_11comp_targetILNS1_3genE4ELNS1_11target_archE910ELNS1_3gpuE8ELNS1_3repE0EEENS1_30default_config_static_selectorELNS0_4arch9wavefront6targetE1EEEvSK_,comdat
.Lfunc_end21:
	.size	_ZN7rocprim17ROCPRIM_400000_NS6detail17trampoline_kernelINS0_14default_configENS1_22reduce_config_selectorIN6thrust23THRUST_200600_302600_NS5tupleIblNS6_9null_typeES8_S8_S8_S8_S8_S8_S8_EEEEZNS1_11reduce_implILb1ES3_PS9_SC_S9_NS6_11hip_rocprim9__find_if7functorIS9_EEEE10hipError_tPvRmT1_T2_T3_mT4_P12ihipStream_tbEUlT_E0_NS1_11comp_targetILNS1_3genE4ELNS1_11target_archE910ELNS1_3gpuE8ELNS1_3repE0EEENS1_30default_config_static_selectorELNS0_4arch9wavefront6targetE1EEEvSK_, .Lfunc_end21-_ZN7rocprim17ROCPRIM_400000_NS6detail17trampoline_kernelINS0_14default_configENS1_22reduce_config_selectorIN6thrust23THRUST_200600_302600_NS5tupleIblNS6_9null_typeES8_S8_S8_S8_S8_S8_S8_EEEEZNS1_11reduce_implILb1ES3_PS9_SC_S9_NS6_11hip_rocprim9__find_if7functorIS9_EEEE10hipError_tPvRmT1_T2_T3_mT4_P12ihipStream_tbEUlT_E0_NS1_11comp_targetILNS1_3genE4ELNS1_11target_archE910ELNS1_3gpuE8ELNS1_3repE0EEENS1_30default_config_static_selectorELNS0_4arch9wavefront6targetE1EEEvSK_
                                        ; -- End function
	.section	.AMDGPU.csdata,"",@progbits
; Kernel info:
; codeLenInByte = 2816
; NumSgprs: 26
; NumVgprs: 12
; NumAgprs: 0
; TotalNumVgprs: 12
; ScratchSize: 0
; MemoryBound: 0
; FloatMode: 240
; IeeeMode: 1
; LDSByteSize: 128 bytes/workgroup (compile time only)
; SGPRBlocks: 3
; VGPRBlocks: 1
; NumSGPRsForWavesPerEU: 26
; NumVGPRsForWavesPerEU: 12
; AccumOffset: 12
; Occupancy: 8
; WaveLimiterHint : 1
; COMPUTE_PGM_RSRC2:SCRATCH_EN: 0
; COMPUTE_PGM_RSRC2:USER_SGPR: 6
; COMPUTE_PGM_RSRC2:TRAP_HANDLER: 0
; COMPUTE_PGM_RSRC2:TGID_X_EN: 1
; COMPUTE_PGM_RSRC2:TGID_Y_EN: 0
; COMPUTE_PGM_RSRC2:TGID_Z_EN: 0
; COMPUTE_PGM_RSRC2:TIDIG_COMP_CNT: 0
; COMPUTE_PGM_RSRC3_GFX90A:ACCUM_OFFSET: 2
; COMPUTE_PGM_RSRC3_GFX90A:TG_SPLIT: 0
	.section	.text._ZN7rocprim17ROCPRIM_400000_NS6detail17trampoline_kernelINS0_14default_configENS1_22reduce_config_selectorIN6thrust23THRUST_200600_302600_NS5tupleIblNS6_9null_typeES8_S8_S8_S8_S8_S8_S8_EEEEZNS1_11reduce_implILb1ES3_PS9_SC_S9_NS6_11hip_rocprim9__find_if7functorIS9_EEEE10hipError_tPvRmT1_T2_T3_mT4_P12ihipStream_tbEUlT_E0_NS1_11comp_targetILNS1_3genE3ELNS1_11target_archE908ELNS1_3gpuE7ELNS1_3repE0EEENS1_30default_config_static_selectorELNS0_4arch9wavefront6targetE1EEEvSK_,"axG",@progbits,_ZN7rocprim17ROCPRIM_400000_NS6detail17trampoline_kernelINS0_14default_configENS1_22reduce_config_selectorIN6thrust23THRUST_200600_302600_NS5tupleIblNS6_9null_typeES8_S8_S8_S8_S8_S8_S8_EEEEZNS1_11reduce_implILb1ES3_PS9_SC_S9_NS6_11hip_rocprim9__find_if7functorIS9_EEEE10hipError_tPvRmT1_T2_T3_mT4_P12ihipStream_tbEUlT_E0_NS1_11comp_targetILNS1_3genE3ELNS1_11target_archE908ELNS1_3gpuE7ELNS1_3repE0EEENS1_30default_config_static_selectorELNS0_4arch9wavefront6targetE1EEEvSK_,comdat
	.protected	_ZN7rocprim17ROCPRIM_400000_NS6detail17trampoline_kernelINS0_14default_configENS1_22reduce_config_selectorIN6thrust23THRUST_200600_302600_NS5tupleIblNS6_9null_typeES8_S8_S8_S8_S8_S8_S8_EEEEZNS1_11reduce_implILb1ES3_PS9_SC_S9_NS6_11hip_rocprim9__find_if7functorIS9_EEEE10hipError_tPvRmT1_T2_T3_mT4_P12ihipStream_tbEUlT_E0_NS1_11comp_targetILNS1_3genE3ELNS1_11target_archE908ELNS1_3gpuE7ELNS1_3repE0EEENS1_30default_config_static_selectorELNS0_4arch9wavefront6targetE1EEEvSK_ ; -- Begin function _ZN7rocprim17ROCPRIM_400000_NS6detail17trampoline_kernelINS0_14default_configENS1_22reduce_config_selectorIN6thrust23THRUST_200600_302600_NS5tupleIblNS6_9null_typeES8_S8_S8_S8_S8_S8_S8_EEEEZNS1_11reduce_implILb1ES3_PS9_SC_S9_NS6_11hip_rocprim9__find_if7functorIS9_EEEE10hipError_tPvRmT1_T2_T3_mT4_P12ihipStream_tbEUlT_E0_NS1_11comp_targetILNS1_3genE3ELNS1_11target_archE908ELNS1_3gpuE7ELNS1_3repE0EEENS1_30default_config_static_selectorELNS0_4arch9wavefront6targetE1EEEvSK_
	.globl	_ZN7rocprim17ROCPRIM_400000_NS6detail17trampoline_kernelINS0_14default_configENS1_22reduce_config_selectorIN6thrust23THRUST_200600_302600_NS5tupleIblNS6_9null_typeES8_S8_S8_S8_S8_S8_S8_EEEEZNS1_11reduce_implILb1ES3_PS9_SC_S9_NS6_11hip_rocprim9__find_if7functorIS9_EEEE10hipError_tPvRmT1_T2_T3_mT4_P12ihipStream_tbEUlT_E0_NS1_11comp_targetILNS1_3genE3ELNS1_11target_archE908ELNS1_3gpuE7ELNS1_3repE0EEENS1_30default_config_static_selectorELNS0_4arch9wavefront6targetE1EEEvSK_
	.p2align	8
	.type	_ZN7rocprim17ROCPRIM_400000_NS6detail17trampoline_kernelINS0_14default_configENS1_22reduce_config_selectorIN6thrust23THRUST_200600_302600_NS5tupleIblNS6_9null_typeES8_S8_S8_S8_S8_S8_S8_EEEEZNS1_11reduce_implILb1ES3_PS9_SC_S9_NS6_11hip_rocprim9__find_if7functorIS9_EEEE10hipError_tPvRmT1_T2_T3_mT4_P12ihipStream_tbEUlT_E0_NS1_11comp_targetILNS1_3genE3ELNS1_11target_archE908ELNS1_3gpuE7ELNS1_3repE0EEENS1_30default_config_static_selectorELNS0_4arch9wavefront6targetE1EEEvSK_,@function
_ZN7rocprim17ROCPRIM_400000_NS6detail17trampoline_kernelINS0_14default_configENS1_22reduce_config_selectorIN6thrust23THRUST_200600_302600_NS5tupleIblNS6_9null_typeES8_S8_S8_S8_S8_S8_S8_EEEEZNS1_11reduce_implILb1ES3_PS9_SC_S9_NS6_11hip_rocprim9__find_if7functorIS9_EEEE10hipError_tPvRmT1_T2_T3_mT4_P12ihipStream_tbEUlT_E0_NS1_11comp_targetILNS1_3genE3ELNS1_11target_archE908ELNS1_3gpuE7ELNS1_3repE0EEENS1_30default_config_static_selectorELNS0_4arch9wavefront6targetE1EEEvSK_: ; @_ZN7rocprim17ROCPRIM_400000_NS6detail17trampoline_kernelINS0_14default_configENS1_22reduce_config_selectorIN6thrust23THRUST_200600_302600_NS5tupleIblNS6_9null_typeES8_S8_S8_S8_S8_S8_S8_EEEEZNS1_11reduce_implILb1ES3_PS9_SC_S9_NS6_11hip_rocprim9__find_if7functorIS9_EEEE10hipError_tPvRmT1_T2_T3_mT4_P12ihipStream_tbEUlT_E0_NS1_11comp_targetILNS1_3genE3ELNS1_11target_archE908ELNS1_3gpuE7ELNS1_3repE0EEENS1_30default_config_static_selectorELNS0_4arch9wavefront6targetE1EEEvSK_
; %bb.0:
	.section	.rodata,"a",@progbits
	.p2align	6, 0x0
	.amdhsa_kernel _ZN7rocprim17ROCPRIM_400000_NS6detail17trampoline_kernelINS0_14default_configENS1_22reduce_config_selectorIN6thrust23THRUST_200600_302600_NS5tupleIblNS6_9null_typeES8_S8_S8_S8_S8_S8_S8_EEEEZNS1_11reduce_implILb1ES3_PS9_SC_S9_NS6_11hip_rocprim9__find_if7functorIS9_EEEE10hipError_tPvRmT1_T2_T3_mT4_P12ihipStream_tbEUlT_E0_NS1_11comp_targetILNS1_3genE3ELNS1_11target_archE908ELNS1_3gpuE7ELNS1_3repE0EEENS1_30default_config_static_selectorELNS0_4arch9wavefront6targetE1EEEvSK_
		.amdhsa_group_segment_fixed_size 0
		.amdhsa_private_segment_fixed_size 0
		.amdhsa_kernarg_size 72
		.amdhsa_user_sgpr_count 6
		.amdhsa_user_sgpr_private_segment_buffer 1
		.amdhsa_user_sgpr_dispatch_ptr 0
		.amdhsa_user_sgpr_queue_ptr 0
		.amdhsa_user_sgpr_kernarg_segment_ptr 1
		.amdhsa_user_sgpr_dispatch_id 0
		.amdhsa_user_sgpr_flat_scratch_init 0
		.amdhsa_user_sgpr_kernarg_preload_length 0
		.amdhsa_user_sgpr_kernarg_preload_offset 0
		.amdhsa_user_sgpr_private_segment_size 0
		.amdhsa_uses_dynamic_stack 0
		.amdhsa_system_sgpr_private_segment_wavefront_offset 0
		.amdhsa_system_sgpr_workgroup_id_x 1
		.amdhsa_system_sgpr_workgroup_id_y 0
		.amdhsa_system_sgpr_workgroup_id_z 0
		.amdhsa_system_sgpr_workgroup_info 0
		.amdhsa_system_vgpr_workitem_id 0
		.amdhsa_next_free_vgpr 1
		.amdhsa_next_free_sgpr 0
		.amdhsa_accum_offset 4
		.amdhsa_reserve_vcc 0
		.amdhsa_reserve_flat_scratch 0
		.amdhsa_float_round_mode_32 0
		.amdhsa_float_round_mode_16_64 0
		.amdhsa_float_denorm_mode_32 3
		.amdhsa_float_denorm_mode_16_64 3
		.amdhsa_dx10_clamp 1
		.amdhsa_ieee_mode 1
		.amdhsa_fp16_overflow 0
		.amdhsa_tg_split 0
		.amdhsa_exception_fp_ieee_invalid_op 0
		.amdhsa_exception_fp_denorm_src 0
		.amdhsa_exception_fp_ieee_div_zero 0
		.amdhsa_exception_fp_ieee_overflow 0
		.amdhsa_exception_fp_ieee_underflow 0
		.amdhsa_exception_fp_ieee_inexact 0
		.amdhsa_exception_int_div_zero 0
	.end_amdhsa_kernel
	.section	.text._ZN7rocprim17ROCPRIM_400000_NS6detail17trampoline_kernelINS0_14default_configENS1_22reduce_config_selectorIN6thrust23THRUST_200600_302600_NS5tupleIblNS6_9null_typeES8_S8_S8_S8_S8_S8_S8_EEEEZNS1_11reduce_implILb1ES3_PS9_SC_S9_NS6_11hip_rocprim9__find_if7functorIS9_EEEE10hipError_tPvRmT1_T2_T3_mT4_P12ihipStream_tbEUlT_E0_NS1_11comp_targetILNS1_3genE3ELNS1_11target_archE908ELNS1_3gpuE7ELNS1_3repE0EEENS1_30default_config_static_selectorELNS0_4arch9wavefront6targetE1EEEvSK_,"axG",@progbits,_ZN7rocprim17ROCPRIM_400000_NS6detail17trampoline_kernelINS0_14default_configENS1_22reduce_config_selectorIN6thrust23THRUST_200600_302600_NS5tupleIblNS6_9null_typeES8_S8_S8_S8_S8_S8_S8_EEEEZNS1_11reduce_implILb1ES3_PS9_SC_S9_NS6_11hip_rocprim9__find_if7functorIS9_EEEE10hipError_tPvRmT1_T2_T3_mT4_P12ihipStream_tbEUlT_E0_NS1_11comp_targetILNS1_3genE3ELNS1_11target_archE908ELNS1_3gpuE7ELNS1_3repE0EEENS1_30default_config_static_selectorELNS0_4arch9wavefront6targetE1EEEvSK_,comdat
.Lfunc_end22:
	.size	_ZN7rocprim17ROCPRIM_400000_NS6detail17trampoline_kernelINS0_14default_configENS1_22reduce_config_selectorIN6thrust23THRUST_200600_302600_NS5tupleIblNS6_9null_typeES8_S8_S8_S8_S8_S8_S8_EEEEZNS1_11reduce_implILb1ES3_PS9_SC_S9_NS6_11hip_rocprim9__find_if7functorIS9_EEEE10hipError_tPvRmT1_T2_T3_mT4_P12ihipStream_tbEUlT_E0_NS1_11comp_targetILNS1_3genE3ELNS1_11target_archE908ELNS1_3gpuE7ELNS1_3repE0EEENS1_30default_config_static_selectorELNS0_4arch9wavefront6targetE1EEEvSK_, .Lfunc_end22-_ZN7rocprim17ROCPRIM_400000_NS6detail17trampoline_kernelINS0_14default_configENS1_22reduce_config_selectorIN6thrust23THRUST_200600_302600_NS5tupleIblNS6_9null_typeES8_S8_S8_S8_S8_S8_S8_EEEEZNS1_11reduce_implILb1ES3_PS9_SC_S9_NS6_11hip_rocprim9__find_if7functorIS9_EEEE10hipError_tPvRmT1_T2_T3_mT4_P12ihipStream_tbEUlT_E0_NS1_11comp_targetILNS1_3genE3ELNS1_11target_archE908ELNS1_3gpuE7ELNS1_3repE0EEENS1_30default_config_static_selectorELNS0_4arch9wavefront6targetE1EEEvSK_
                                        ; -- End function
	.section	.AMDGPU.csdata,"",@progbits
; Kernel info:
; codeLenInByte = 0
; NumSgprs: 4
; NumVgprs: 0
; NumAgprs: 0
; TotalNumVgprs: 0
; ScratchSize: 0
; MemoryBound: 0
; FloatMode: 240
; IeeeMode: 1
; LDSByteSize: 0 bytes/workgroup (compile time only)
; SGPRBlocks: 0
; VGPRBlocks: 0
; NumSGPRsForWavesPerEU: 4
; NumVGPRsForWavesPerEU: 1
; AccumOffset: 4
; Occupancy: 8
; WaveLimiterHint : 0
; COMPUTE_PGM_RSRC2:SCRATCH_EN: 0
; COMPUTE_PGM_RSRC2:USER_SGPR: 6
; COMPUTE_PGM_RSRC2:TRAP_HANDLER: 0
; COMPUTE_PGM_RSRC2:TGID_X_EN: 1
; COMPUTE_PGM_RSRC2:TGID_Y_EN: 0
; COMPUTE_PGM_RSRC2:TGID_Z_EN: 0
; COMPUTE_PGM_RSRC2:TIDIG_COMP_CNT: 0
; COMPUTE_PGM_RSRC3_GFX90A:ACCUM_OFFSET: 0
; COMPUTE_PGM_RSRC3_GFX90A:TG_SPLIT: 0
	.section	.text._ZN7rocprim17ROCPRIM_400000_NS6detail17trampoline_kernelINS0_14default_configENS1_22reduce_config_selectorIN6thrust23THRUST_200600_302600_NS5tupleIblNS6_9null_typeES8_S8_S8_S8_S8_S8_S8_EEEEZNS1_11reduce_implILb1ES3_PS9_SC_S9_NS6_11hip_rocprim9__find_if7functorIS9_EEEE10hipError_tPvRmT1_T2_T3_mT4_P12ihipStream_tbEUlT_E0_NS1_11comp_targetILNS1_3genE2ELNS1_11target_archE906ELNS1_3gpuE6ELNS1_3repE0EEENS1_30default_config_static_selectorELNS0_4arch9wavefront6targetE1EEEvSK_,"axG",@progbits,_ZN7rocprim17ROCPRIM_400000_NS6detail17trampoline_kernelINS0_14default_configENS1_22reduce_config_selectorIN6thrust23THRUST_200600_302600_NS5tupleIblNS6_9null_typeES8_S8_S8_S8_S8_S8_S8_EEEEZNS1_11reduce_implILb1ES3_PS9_SC_S9_NS6_11hip_rocprim9__find_if7functorIS9_EEEE10hipError_tPvRmT1_T2_T3_mT4_P12ihipStream_tbEUlT_E0_NS1_11comp_targetILNS1_3genE2ELNS1_11target_archE906ELNS1_3gpuE6ELNS1_3repE0EEENS1_30default_config_static_selectorELNS0_4arch9wavefront6targetE1EEEvSK_,comdat
	.protected	_ZN7rocprim17ROCPRIM_400000_NS6detail17trampoline_kernelINS0_14default_configENS1_22reduce_config_selectorIN6thrust23THRUST_200600_302600_NS5tupleIblNS6_9null_typeES8_S8_S8_S8_S8_S8_S8_EEEEZNS1_11reduce_implILb1ES3_PS9_SC_S9_NS6_11hip_rocprim9__find_if7functorIS9_EEEE10hipError_tPvRmT1_T2_T3_mT4_P12ihipStream_tbEUlT_E0_NS1_11comp_targetILNS1_3genE2ELNS1_11target_archE906ELNS1_3gpuE6ELNS1_3repE0EEENS1_30default_config_static_selectorELNS0_4arch9wavefront6targetE1EEEvSK_ ; -- Begin function _ZN7rocprim17ROCPRIM_400000_NS6detail17trampoline_kernelINS0_14default_configENS1_22reduce_config_selectorIN6thrust23THRUST_200600_302600_NS5tupleIblNS6_9null_typeES8_S8_S8_S8_S8_S8_S8_EEEEZNS1_11reduce_implILb1ES3_PS9_SC_S9_NS6_11hip_rocprim9__find_if7functorIS9_EEEE10hipError_tPvRmT1_T2_T3_mT4_P12ihipStream_tbEUlT_E0_NS1_11comp_targetILNS1_3genE2ELNS1_11target_archE906ELNS1_3gpuE6ELNS1_3repE0EEENS1_30default_config_static_selectorELNS0_4arch9wavefront6targetE1EEEvSK_
	.globl	_ZN7rocprim17ROCPRIM_400000_NS6detail17trampoline_kernelINS0_14default_configENS1_22reduce_config_selectorIN6thrust23THRUST_200600_302600_NS5tupleIblNS6_9null_typeES8_S8_S8_S8_S8_S8_S8_EEEEZNS1_11reduce_implILb1ES3_PS9_SC_S9_NS6_11hip_rocprim9__find_if7functorIS9_EEEE10hipError_tPvRmT1_T2_T3_mT4_P12ihipStream_tbEUlT_E0_NS1_11comp_targetILNS1_3genE2ELNS1_11target_archE906ELNS1_3gpuE6ELNS1_3repE0EEENS1_30default_config_static_selectorELNS0_4arch9wavefront6targetE1EEEvSK_
	.p2align	8
	.type	_ZN7rocprim17ROCPRIM_400000_NS6detail17trampoline_kernelINS0_14default_configENS1_22reduce_config_selectorIN6thrust23THRUST_200600_302600_NS5tupleIblNS6_9null_typeES8_S8_S8_S8_S8_S8_S8_EEEEZNS1_11reduce_implILb1ES3_PS9_SC_S9_NS6_11hip_rocprim9__find_if7functorIS9_EEEE10hipError_tPvRmT1_T2_T3_mT4_P12ihipStream_tbEUlT_E0_NS1_11comp_targetILNS1_3genE2ELNS1_11target_archE906ELNS1_3gpuE6ELNS1_3repE0EEENS1_30default_config_static_selectorELNS0_4arch9wavefront6targetE1EEEvSK_,@function
_ZN7rocprim17ROCPRIM_400000_NS6detail17trampoline_kernelINS0_14default_configENS1_22reduce_config_selectorIN6thrust23THRUST_200600_302600_NS5tupleIblNS6_9null_typeES8_S8_S8_S8_S8_S8_S8_EEEEZNS1_11reduce_implILb1ES3_PS9_SC_S9_NS6_11hip_rocprim9__find_if7functorIS9_EEEE10hipError_tPvRmT1_T2_T3_mT4_P12ihipStream_tbEUlT_E0_NS1_11comp_targetILNS1_3genE2ELNS1_11target_archE906ELNS1_3gpuE6ELNS1_3repE0EEENS1_30default_config_static_selectorELNS0_4arch9wavefront6targetE1EEEvSK_: ; @_ZN7rocprim17ROCPRIM_400000_NS6detail17trampoline_kernelINS0_14default_configENS1_22reduce_config_selectorIN6thrust23THRUST_200600_302600_NS5tupleIblNS6_9null_typeES8_S8_S8_S8_S8_S8_S8_EEEEZNS1_11reduce_implILb1ES3_PS9_SC_S9_NS6_11hip_rocprim9__find_if7functorIS9_EEEE10hipError_tPvRmT1_T2_T3_mT4_P12ihipStream_tbEUlT_E0_NS1_11comp_targetILNS1_3genE2ELNS1_11target_archE906ELNS1_3gpuE6ELNS1_3repE0EEENS1_30default_config_static_selectorELNS0_4arch9wavefront6targetE1EEEvSK_
; %bb.0:
	.section	.rodata,"a",@progbits
	.p2align	6, 0x0
	.amdhsa_kernel _ZN7rocprim17ROCPRIM_400000_NS6detail17trampoline_kernelINS0_14default_configENS1_22reduce_config_selectorIN6thrust23THRUST_200600_302600_NS5tupleIblNS6_9null_typeES8_S8_S8_S8_S8_S8_S8_EEEEZNS1_11reduce_implILb1ES3_PS9_SC_S9_NS6_11hip_rocprim9__find_if7functorIS9_EEEE10hipError_tPvRmT1_T2_T3_mT4_P12ihipStream_tbEUlT_E0_NS1_11comp_targetILNS1_3genE2ELNS1_11target_archE906ELNS1_3gpuE6ELNS1_3repE0EEENS1_30default_config_static_selectorELNS0_4arch9wavefront6targetE1EEEvSK_
		.amdhsa_group_segment_fixed_size 0
		.amdhsa_private_segment_fixed_size 0
		.amdhsa_kernarg_size 72
		.amdhsa_user_sgpr_count 6
		.amdhsa_user_sgpr_private_segment_buffer 1
		.amdhsa_user_sgpr_dispatch_ptr 0
		.amdhsa_user_sgpr_queue_ptr 0
		.amdhsa_user_sgpr_kernarg_segment_ptr 1
		.amdhsa_user_sgpr_dispatch_id 0
		.amdhsa_user_sgpr_flat_scratch_init 0
		.amdhsa_user_sgpr_kernarg_preload_length 0
		.amdhsa_user_sgpr_kernarg_preload_offset 0
		.amdhsa_user_sgpr_private_segment_size 0
		.amdhsa_uses_dynamic_stack 0
		.amdhsa_system_sgpr_private_segment_wavefront_offset 0
		.amdhsa_system_sgpr_workgroup_id_x 1
		.amdhsa_system_sgpr_workgroup_id_y 0
		.amdhsa_system_sgpr_workgroup_id_z 0
		.amdhsa_system_sgpr_workgroup_info 0
		.amdhsa_system_vgpr_workitem_id 0
		.amdhsa_next_free_vgpr 1
		.amdhsa_next_free_sgpr 0
		.amdhsa_accum_offset 4
		.amdhsa_reserve_vcc 0
		.amdhsa_reserve_flat_scratch 0
		.amdhsa_float_round_mode_32 0
		.amdhsa_float_round_mode_16_64 0
		.amdhsa_float_denorm_mode_32 3
		.amdhsa_float_denorm_mode_16_64 3
		.amdhsa_dx10_clamp 1
		.amdhsa_ieee_mode 1
		.amdhsa_fp16_overflow 0
		.amdhsa_tg_split 0
		.amdhsa_exception_fp_ieee_invalid_op 0
		.amdhsa_exception_fp_denorm_src 0
		.amdhsa_exception_fp_ieee_div_zero 0
		.amdhsa_exception_fp_ieee_overflow 0
		.amdhsa_exception_fp_ieee_underflow 0
		.amdhsa_exception_fp_ieee_inexact 0
		.amdhsa_exception_int_div_zero 0
	.end_amdhsa_kernel
	.section	.text._ZN7rocprim17ROCPRIM_400000_NS6detail17trampoline_kernelINS0_14default_configENS1_22reduce_config_selectorIN6thrust23THRUST_200600_302600_NS5tupleIblNS6_9null_typeES8_S8_S8_S8_S8_S8_S8_EEEEZNS1_11reduce_implILb1ES3_PS9_SC_S9_NS6_11hip_rocprim9__find_if7functorIS9_EEEE10hipError_tPvRmT1_T2_T3_mT4_P12ihipStream_tbEUlT_E0_NS1_11comp_targetILNS1_3genE2ELNS1_11target_archE906ELNS1_3gpuE6ELNS1_3repE0EEENS1_30default_config_static_selectorELNS0_4arch9wavefront6targetE1EEEvSK_,"axG",@progbits,_ZN7rocprim17ROCPRIM_400000_NS6detail17trampoline_kernelINS0_14default_configENS1_22reduce_config_selectorIN6thrust23THRUST_200600_302600_NS5tupleIblNS6_9null_typeES8_S8_S8_S8_S8_S8_S8_EEEEZNS1_11reduce_implILb1ES3_PS9_SC_S9_NS6_11hip_rocprim9__find_if7functorIS9_EEEE10hipError_tPvRmT1_T2_T3_mT4_P12ihipStream_tbEUlT_E0_NS1_11comp_targetILNS1_3genE2ELNS1_11target_archE906ELNS1_3gpuE6ELNS1_3repE0EEENS1_30default_config_static_selectorELNS0_4arch9wavefront6targetE1EEEvSK_,comdat
.Lfunc_end23:
	.size	_ZN7rocprim17ROCPRIM_400000_NS6detail17trampoline_kernelINS0_14default_configENS1_22reduce_config_selectorIN6thrust23THRUST_200600_302600_NS5tupleIblNS6_9null_typeES8_S8_S8_S8_S8_S8_S8_EEEEZNS1_11reduce_implILb1ES3_PS9_SC_S9_NS6_11hip_rocprim9__find_if7functorIS9_EEEE10hipError_tPvRmT1_T2_T3_mT4_P12ihipStream_tbEUlT_E0_NS1_11comp_targetILNS1_3genE2ELNS1_11target_archE906ELNS1_3gpuE6ELNS1_3repE0EEENS1_30default_config_static_selectorELNS0_4arch9wavefront6targetE1EEEvSK_, .Lfunc_end23-_ZN7rocprim17ROCPRIM_400000_NS6detail17trampoline_kernelINS0_14default_configENS1_22reduce_config_selectorIN6thrust23THRUST_200600_302600_NS5tupleIblNS6_9null_typeES8_S8_S8_S8_S8_S8_S8_EEEEZNS1_11reduce_implILb1ES3_PS9_SC_S9_NS6_11hip_rocprim9__find_if7functorIS9_EEEE10hipError_tPvRmT1_T2_T3_mT4_P12ihipStream_tbEUlT_E0_NS1_11comp_targetILNS1_3genE2ELNS1_11target_archE906ELNS1_3gpuE6ELNS1_3repE0EEENS1_30default_config_static_selectorELNS0_4arch9wavefront6targetE1EEEvSK_
                                        ; -- End function
	.section	.AMDGPU.csdata,"",@progbits
; Kernel info:
; codeLenInByte = 0
; NumSgprs: 4
; NumVgprs: 0
; NumAgprs: 0
; TotalNumVgprs: 0
; ScratchSize: 0
; MemoryBound: 0
; FloatMode: 240
; IeeeMode: 1
; LDSByteSize: 0 bytes/workgroup (compile time only)
; SGPRBlocks: 0
; VGPRBlocks: 0
; NumSGPRsForWavesPerEU: 4
; NumVGPRsForWavesPerEU: 1
; AccumOffset: 4
; Occupancy: 8
; WaveLimiterHint : 0
; COMPUTE_PGM_RSRC2:SCRATCH_EN: 0
; COMPUTE_PGM_RSRC2:USER_SGPR: 6
; COMPUTE_PGM_RSRC2:TRAP_HANDLER: 0
; COMPUTE_PGM_RSRC2:TGID_X_EN: 1
; COMPUTE_PGM_RSRC2:TGID_Y_EN: 0
; COMPUTE_PGM_RSRC2:TGID_Z_EN: 0
; COMPUTE_PGM_RSRC2:TIDIG_COMP_CNT: 0
; COMPUTE_PGM_RSRC3_GFX90A:ACCUM_OFFSET: 0
; COMPUTE_PGM_RSRC3_GFX90A:TG_SPLIT: 0
	.section	.text._ZN7rocprim17ROCPRIM_400000_NS6detail17trampoline_kernelINS0_14default_configENS1_22reduce_config_selectorIN6thrust23THRUST_200600_302600_NS5tupleIblNS6_9null_typeES8_S8_S8_S8_S8_S8_S8_EEEEZNS1_11reduce_implILb1ES3_PS9_SC_S9_NS6_11hip_rocprim9__find_if7functorIS9_EEEE10hipError_tPvRmT1_T2_T3_mT4_P12ihipStream_tbEUlT_E0_NS1_11comp_targetILNS1_3genE10ELNS1_11target_archE1201ELNS1_3gpuE5ELNS1_3repE0EEENS1_30default_config_static_selectorELNS0_4arch9wavefront6targetE1EEEvSK_,"axG",@progbits,_ZN7rocprim17ROCPRIM_400000_NS6detail17trampoline_kernelINS0_14default_configENS1_22reduce_config_selectorIN6thrust23THRUST_200600_302600_NS5tupleIblNS6_9null_typeES8_S8_S8_S8_S8_S8_S8_EEEEZNS1_11reduce_implILb1ES3_PS9_SC_S9_NS6_11hip_rocprim9__find_if7functorIS9_EEEE10hipError_tPvRmT1_T2_T3_mT4_P12ihipStream_tbEUlT_E0_NS1_11comp_targetILNS1_3genE10ELNS1_11target_archE1201ELNS1_3gpuE5ELNS1_3repE0EEENS1_30default_config_static_selectorELNS0_4arch9wavefront6targetE1EEEvSK_,comdat
	.protected	_ZN7rocprim17ROCPRIM_400000_NS6detail17trampoline_kernelINS0_14default_configENS1_22reduce_config_selectorIN6thrust23THRUST_200600_302600_NS5tupleIblNS6_9null_typeES8_S8_S8_S8_S8_S8_S8_EEEEZNS1_11reduce_implILb1ES3_PS9_SC_S9_NS6_11hip_rocprim9__find_if7functorIS9_EEEE10hipError_tPvRmT1_T2_T3_mT4_P12ihipStream_tbEUlT_E0_NS1_11comp_targetILNS1_3genE10ELNS1_11target_archE1201ELNS1_3gpuE5ELNS1_3repE0EEENS1_30default_config_static_selectorELNS0_4arch9wavefront6targetE1EEEvSK_ ; -- Begin function _ZN7rocprim17ROCPRIM_400000_NS6detail17trampoline_kernelINS0_14default_configENS1_22reduce_config_selectorIN6thrust23THRUST_200600_302600_NS5tupleIblNS6_9null_typeES8_S8_S8_S8_S8_S8_S8_EEEEZNS1_11reduce_implILb1ES3_PS9_SC_S9_NS6_11hip_rocprim9__find_if7functorIS9_EEEE10hipError_tPvRmT1_T2_T3_mT4_P12ihipStream_tbEUlT_E0_NS1_11comp_targetILNS1_3genE10ELNS1_11target_archE1201ELNS1_3gpuE5ELNS1_3repE0EEENS1_30default_config_static_selectorELNS0_4arch9wavefront6targetE1EEEvSK_
	.globl	_ZN7rocprim17ROCPRIM_400000_NS6detail17trampoline_kernelINS0_14default_configENS1_22reduce_config_selectorIN6thrust23THRUST_200600_302600_NS5tupleIblNS6_9null_typeES8_S8_S8_S8_S8_S8_S8_EEEEZNS1_11reduce_implILb1ES3_PS9_SC_S9_NS6_11hip_rocprim9__find_if7functorIS9_EEEE10hipError_tPvRmT1_T2_T3_mT4_P12ihipStream_tbEUlT_E0_NS1_11comp_targetILNS1_3genE10ELNS1_11target_archE1201ELNS1_3gpuE5ELNS1_3repE0EEENS1_30default_config_static_selectorELNS0_4arch9wavefront6targetE1EEEvSK_
	.p2align	8
	.type	_ZN7rocprim17ROCPRIM_400000_NS6detail17trampoline_kernelINS0_14default_configENS1_22reduce_config_selectorIN6thrust23THRUST_200600_302600_NS5tupleIblNS6_9null_typeES8_S8_S8_S8_S8_S8_S8_EEEEZNS1_11reduce_implILb1ES3_PS9_SC_S9_NS6_11hip_rocprim9__find_if7functorIS9_EEEE10hipError_tPvRmT1_T2_T3_mT4_P12ihipStream_tbEUlT_E0_NS1_11comp_targetILNS1_3genE10ELNS1_11target_archE1201ELNS1_3gpuE5ELNS1_3repE0EEENS1_30default_config_static_selectorELNS0_4arch9wavefront6targetE1EEEvSK_,@function
_ZN7rocprim17ROCPRIM_400000_NS6detail17trampoline_kernelINS0_14default_configENS1_22reduce_config_selectorIN6thrust23THRUST_200600_302600_NS5tupleIblNS6_9null_typeES8_S8_S8_S8_S8_S8_S8_EEEEZNS1_11reduce_implILb1ES3_PS9_SC_S9_NS6_11hip_rocprim9__find_if7functorIS9_EEEE10hipError_tPvRmT1_T2_T3_mT4_P12ihipStream_tbEUlT_E0_NS1_11comp_targetILNS1_3genE10ELNS1_11target_archE1201ELNS1_3gpuE5ELNS1_3repE0EEENS1_30default_config_static_selectorELNS0_4arch9wavefront6targetE1EEEvSK_: ; @_ZN7rocprim17ROCPRIM_400000_NS6detail17trampoline_kernelINS0_14default_configENS1_22reduce_config_selectorIN6thrust23THRUST_200600_302600_NS5tupleIblNS6_9null_typeES8_S8_S8_S8_S8_S8_S8_EEEEZNS1_11reduce_implILb1ES3_PS9_SC_S9_NS6_11hip_rocprim9__find_if7functorIS9_EEEE10hipError_tPvRmT1_T2_T3_mT4_P12ihipStream_tbEUlT_E0_NS1_11comp_targetILNS1_3genE10ELNS1_11target_archE1201ELNS1_3gpuE5ELNS1_3repE0EEENS1_30default_config_static_selectorELNS0_4arch9wavefront6targetE1EEEvSK_
; %bb.0:
	.section	.rodata,"a",@progbits
	.p2align	6, 0x0
	.amdhsa_kernel _ZN7rocprim17ROCPRIM_400000_NS6detail17trampoline_kernelINS0_14default_configENS1_22reduce_config_selectorIN6thrust23THRUST_200600_302600_NS5tupleIblNS6_9null_typeES8_S8_S8_S8_S8_S8_S8_EEEEZNS1_11reduce_implILb1ES3_PS9_SC_S9_NS6_11hip_rocprim9__find_if7functorIS9_EEEE10hipError_tPvRmT1_T2_T3_mT4_P12ihipStream_tbEUlT_E0_NS1_11comp_targetILNS1_3genE10ELNS1_11target_archE1201ELNS1_3gpuE5ELNS1_3repE0EEENS1_30default_config_static_selectorELNS0_4arch9wavefront6targetE1EEEvSK_
		.amdhsa_group_segment_fixed_size 0
		.amdhsa_private_segment_fixed_size 0
		.amdhsa_kernarg_size 72
		.amdhsa_user_sgpr_count 6
		.amdhsa_user_sgpr_private_segment_buffer 1
		.amdhsa_user_sgpr_dispatch_ptr 0
		.amdhsa_user_sgpr_queue_ptr 0
		.amdhsa_user_sgpr_kernarg_segment_ptr 1
		.amdhsa_user_sgpr_dispatch_id 0
		.amdhsa_user_sgpr_flat_scratch_init 0
		.amdhsa_user_sgpr_kernarg_preload_length 0
		.amdhsa_user_sgpr_kernarg_preload_offset 0
		.amdhsa_user_sgpr_private_segment_size 0
		.amdhsa_uses_dynamic_stack 0
		.amdhsa_system_sgpr_private_segment_wavefront_offset 0
		.amdhsa_system_sgpr_workgroup_id_x 1
		.amdhsa_system_sgpr_workgroup_id_y 0
		.amdhsa_system_sgpr_workgroup_id_z 0
		.amdhsa_system_sgpr_workgroup_info 0
		.amdhsa_system_vgpr_workitem_id 0
		.amdhsa_next_free_vgpr 1
		.amdhsa_next_free_sgpr 0
		.amdhsa_accum_offset 4
		.amdhsa_reserve_vcc 0
		.amdhsa_reserve_flat_scratch 0
		.amdhsa_float_round_mode_32 0
		.amdhsa_float_round_mode_16_64 0
		.amdhsa_float_denorm_mode_32 3
		.amdhsa_float_denorm_mode_16_64 3
		.amdhsa_dx10_clamp 1
		.amdhsa_ieee_mode 1
		.amdhsa_fp16_overflow 0
		.amdhsa_tg_split 0
		.amdhsa_exception_fp_ieee_invalid_op 0
		.amdhsa_exception_fp_denorm_src 0
		.amdhsa_exception_fp_ieee_div_zero 0
		.amdhsa_exception_fp_ieee_overflow 0
		.amdhsa_exception_fp_ieee_underflow 0
		.amdhsa_exception_fp_ieee_inexact 0
		.amdhsa_exception_int_div_zero 0
	.end_amdhsa_kernel
	.section	.text._ZN7rocprim17ROCPRIM_400000_NS6detail17trampoline_kernelINS0_14default_configENS1_22reduce_config_selectorIN6thrust23THRUST_200600_302600_NS5tupleIblNS6_9null_typeES8_S8_S8_S8_S8_S8_S8_EEEEZNS1_11reduce_implILb1ES3_PS9_SC_S9_NS6_11hip_rocprim9__find_if7functorIS9_EEEE10hipError_tPvRmT1_T2_T3_mT4_P12ihipStream_tbEUlT_E0_NS1_11comp_targetILNS1_3genE10ELNS1_11target_archE1201ELNS1_3gpuE5ELNS1_3repE0EEENS1_30default_config_static_selectorELNS0_4arch9wavefront6targetE1EEEvSK_,"axG",@progbits,_ZN7rocprim17ROCPRIM_400000_NS6detail17trampoline_kernelINS0_14default_configENS1_22reduce_config_selectorIN6thrust23THRUST_200600_302600_NS5tupleIblNS6_9null_typeES8_S8_S8_S8_S8_S8_S8_EEEEZNS1_11reduce_implILb1ES3_PS9_SC_S9_NS6_11hip_rocprim9__find_if7functorIS9_EEEE10hipError_tPvRmT1_T2_T3_mT4_P12ihipStream_tbEUlT_E0_NS1_11comp_targetILNS1_3genE10ELNS1_11target_archE1201ELNS1_3gpuE5ELNS1_3repE0EEENS1_30default_config_static_selectorELNS0_4arch9wavefront6targetE1EEEvSK_,comdat
.Lfunc_end24:
	.size	_ZN7rocprim17ROCPRIM_400000_NS6detail17trampoline_kernelINS0_14default_configENS1_22reduce_config_selectorIN6thrust23THRUST_200600_302600_NS5tupleIblNS6_9null_typeES8_S8_S8_S8_S8_S8_S8_EEEEZNS1_11reduce_implILb1ES3_PS9_SC_S9_NS6_11hip_rocprim9__find_if7functorIS9_EEEE10hipError_tPvRmT1_T2_T3_mT4_P12ihipStream_tbEUlT_E0_NS1_11comp_targetILNS1_3genE10ELNS1_11target_archE1201ELNS1_3gpuE5ELNS1_3repE0EEENS1_30default_config_static_selectorELNS0_4arch9wavefront6targetE1EEEvSK_, .Lfunc_end24-_ZN7rocprim17ROCPRIM_400000_NS6detail17trampoline_kernelINS0_14default_configENS1_22reduce_config_selectorIN6thrust23THRUST_200600_302600_NS5tupleIblNS6_9null_typeES8_S8_S8_S8_S8_S8_S8_EEEEZNS1_11reduce_implILb1ES3_PS9_SC_S9_NS6_11hip_rocprim9__find_if7functorIS9_EEEE10hipError_tPvRmT1_T2_T3_mT4_P12ihipStream_tbEUlT_E0_NS1_11comp_targetILNS1_3genE10ELNS1_11target_archE1201ELNS1_3gpuE5ELNS1_3repE0EEENS1_30default_config_static_selectorELNS0_4arch9wavefront6targetE1EEEvSK_
                                        ; -- End function
	.section	.AMDGPU.csdata,"",@progbits
; Kernel info:
; codeLenInByte = 0
; NumSgprs: 4
; NumVgprs: 0
; NumAgprs: 0
; TotalNumVgprs: 0
; ScratchSize: 0
; MemoryBound: 0
; FloatMode: 240
; IeeeMode: 1
; LDSByteSize: 0 bytes/workgroup (compile time only)
; SGPRBlocks: 0
; VGPRBlocks: 0
; NumSGPRsForWavesPerEU: 4
; NumVGPRsForWavesPerEU: 1
; AccumOffset: 4
; Occupancy: 8
; WaveLimiterHint : 0
; COMPUTE_PGM_RSRC2:SCRATCH_EN: 0
; COMPUTE_PGM_RSRC2:USER_SGPR: 6
; COMPUTE_PGM_RSRC2:TRAP_HANDLER: 0
; COMPUTE_PGM_RSRC2:TGID_X_EN: 1
; COMPUTE_PGM_RSRC2:TGID_Y_EN: 0
; COMPUTE_PGM_RSRC2:TGID_Z_EN: 0
; COMPUTE_PGM_RSRC2:TIDIG_COMP_CNT: 0
; COMPUTE_PGM_RSRC3_GFX90A:ACCUM_OFFSET: 0
; COMPUTE_PGM_RSRC3_GFX90A:TG_SPLIT: 0
	.section	.text._ZN7rocprim17ROCPRIM_400000_NS6detail17trampoline_kernelINS0_14default_configENS1_22reduce_config_selectorIN6thrust23THRUST_200600_302600_NS5tupleIblNS6_9null_typeES8_S8_S8_S8_S8_S8_S8_EEEEZNS1_11reduce_implILb1ES3_PS9_SC_S9_NS6_11hip_rocprim9__find_if7functorIS9_EEEE10hipError_tPvRmT1_T2_T3_mT4_P12ihipStream_tbEUlT_E0_NS1_11comp_targetILNS1_3genE10ELNS1_11target_archE1200ELNS1_3gpuE4ELNS1_3repE0EEENS1_30default_config_static_selectorELNS0_4arch9wavefront6targetE1EEEvSK_,"axG",@progbits,_ZN7rocprim17ROCPRIM_400000_NS6detail17trampoline_kernelINS0_14default_configENS1_22reduce_config_selectorIN6thrust23THRUST_200600_302600_NS5tupleIblNS6_9null_typeES8_S8_S8_S8_S8_S8_S8_EEEEZNS1_11reduce_implILb1ES3_PS9_SC_S9_NS6_11hip_rocprim9__find_if7functorIS9_EEEE10hipError_tPvRmT1_T2_T3_mT4_P12ihipStream_tbEUlT_E0_NS1_11comp_targetILNS1_3genE10ELNS1_11target_archE1200ELNS1_3gpuE4ELNS1_3repE0EEENS1_30default_config_static_selectorELNS0_4arch9wavefront6targetE1EEEvSK_,comdat
	.protected	_ZN7rocprim17ROCPRIM_400000_NS6detail17trampoline_kernelINS0_14default_configENS1_22reduce_config_selectorIN6thrust23THRUST_200600_302600_NS5tupleIblNS6_9null_typeES8_S8_S8_S8_S8_S8_S8_EEEEZNS1_11reduce_implILb1ES3_PS9_SC_S9_NS6_11hip_rocprim9__find_if7functorIS9_EEEE10hipError_tPvRmT1_T2_T3_mT4_P12ihipStream_tbEUlT_E0_NS1_11comp_targetILNS1_3genE10ELNS1_11target_archE1200ELNS1_3gpuE4ELNS1_3repE0EEENS1_30default_config_static_selectorELNS0_4arch9wavefront6targetE1EEEvSK_ ; -- Begin function _ZN7rocprim17ROCPRIM_400000_NS6detail17trampoline_kernelINS0_14default_configENS1_22reduce_config_selectorIN6thrust23THRUST_200600_302600_NS5tupleIblNS6_9null_typeES8_S8_S8_S8_S8_S8_S8_EEEEZNS1_11reduce_implILb1ES3_PS9_SC_S9_NS6_11hip_rocprim9__find_if7functorIS9_EEEE10hipError_tPvRmT1_T2_T3_mT4_P12ihipStream_tbEUlT_E0_NS1_11comp_targetILNS1_3genE10ELNS1_11target_archE1200ELNS1_3gpuE4ELNS1_3repE0EEENS1_30default_config_static_selectorELNS0_4arch9wavefront6targetE1EEEvSK_
	.globl	_ZN7rocprim17ROCPRIM_400000_NS6detail17trampoline_kernelINS0_14default_configENS1_22reduce_config_selectorIN6thrust23THRUST_200600_302600_NS5tupleIblNS6_9null_typeES8_S8_S8_S8_S8_S8_S8_EEEEZNS1_11reduce_implILb1ES3_PS9_SC_S9_NS6_11hip_rocprim9__find_if7functorIS9_EEEE10hipError_tPvRmT1_T2_T3_mT4_P12ihipStream_tbEUlT_E0_NS1_11comp_targetILNS1_3genE10ELNS1_11target_archE1200ELNS1_3gpuE4ELNS1_3repE0EEENS1_30default_config_static_selectorELNS0_4arch9wavefront6targetE1EEEvSK_
	.p2align	8
	.type	_ZN7rocprim17ROCPRIM_400000_NS6detail17trampoline_kernelINS0_14default_configENS1_22reduce_config_selectorIN6thrust23THRUST_200600_302600_NS5tupleIblNS6_9null_typeES8_S8_S8_S8_S8_S8_S8_EEEEZNS1_11reduce_implILb1ES3_PS9_SC_S9_NS6_11hip_rocprim9__find_if7functorIS9_EEEE10hipError_tPvRmT1_T2_T3_mT4_P12ihipStream_tbEUlT_E0_NS1_11comp_targetILNS1_3genE10ELNS1_11target_archE1200ELNS1_3gpuE4ELNS1_3repE0EEENS1_30default_config_static_selectorELNS0_4arch9wavefront6targetE1EEEvSK_,@function
_ZN7rocprim17ROCPRIM_400000_NS6detail17trampoline_kernelINS0_14default_configENS1_22reduce_config_selectorIN6thrust23THRUST_200600_302600_NS5tupleIblNS6_9null_typeES8_S8_S8_S8_S8_S8_S8_EEEEZNS1_11reduce_implILb1ES3_PS9_SC_S9_NS6_11hip_rocprim9__find_if7functorIS9_EEEE10hipError_tPvRmT1_T2_T3_mT4_P12ihipStream_tbEUlT_E0_NS1_11comp_targetILNS1_3genE10ELNS1_11target_archE1200ELNS1_3gpuE4ELNS1_3repE0EEENS1_30default_config_static_selectorELNS0_4arch9wavefront6targetE1EEEvSK_: ; @_ZN7rocprim17ROCPRIM_400000_NS6detail17trampoline_kernelINS0_14default_configENS1_22reduce_config_selectorIN6thrust23THRUST_200600_302600_NS5tupleIblNS6_9null_typeES8_S8_S8_S8_S8_S8_S8_EEEEZNS1_11reduce_implILb1ES3_PS9_SC_S9_NS6_11hip_rocprim9__find_if7functorIS9_EEEE10hipError_tPvRmT1_T2_T3_mT4_P12ihipStream_tbEUlT_E0_NS1_11comp_targetILNS1_3genE10ELNS1_11target_archE1200ELNS1_3gpuE4ELNS1_3repE0EEENS1_30default_config_static_selectorELNS0_4arch9wavefront6targetE1EEEvSK_
; %bb.0:
	.section	.rodata,"a",@progbits
	.p2align	6, 0x0
	.amdhsa_kernel _ZN7rocprim17ROCPRIM_400000_NS6detail17trampoline_kernelINS0_14default_configENS1_22reduce_config_selectorIN6thrust23THRUST_200600_302600_NS5tupleIblNS6_9null_typeES8_S8_S8_S8_S8_S8_S8_EEEEZNS1_11reduce_implILb1ES3_PS9_SC_S9_NS6_11hip_rocprim9__find_if7functorIS9_EEEE10hipError_tPvRmT1_T2_T3_mT4_P12ihipStream_tbEUlT_E0_NS1_11comp_targetILNS1_3genE10ELNS1_11target_archE1200ELNS1_3gpuE4ELNS1_3repE0EEENS1_30default_config_static_selectorELNS0_4arch9wavefront6targetE1EEEvSK_
		.amdhsa_group_segment_fixed_size 0
		.amdhsa_private_segment_fixed_size 0
		.amdhsa_kernarg_size 72
		.amdhsa_user_sgpr_count 6
		.amdhsa_user_sgpr_private_segment_buffer 1
		.amdhsa_user_sgpr_dispatch_ptr 0
		.amdhsa_user_sgpr_queue_ptr 0
		.amdhsa_user_sgpr_kernarg_segment_ptr 1
		.amdhsa_user_sgpr_dispatch_id 0
		.amdhsa_user_sgpr_flat_scratch_init 0
		.amdhsa_user_sgpr_kernarg_preload_length 0
		.amdhsa_user_sgpr_kernarg_preload_offset 0
		.amdhsa_user_sgpr_private_segment_size 0
		.amdhsa_uses_dynamic_stack 0
		.amdhsa_system_sgpr_private_segment_wavefront_offset 0
		.amdhsa_system_sgpr_workgroup_id_x 1
		.amdhsa_system_sgpr_workgroup_id_y 0
		.amdhsa_system_sgpr_workgroup_id_z 0
		.amdhsa_system_sgpr_workgroup_info 0
		.amdhsa_system_vgpr_workitem_id 0
		.amdhsa_next_free_vgpr 1
		.amdhsa_next_free_sgpr 0
		.amdhsa_accum_offset 4
		.amdhsa_reserve_vcc 0
		.amdhsa_reserve_flat_scratch 0
		.amdhsa_float_round_mode_32 0
		.amdhsa_float_round_mode_16_64 0
		.amdhsa_float_denorm_mode_32 3
		.amdhsa_float_denorm_mode_16_64 3
		.amdhsa_dx10_clamp 1
		.amdhsa_ieee_mode 1
		.amdhsa_fp16_overflow 0
		.amdhsa_tg_split 0
		.amdhsa_exception_fp_ieee_invalid_op 0
		.amdhsa_exception_fp_denorm_src 0
		.amdhsa_exception_fp_ieee_div_zero 0
		.amdhsa_exception_fp_ieee_overflow 0
		.amdhsa_exception_fp_ieee_underflow 0
		.amdhsa_exception_fp_ieee_inexact 0
		.amdhsa_exception_int_div_zero 0
	.end_amdhsa_kernel
	.section	.text._ZN7rocprim17ROCPRIM_400000_NS6detail17trampoline_kernelINS0_14default_configENS1_22reduce_config_selectorIN6thrust23THRUST_200600_302600_NS5tupleIblNS6_9null_typeES8_S8_S8_S8_S8_S8_S8_EEEEZNS1_11reduce_implILb1ES3_PS9_SC_S9_NS6_11hip_rocprim9__find_if7functorIS9_EEEE10hipError_tPvRmT1_T2_T3_mT4_P12ihipStream_tbEUlT_E0_NS1_11comp_targetILNS1_3genE10ELNS1_11target_archE1200ELNS1_3gpuE4ELNS1_3repE0EEENS1_30default_config_static_selectorELNS0_4arch9wavefront6targetE1EEEvSK_,"axG",@progbits,_ZN7rocprim17ROCPRIM_400000_NS6detail17trampoline_kernelINS0_14default_configENS1_22reduce_config_selectorIN6thrust23THRUST_200600_302600_NS5tupleIblNS6_9null_typeES8_S8_S8_S8_S8_S8_S8_EEEEZNS1_11reduce_implILb1ES3_PS9_SC_S9_NS6_11hip_rocprim9__find_if7functorIS9_EEEE10hipError_tPvRmT1_T2_T3_mT4_P12ihipStream_tbEUlT_E0_NS1_11comp_targetILNS1_3genE10ELNS1_11target_archE1200ELNS1_3gpuE4ELNS1_3repE0EEENS1_30default_config_static_selectorELNS0_4arch9wavefront6targetE1EEEvSK_,comdat
.Lfunc_end25:
	.size	_ZN7rocprim17ROCPRIM_400000_NS6detail17trampoline_kernelINS0_14default_configENS1_22reduce_config_selectorIN6thrust23THRUST_200600_302600_NS5tupleIblNS6_9null_typeES8_S8_S8_S8_S8_S8_S8_EEEEZNS1_11reduce_implILb1ES3_PS9_SC_S9_NS6_11hip_rocprim9__find_if7functorIS9_EEEE10hipError_tPvRmT1_T2_T3_mT4_P12ihipStream_tbEUlT_E0_NS1_11comp_targetILNS1_3genE10ELNS1_11target_archE1200ELNS1_3gpuE4ELNS1_3repE0EEENS1_30default_config_static_selectorELNS0_4arch9wavefront6targetE1EEEvSK_, .Lfunc_end25-_ZN7rocprim17ROCPRIM_400000_NS6detail17trampoline_kernelINS0_14default_configENS1_22reduce_config_selectorIN6thrust23THRUST_200600_302600_NS5tupleIblNS6_9null_typeES8_S8_S8_S8_S8_S8_S8_EEEEZNS1_11reduce_implILb1ES3_PS9_SC_S9_NS6_11hip_rocprim9__find_if7functorIS9_EEEE10hipError_tPvRmT1_T2_T3_mT4_P12ihipStream_tbEUlT_E0_NS1_11comp_targetILNS1_3genE10ELNS1_11target_archE1200ELNS1_3gpuE4ELNS1_3repE0EEENS1_30default_config_static_selectorELNS0_4arch9wavefront6targetE1EEEvSK_
                                        ; -- End function
	.section	.AMDGPU.csdata,"",@progbits
; Kernel info:
; codeLenInByte = 0
; NumSgprs: 4
; NumVgprs: 0
; NumAgprs: 0
; TotalNumVgprs: 0
; ScratchSize: 0
; MemoryBound: 0
; FloatMode: 240
; IeeeMode: 1
; LDSByteSize: 0 bytes/workgroup (compile time only)
; SGPRBlocks: 0
; VGPRBlocks: 0
; NumSGPRsForWavesPerEU: 4
; NumVGPRsForWavesPerEU: 1
; AccumOffset: 4
; Occupancy: 8
; WaveLimiterHint : 0
; COMPUTE_PGM_RSRC2:SCRATCH_EN: 0
; COMPUTE_PGM_RSRC2:USER_SGPR: 6
; COMPUTE_PGM_RSRC2:TRAP_HANDLER: 0
; COMPUTE_PGM_RSRC2:TGID_X_EN: 1
; COMPUTE_PGM_RSRC2:TGID_Y_EN: 0
; COMPUTE_PGM_RSRC2:TGID_Z_EN: 0
; COMPUTE_PGM_RSRC2:TIDIG_COMP_CNT: 0
; COMPUTE_PGM_RSRC3_GFX90A:ACCUM_OFFSET: 0
; COMPUTE_PGM_RSRC3_GFX90A:TG_SPLIT: 0
	.section	.text._ZN7rocprim17ROCPRIM_400000_NS6detail17trampoline_kernelINS0_14default_configENS1_22reduce_config_selectorIN6thrust23THRUST_200600_302600_NS5tupleIblNS6_9null_typeES8_S8_S8_S8_S8_S8_S8_EEEEZNS1_11reduce_implILb1ES3_PS9_SC_S9_NS6_11hip_rocprim9__find_if7functorIS9_EEEE10hipError_tPvRmT1_T2_T3_mT4_P12ihipStream_tbEUlT_E0_NS1_11comp_targetILNS1_3genE9ELNS1_11target_archE1100ELNS1_3gpuE3ELNS1_3repE0EEENS1_30default_config_static_selectorELNS0_4arch9wavefront6targetE1EEEvSK_,"axG",@progbits,_ZN7rocprim17ROCPRIM_400000_NS6detail17trampoline_kernelINS0_14default_configENS1_22reduce_config_selectorIN6thrust23THRUST_200600_302600_NS5tupleIblNS6_9null_typeES8_S8_S8_S8_S8_S8_S8_EEEEZNS1_11reduce_implILb1ES3_PS9_SC_S9_NS6_11hip_rocprim9__find_if7functorIS9_EEEE10hipError_tPvRmT1_T2_T3_mT4_P12ihipStream_tbEUlT_E0_NS1_11comp_targetILNS1_3genE9ELNS1_11target_archE1100ELNS1_3gpuE3ELNS1_3repE0EEENS1_30default_config_static_selectorELNS0_4arch9wavefront6targetE1EEEvSK_,comdat
	.protected	_ZN7rocprim17ROCPRIM_400000_NS6detail17trampoline_kernelINS0_14default_configENS1_22reduce_config_selectorIN6thrust23THRUST_200600_302600_NS5tupleIblNS6_9null_typeES8_S8_S8_S8_S8_S8_S8_EEEEZNS1_11reduce_implILb1ES3_PS9_SC_S9_NS6_11hip_rocprim9__find_if7functorIS9_EEEE10hipError_tPvRmT1_T2_T3_mT4_P12ihipStream_tbEUlT_E0_NS1_11comp_targetILNS1_3genE9ELNS1_11target_archE1100ELNS1_3gpuE3ELNS1_3repE0EEENS1_30default_config_static_selectorELNS0_4arch9wavefront6targetE1EEEvSK_ ; -- Begin function _ZN7rocprim17ROCPRIM_400000_NS6detail17trampoline_kernelINS0_14default_configENS1_22reduce_config_selectorIN6thrust23THRUST_200600_302600_NS5tupleIblNS6_9null_typeES8_S8_S8_S8_S8_S8_S8_EEEEZNS1_11reduce_implILb1ES3_PS9_SC_S9_NS6_11hip_rocprim9__find_if7functorIS9_EEEE10hipError_tPvRmT1_T2_T3_mT4_P12ihipStream_tbEUlT_E0_NS1_11comp_targetILNS1_3genE9ELNS1_11target_archE1100ELNS1_3gpuE3ELNS1_3repE0EEENS1_30default_config_static_selectorELNS0_4arch9wavefront6targetE1EEEvSK_
	.globl	_ZN7rocprim17ROCPRIM_400000_NS6detail17trampoline_kernelINS0_14default_configENS1_22reduce_config_selectorIN6thrust23THRUST_200600_302600_NS5tupleIblNS6_9null_typeES8_S8_S8_S8_S8_S8_S8_EEEEZNS1_11reduce_implILb1ES3_PS9_SC_S9_NS6_11hip_rocprim9__find_if7functorIS9_EEEE10hipError_tPvRmT1_T2_T3_mT4_P12ihipStream_tbEUlT_E0_NS1_11comp_targetILNS1_3genE9ELNS1_11target_archE1100ELNS1_3gpuE3ELNS1_3repE0EEENS1_30default_config_static_selectorELNS0_4arch9wavefront6targetE1EEEvSK_
	.p2align	8
	.type	_ZN7rocprim17ROCPRIM_400000_NS6detail17trampoline_kernelINS0_14default_configENS1_22reduce_config_selectorIN6thrust23THRUST_200600_302600_NS5tupleIblNS6_9null_typeES8_S8_S8_S8_S8_S8_S8_EEEEZNS1_11reduce_implILb1ES3_PS9_SC_S9_NS6_11hip_rocprim9__find_if7functorIS9_EEEE10hipError_tPvRmT1_T2_T3_mT4_P12ihipStream_tbEUlT_E0_NS1_11comp_targetILNS1_3genE9ELNS1_11target_archE1100ELNS1_3gpuE3ELNS1_3repE0EEENS1_30default_config_static_selectorELNS0_4arch9wavefront6targetE1EEEvSK_,@function
_ZN7rocprim17ROCPRIM_400000_NS6detail17trampoline_kernelINS0_14default_configENS1_22reduce_config_selectorIN6thrust23THRUST_200600_302600_NS5tupleIblNS6_9null_typeES8_S8_S8_S8_S8_S8_S8_EEEEZNS1_11reduce_implILb1ES3_PS9_SC_S9_NS6_11hip_rocprim9__find_if7functorIS9_EEEE10hipError_tPvRmT1_T2_T3_mT4_P12ihipStream_tbEUlT_E0_NS1_11comp_targetILNS1_3genE9ELNS1_11target_archE1100ELNS1_3gpuE3ELNS1_3repE0EEENS1_30default_config_static_selectorELNS0_4arch9wavefront6targetE1EEEvSK_: ; @_ZN7rocprim17ROCPRIM_400000_NS6detail17trampoline_kernelINS0_14default_configENS1_22reduce_config_selectorIN6thrust23THRUST_200600_302600_NS5tupleIblNS6_9null_typeES8_S8_S8_S8_S8_S8_S8_EEEEZNS1_11reduce_implILb1ES3_PS9_SC_S9_NS6_11hip_rocprim9__find_if7functorIS9_EEEE10hipError_tPvRmT1_T2_T3_mT4_P12ihipStream_tbEUlT_E0_NS1_11comp_targetILNS1_3genE9ELNS1_11target_archE1100ELNS1_3gpuE3ELNS1_3repE0EEENS1_30default_config_static_selectorELNS0_4arch9wavefront6targetE1EEEvSK_
; %bb.0:
	.section	.rodata,"a",@progbits
	.p2align	6, 0x0
	.amdhsa_kernel _ZN7rocprim17ROCPRIM_400000_NS6detail17trampoline_kernelINS0_14default_configENS1_22reduce_config_selectorIN6thrust23THRUST_200600_302600_NS5tupleIblNS6_9null_typeES8_S8_S8_S8_S8_S8_S8_EEEEZNS1_11reduce_implILb1ES3_PS9_SC_S9_NS6_11hip_rocprim9__find_if7functorIS9_EEEE10hipError_tPvRmT1_T2_T3_mT4_P12ihipStream_tbEUlT_E0_NS1_11comp_targetILNS1_3genE9ELNS1_11target_archE1100ELNS1_3gpuE3ELNS1_3repE0EEENS1_30default_config_static_selectorELNS0_4arch9wavefront6targetE1EEEvSK_
		.amdhsa_group_segment_fixed_size 0
		.amdhsa_private_segment_fixed_size 0
		.amdhsa_kernarg_size 72
		.amdhsa_user_sgpr_count 6
		.amdhsa_user_sgpr_private_segment_buffer 1
		.amdhsa_user_sgpr_dispatch_ptr 0
		.amdhsa_user_sgpr_queue_ptr 0
		.amdhsa_user_sgpr_kernarg_segment_ptr 1
		.amdhsa_user_sgpr_dispatch_id 0
		.amdhsa_user_sgpr_flat_scratch_init 0
		.amdhsa_user_sgpr_kernarg_preload_length 0
		.amdhsa_user_sgpr_kernarg_preload_offset 0
		.amdhsa_user_sgpr_private_segment_size 0
		.amdhsa_uses_dynamic_stack 0
		.amdhsa_system_sgpr_private_segment_wavefront_offset 0
		.amdhsa_system_sgpr_workgroup_id_x 1
		.amdhsa_system_sgpr_workgroup_id_y 0
		.amdhsa_system_sgpr_workgroup_id_z 0
		.amdhsa_system_sgpr_workgroup_info 0
		.amdhsa_system_vgpr_workitem_id 0
		.amdhsa_next_free_vgpr 1
		.amdhsa_next_free_sgpr 0
		.amdhsa_accum_offset 4
		.amdhsa_reserve_vcc 0
		.amdhsa_reserve_flat_scratch 0
		.amdhsa_float_round_mode_32 0
		.amdhsa_float_round_mode_16_64 0
		.amdhsa_float_denorm_mode_32 3
		.amdhsa_float_denorm_mode_16_64 3
		.amdhsa_dx10_clamp 1
		.amdhsa_ieee_mode 1
		.amdhsa_fp16_overflow 0
		.amdhsa_tg_split 0
		.amdhsa_exception_fp_ieee_invalid_op 0
		.amdhsa_exception_fp_denorm_src 0
		.amdhsa_exception_fp_ieee_div_zero 0
		.amdhsa_exception_fp_ieee_overflow 0
		.amdhsa_exception_fp_ieee_underflow 0
		.amdhsa_exception_fp_ieee_inexact 0
		.amdhsa_exception_int_div_zero 0
	.end_amdhsa_kernel
	.section	.text._ZN7rocprim17ROCPRIM_400000_NS6detail17trampoline_kernelINS0_14default_configENS1_22reduce_config_selectorIN6thrust23THRUST_200600_302600_NS5tupleIblNS6_9null_typeES8_S8_S8_S8_S8_S8_S8_EEEEZNS1_11reduce_implILb1ES3_PS9_SC_S9_NS6_11hip_rocprim9__find_if7functorIS9_EEEE10hipError_tPvRmT1_T2_T3_mT4_P12ihipStream_tbEUlT_E0_NS1_11comp_targetILNS1_3genE9ELNS1_11target_archE1100ELNS1_3gpuE3ELNS1_3repE0EEENS1_30default_config_static_selectorELNS0_4arch9wavefront6targetE1EEEvSK_,"axG",@progbits,_ZN7rocprim17ROCPRIM_400000_NS6detail17trampoline_kernelINS0_14default_configENS1_22reduce_config_selectorIN6thrust23THRUST_200600_302600_NS5tupleIblNS6_9null_typeES8_S8_S8_S8_S8_S8_S8_EEEEZNS1_11reduce_implILb1ES3_PS9_SC_S9_NS6_11hip_rocprim9__find_if7functorIS9_EEEE10hipError_tPvRmT1_T2_T3_mT4_P12ihipStream_tbEUlT_E0_NS1_11comp_targetILNS1_3genE9ELNS1_11target_archE1100ELNS1_3gpuE3ELNS1_3repE0EEENS1_30default_config_static_selectorELNS0_4arch9wavefront6targetE1EEEvSK_,comdat
.Lfunc_end26:
	.size	_ZN7rocprim17ROCPRIM_400000_NS6detail17trampoline_kernelINS0_14default_configENS1_22reduce_config_selectorIN6thrust23THRUST_200600_302600_NS5tupleIblNS6_9null_typeES8_S8_S8_S8_S8_S8_S8_EEEEZNS1_11reduce_implILb1ES3_PS9_SC_S9_NS6_11hip_rocprim9__find_if7functorIS9_EEEE10hipError_tPvRmT1_T2_T3_mT4_P12ihipStream_tbEUlT_E0_NS1_11comp_targetILNS1_3genE9ELNS1_11target_archE1100ELNS1_3gpuE3ELNS1_3repE0EEENS1_30default_config_static_selectorELNS0_4arch9wavefront6targetE1EEEvSK_, .Lfunc_end26-_ZN7rocprim17ROCPRIM_400000_NS6detail17trampoline_kernelINS0_14default_configENS1_22reduce_config_selectorIN6thrust23THRUST_200600_302600_NS5tupleIblNS6_9null_typeES8_S8_S8_S8_S8_S8_S8_EEEEZNS1_11reduce_implILb1ES3_PS9_SC_S9_NS6_11hip_rocprim9__find_if7functorIS9_EEEE10hipError_tPvRmT1_T2_T3_mT4_P12ihipStream_tbEUlT_E0_NS1_11comp_targetILNS1_3genE9ELNS1_11target_archE1100ELNS1_3gpuE3ELNS1_3repE0EEENS1_30default_config_static_selectorELNS0_4arch9wavefront6targetE1EEEvSK_
                                        ; -- End function
	.section	.AMDGPU.csdata,"",@progbits
; Kernel info:
; codeLenInByte = 0
; NumSgprs: 4
; NumVgprs: 0
; NumAgprs: 0
; TotalNumVgprs: 0
; ScratchSize: 0
; MemoryBound: 0
; FloatMode: 240
; IeeeMode: 1
; LDSByteSize: 0 bytes/workgroup (compile time only)
; SGPRBlocks: 0
; VGPRBlocks: 0
; NumSGPRsForWavesPerEU: 4
; NumVGPRsForWavesPerEU: 1
; AccumOffset: 4
; Occupancy: 8
; WaveLimiterHint : 0
; COMPUTE_PGM_RSRC2:SCRATCH_EN: 0
; COMPUTE_PGM_RSRC2:USER_SGPR: 6
; COMPUTE_PGM_RSRC2:TRAP_HANDLER: 0
; COMPUTE_PGM_RSRC2:TGID_X_EN: 1
; COMPUTE_PGM_RSRC2:TGID_Y_EN: 0
; COMPUTE_PGM_RSRC2:TGID_Z_EN: 0
; COMPUTE_PGM_RSRC2:TIDIG_COMP_CNT: 0
; COMPUTE_PGM_RSRC3_GFX90A:ACCUM_OFFSET: 0
; COMPUTE_PGM_RSRC3_GFX90A:TG_SPLIT: 0
	.section	.text._ZN7rocprim17ROCPRIM_400000_NS6detail17trampoline_kernelINS0_14default_configENS1_22reduce_config_selectorIN6thrust23THRUST_200600_302600_NS5tupleIblNS6_9null_typeES8_S8_S8_S8_S8_S8_S8_EEEEZNS1_11reduce_implILb1ES3_PS9_SC_S9_NS6_11hip_rocprim9__find_if7functorIS9_EEEE10hipError_tPvRmT1_T2_T3_mT4_P12ihipStream_tbEUlT_E0_NS1_11comp_targetILNS1_3genE8ELNS1_11target_archE1030ELNS1_3gpuE2ELNS1_3repE0EEENS1_30default_config_static_selectorELNS0_4arch9wavefront6targetE1EEEvSK_,"axG",@progbits,_ZN7rocprim17ROCPRIM_400000_NS6detail17trampoline_kernelINS0_14default_configENS1_22reduce_config_selectorIN6thrust23THRUST_200600_302600_NS5tupleIblNS6_9null_typeES8_S8_S8_S8_S8_S8_S8_EEEEZNS1_11reduce_implILb1ES3_PS9_SC_S9_NS6_11hip_rocprim9__find_if7functorIS9_EEEE10hipError_tPvRmT1_T2_T3_mT4_P12ihipStream_tbEUlT_E0_NS1_11comp_targetILNS1_3genE8ELNS1_11target_archE1030ELNS1_3gpuE2ELNS1_3repE0EEENS1_30default_config_static_selectorELNS0_4arch9wavefront6targetE1EEEvSK_,comdat
	.protected	_ZN7rocprim17ROCPRIM_400000_NS6detail17trampoline_kernelINS0_14default_configENS1_22reduce_config_selectorIN6thrust23THRUST_200600_302600_NS5tupleIblNS6_9null_typeES8_S8_S8_S8_S8_S8_S8_EEEEZNS1_11reduce_implILb1ES3_PS9_SC_S9_NS6_11hip_rocprim9__find_if7functorIS9_EEEE10hipError_tPvRmT1_T2_T3_mT4_P12ihipStream_tbEUlT_E0_NS1_11comp_targetILNS1_3genE8ELNS1_11target_archE1030ELNS1_3gpuE2ELNS1_3repE0EEENS1_30default_config_static_selectorELNS0_4arch9wavefront6targetE1EEEvSK_ ; -- Begin function _ZN7rocprim17ROCPRIM_400000_NS6detail17trampoline_kernelINS0_14default_configENS1_22reduce_config_selectorIN6thrust23THRUST_200600_302600_NS5tupleIblNS6_9null_typeES8_S8_S8_S8_S8_S8_S8_EEEEZNS1_11reduce_implILb1ES3_PS9_SC_S9_NS6_11hip_rocprim9__find_if7functorIS9_EEEE10hipError_tPvRmT1_T2_T3_mT4_P12ihipStream_tbEUlT_E0_NS1_11comp_targetILNS1_3genE8ELNS1_11target_archE1030ELNS1_3gpuE2ELNS1_3repE0EEENS1_30default_config_static_selectorELNS0_4arch9wavefront6targetE1EEEvSK_
	.globl	_ZN7rocprim17ROCPRIM_400000_NS6detail17trampoline_kernelINS0_14default_configENS1_22reduce_config_selectorIN6thrust23THRUST_200600_302600_NS5tupleIblNS6_9null_typeES8_S8_S8_S8_S8_S8_S8_EEEEZNS1_11reduce_implILb1ES3_PS9_SC_S9_NS6_11hip_rocprim9__find_if7functorIS9_EEEE10hipError_tPvRmT1_T2_T3_mT4_P12ihipStream_tbEUlT_E0_NS1_11comp_targetILNS1_3genE8ELNS1_11target_archE1030ELNS1_3gpuE2ELNS1_3repE0EEENS1_30default_config_static_selectorELNS0_4arch9wavefront6targetE1EEEvSK_
	.p2align	8
	.type	_ZN7rocprim17ROCPRIM_400000_NS6detail17trampoline_kernelINS0_14default_configENS1_22reduce_config_selectorIN6thrust23THRUST_200600_302600_NS5tupleIblNS6_9null_typeES8_S8_S8_S8_S8_S8_S8_EEEEZNS1_11reduce_implILb1ES3_PS9_SC_S9_NS6_11hip_rocprim9__find_if7functorIS9_EEEE10hipError_tPvRmT1_T2_T3_mT4_P12ihipStream_tbEUlT_E0_NS1_11comp_targetILNS1_3genE8ELNS1_11target_archE1030ELNS1_3gpuE2ELNS1_3repE0EEENS1_30default_config_static_selectorELNS0_4arch9wavefront6targetE1EEEvSK_,@function
_ZN7rocprim17ROCPRIM_400000_NS6detail17trampoline_kernelINS0_14default_configENS1_22reduce_config_selectorIN6thrust23THRUST_200600_302600_NS5tupleIblNS6_9null_typeES8_S8_S8_S8_S8_S8_S8_EEEEZNS1_11reduce_implILb1ES3_PS9_SC_S9_NS6_11hip_rocprim9__find_if7functorIS9_EEEE10hipError_tPvRmT1_T2_T3_mT4_P12ihipStream_tbEUlT_E0_NS1_11comp_targetILNS1_3genE8ELNS1_11target_archE1030ELNS1_3gpuE2ELNS1_3repE0EEENS1_30default_config_static_selectorELNS0_4arch9wavefront6targetE1EEEvSK_: ; @_ZN7rocprim17ROCPRIM_400000_NS6detail17trampoline_kernelINS0_14default_configENS1_22reduce_config_selectorIN6thrust23THRUST_200600_302600_NS5tupleIblNS6_9null_typeES8_S8_S8_S8_S8_S8_S8_EEEEZNS1_11reduce_implILb1ES3_PS9_SC_S9_NS6_11hip_rocprim9__find_if7functorIS9_EEEE10hipError_tPvRmT1_T2_T3_mT4_P12ihipStream_tbEUlT_E0_NS1_11comp_targetILNS1_3genE8ELNS1_11target_archE1030ELNS1_3gpuE2ELNS1_3repE0EEENS1_30default_config_static_selectorELNS0_4arch9wavefront6targetE1EEEvSK_
; %bb.0:
	.section	.rodata,"a",@progbits
	.p2align	6, 0x0
	.amdhsa_kernel _ZN7rocprim17ROCPRIM_400000_NS6detail17trampoline_kernelINS0_14default_configENS1_22reduce_config_selectorIN6thrust23THRUST_200600_302600_NS5tupleIblNS6_9null_typeES8_S8_S8_S8_S8_S8_S8_EEEEZNS1_11reduce_implILb1ES3_PS9_SC_S9_NS6_11hip_rocprim9__find_if7functorIS9_EEEE10hipError_tPvRmT1_T2_T3_mT4_P12ihipStream_tbEUlT_E0_NS1_11comp_targetILNS1_3genE8ELNS1_11target_archE1030ELNS1_3gpuE2ELNS1_3repE0EEENS1_30default_config_static_selectorELNS0_4arch9wavefront6targetE1EEEvSK_
		.amdhsa_group_segment_fixed_size 0
		.amdhsa_private_segment_fixed_size 0
		.amdhsa_kernarg_size 72
		.amdhsa_user_sgpr_count 6
		.amdhsa_user_sgpr_private_segment_buffer 1
		.amdhsa_user_sgpr_dispatch_ptr 0
		.amdhsa_user_sgpr_queue_ptr 0
		.amdhsa_user_sgpr_kernarg_segment_ptr 1
		.amdhsa_user_sgpr_dispatch_id 0
		.amdhsa_user_sgpr_flat_scratch_init 0
		.amdhsa_user_sgpr_kernarg_preload_length 0
		.amdhsa_user_sgpr_kernarg_preload_offset 0
		.amdhsa_user_sgpr_private_segment_size 0
		.amdhsa_uses_dynamic_stack 0
		.amdhsa_system_sgpr_private_segment_wavefront_offset 0
		.amdhsa_system_sgpr_workgroup_id_x 1
		.amdhsa_system_sgpr_workgroup_id_y 0
		.amdhsa_system_sgpr_workgroup_id_z 0
		.amdhsa_system_sgpr_workgroup_info 0
		.amdhsa_system_vgpr_workitem_id 0
		.amdhsa_next_free_vgpr 1
		.amdhsa_next_free_sgpr 0
		.amdhsa_accum_offset 4
		.amdhsa_reserve_vcc 0
		.amdhsa_reserve_flat_scratch 0
		.amdhsa_float_round_mode_32 0
		.amdhsa_float_round_mode_16_64 0
		.amdhsa_float_denorm_mode_32 3
		.amdhsa_float_denorm_mode_16_64 3
		.amdhsa_dx10_clamp 1
		.amdhsa_ieee_mode 1
		.amdhsa_fp16_overflow 0
		.amdhsa_tg_split 0
		.amdhsa_exception_fp_ieee_invalid_op 0
		.amdhsa_exception_fp_denorm_src 0
		.amdhsa_exception_fp_ieee_div_zero 0
		.amdhsa_exception_fp_ieee_overflow 0
		.amdhsa_exception_fp_ieee_underflow 0
		.amdhsa_exception_fp_ieee_inexact 0
		.amdhsa_exception_int_div_zero 0
	.end_amdhsa_kernel
	.section	.text._ZN7rocprim17ROCPRIM_400000_NS6detail17trampoline_kernelINS0_14default_configENS1_22reduce_config_selectorIN6thrust23THRUST_200600_302600_NS5tupleIblNS6_9null_typeES8_S8_S8_S8_S8_S8_S8_EEEEZNS1_11reduce_implILb1ES3_PS9_SC_S9_NS6_11hip_rocprim9__find_if7functorIS9_EEEE10hipError_tPvRmT1_T2_T3_mT4_P12ihipStream_tbEUlT_E0_NS1_11comp_targetILNS1_3genE8ELNS1_11target_archE1030ELNS1_3gpuE2ELNS1_3repE0EEENS1_30default_config_static_selectorELNS0_4arch9wavefront6targetE1EEEvSK_,"axG",@progbits,_ZN7rocprim17ROCPRIM_400000_NS6detail17trampoline_kernelINS0_14default_configENS1_22reduce_config_selectorIN6thrust23THRUST_200600_302600_NS5tupleIblNS6_9null_typeES8_S8_S8_S8_S8_S8_S8_EEEEZNS1_11reduce_implILb1ES3_PS9_SC_S9_NS6_11hip_rocprim9__find_if7functorIS9_EEEE10hipError_tPvRmT1_T2_T3_mT4_P12ihipStream_tbEUlT_E0_NS1_11comp_targetILNS1_3genE8ELNS1_11target_archE1030ELNS1_3gpuE2ELNS1_3repE0EEENS1_30default_config_static_selectorELNS0_4arch9wavefront6targetE1EEEvSK_,comdat
.Lfunc_end27:
	.size	_ZN7rocprim17ROCPRIM_400000_NS6detail17trampoline_kernelINS0_14default_configENS1_22reduce_config_selectorIN6thrust23THRUST_200600_302600_NS5tupleIblNS6_9null_typeES8_S8_S8_S8_S8_S8_S8_EEEEZNS1_11reduce_implILb1ES3_PS9_SC_S9_NS6_11hip_rocprim9__find_if7functorIS9_EEEE10hipError_tPvRmT1_T2_T3_mT4_P12ihipStream_tbEUlT_E0_NS1_11comp_targetILNS1_3genE8ELNS1_11target_archE1030ELNS1_3gpuE2ELNS1_3repE0EEENS1_30default_config_static_selectorELNS0_4arch9wavefront6targetE1EEEvSK_, .Lfunc_end27-_ZN7rocprim17ROCPRIM_400000_NS6detail17trampoline_kernelINS0_14default_configENS1_22reduce_config_selectorIN6thrust23THRUST_200600_302600_NS5tupleIblNS6_9null_typeES8_S8_S8_S8_S8_S8_S8_EEEEZNS1_11reduce_implILb1ES3_PS9_SC_S9_NS6_11hip_rocprim9__find_if7functorIS9_EEEE10hipError_tPvRmT1_T2_T3_mT4_P12ihipStream_tbEUlT_E0_NS1_11comp_targetILNS1_3genE8ELNS1_11target_archE1030ELNS1_3gpuE2ELNS1_3repE0EEENS1_30default_config_static_selectorELNS0_4arch9wavefront6targetE1EEEvSK_
                                        ; -- End function
	.section	.AMDGPU.csdata,"",@progbits
; Kernel info:
; codeLenInByte = 0
; NumSgprs: 4
; NumVgprs: 0
; NumAgprs: 0
; TotalNumVgprs: 0
; ScratchSize: 0
; MemoryBound: 0
; FloatMode: 240
; IeeeMode: 1
; LDSByteSize: 0 bytes/workgroup (compile time only)
; SGPRBlocks: 0
; VGPRBlocks: 0
; NumSGPRsForWavesPerEU: 4
; NumVGPRsForWavesPerEU: 1
; AccumOffset: 4
; Occupancy: 8
; WaveLimiterHint : 0
; COMPUTE_PGM_RSRC2:SCRATCH_EN: 0
; COMPUTE_PGM_RSRC2:USER_SGPR: 6
; COMPUTE_PGM_RSRC2:TRAP_HANDLER: 0
; COMPUTE_PGM_RSRC2:TGID_X_EN: 1
; COMPUTE_PGM_RSRC2:TGID_Y_EN: 0
; COMPUTE_PGM_RSRC2:TGID_Z_EN: 0
; COMPUTE_PGM_RSRC2:TIDIG_COMP_CNT: 0
; COMPUTE_PGM_RSRC3_GFX90A:ACCUM_OFFSET: 0
; COMPUTE_PGM_RSRC3_GFX90A:TG_SPLIT: 0
	.section	.text._ZN7rocprim17ROCPRIM_400000_NS6detail17trampoline_kernelINS0_14default_configENS1_22reduce_config_selectorIN6thrust23THRUST_200600_302600_NS5tupleIblNS6_9null_typeES8_S8_S8_S8_S8_S8_S8_EEEEZNS1_11reduce_implILb1ES3_PS9_SC_S9_NS6_11hip_rocprim9__find_if7functorIS9_EEEE10hipError_tPvRmT1_T2_T3_mT4_P12ihipStream_tbEUlT_E1_NS1_11comp_targetILNS1_3genE0ELNS1_11target_archE4294967295ELNS1_3gpuE0ELNS1_3repE0EEENS1_30default_config_static_selectorELNS0_4arch9wavefront6targetE1EEEvSK_,"axG",@progbits,_ZN7rocprim17ROCPRIM_400000_NS6detail17trampoline_kernelINS0_14default_configENS1_22reduce_config_selectorIN6thrust23THRUST_200600_302600_NS5tupleIblNS6_9null_typeES8_S8_S8_S8_S8_S8_S8_EEEEZNS1_11reduce_implILb1ES3_PS9_SC_S9_NS6_11hip_rocprim9__find_if7functorIS9_EEEE10hipError_tPvRmT1_T2_T3_mT4_P12ihipStream_tbEUlT_E1_NS1_11comp_targetILNS1_3genE0ELNS1_11target_archE4294967295ELNS1_3gpuE0ELNS1_3repE0EEENS1_30default_config_static_selectorELNS0_4arch9wavefront6targetE1EEEvSK_,comdat
	.protected	_ZN7rocprim17ROCPRIM_400000_NS6detail17trampoline_kernelINS0_14default_configENS1_22reduce_config_selectorIN6thrust23THRUST_200600_302600_NS5tupleIblNS6_9null_typeES8_S8_S8_S8_S8_S8_S8_EEEEZNS1_11reduce_implILb1ES3_PS9_SC_S9_NS6_11hip_rocprim9__find_if7functorIS9_EEEE10hipError_tPvRmT1_T2_T3_mT4_P12ihipStream_tbEUlT_E1_NS1_11comp_targetILNS1_3genE0ELNS1_11target_archE4294967295ELNS1_3gpuE0ELNS1_3repE0EEENS1_30default_config_static_selectorELNS0_4arch9wavefront6targetE1EEEvSK_ ; -- Begin function _ZN7rocprim17ROCPRIM_400000_NS6detail17trampoline_kernelINS0_14default_configENS1_22reduce_config_selectorIN6thrust23THRUST_200600_302600_NS5tupleIblNS6_9null_typeES8_S8_S8_S8_S8_S8_S8_EEEEZNS1_11reduce_implILb1ES3_PS9_SC_S9_NS6_11hip_rocprim9__find_if7functorIS9_EEEE10hipError_tPvRmT1_T2_T3_mT4_P12ihipStream_tbEUlT_E1_NS1_11comp_targetILNS1_3genE0ELNS1_11target_archE4294967295ELNS1_3gpuE0ELNS1_3repE0EEENS1_30default_config_static_selectorELNS0_4arch9wavefront6targetE1EEEvSK_
	.globl	_ZN7rocprim17ROCPRIM_400000_NS6detail17trampoline_kernelINS0_14default_configENS1_22reduce_config_selectorIN6thrust23THRUST_200600_302600_NS5tupleIblNS6_9null_typeES8_S8_S8_S8_S8_S8_S8_EEEEZNS1_11reduce_implILb1ES3_PS9_SC_S9_NS6_11hip_rocprim9__find_if7functorIS9_EEEE10hipError_tPvRmT1_T2_T3_mT4_P12ihipStream_tbEUlT_E1_NS1_11comp_targetILNS1_3genE0ELNS1_11target_archE4294967295ELNS1_3gpuE0ELNS1_3repE0EEENS1_30default_config_static_selectorELNS0_4arch9wavefront6targetE1EEEvSK_
	.p2align	8
	.type	_ZN7rocprim17ROCPRIM_400000_NS6detail17trampoline_kernelINS0_14default_configENS1_22reduce_config_selectorIN6thrust23THRUST_200600_302600_NS5tupleIblNS6_9null_typeES8_S8_S8_S8_S8_S8_S8_EEEEZNS1_11reduce_implILb1ES3_PS9_SC_S9_NS6_11hip_rocprim9__find_if7functorIS9_EEEE10hipError_tPvRmT1_T2_T3_mT4_P12ihipStream_tbEUlT_E1_NS1_11comp_targetILNS1_3genE0ELNS1_11target_archE4294967295ELNS1_3gpuE0ELNS1_3repE0EEENS1_30default_config_static_selectorELNS0_4arch9wavefront6targetE1EEEvSK_,@function
_ZN7rocprim17ROCPRIM_400000_NS6detail17trampoline_kernelINS0_14default_configENS1_22reduce_config_selectorIN6thrust23THRUST_200600_302600_NS5tupleIblNS6_9null_typeES8_S8_S8_S8_S8_S8_S8_EEEEZNS1_11reduce_implILb1ES3_PS9_SC_S9_NS6_11hip_rocprim9__find_if7functorIS9_EEEE10hipError_tPvRmT1_T2_T3_mT4_P12ihipStream_tbEUlT_E1_NS1_11comp_targetILNS1_3genE0ELNS1_11target_archE4294967295ELNS1_3gpuE0ELNS1_3repE0EEENS1_30default_config_static_selectorELNS0_4arch9wavefront6targetE1EEEvSK_: ; @_ZN7rocprim17ROCPRIM_400000_NS6detail17trampoline_kernelINS0_14default_configENS1_22reduce_config_selectorIN6thrust23THRUST_200600_302600_NS5tupleIblNS6_9null_typeES8_S8_S8_S8_S8_S8_S8_EEEEZNS1_11reduce_implILb1ES3_PS9_SC_S9_NS6_11hip_rocprim9__find_if7functorIS9_EEEE10hipError_tPvRmT1_T2_T3_mT4_P12ihipStream_tbEUlT_E1_NS1_11comp_targetILNS1_3genE0ELNS1_11target_archE4294967295ELNS1_3gpuE0ELNS1_3repE0EEENS1_30default_config_static_selectorELNS0_4arch9wavefront6targetE1EEEvSK_
; %bb.0:
	.section	.rodata,"a",@progbits
	.p2align	6, 0x0
	.amdhsa_kernel _ZN7rocprim17ROCPRIM_400000_NS6detail17trampoline_kernelINS0_14default_configENS1_22reduce_config_selectorIN6thrust23THRUST_200600_302600_NS5tupleIblNS6_9null_typeES8_S8_S8_S8_S8_S8_S8_EEEEZNS1_11reduce_implILb1ES3_PS9_SC_S9_NS6_11hip_rocprim9__find_if7functorIS9_EEEE10hipError_tPvRmT1_T2_T3_mT4_P12ihipStream_tbEUlT_E1_NS1_11comp_targetILNS1_3genE0ELNS1_11target_archE4294967295ELNS1_3gpuE0ELNS1_3repE0EEENS1_30default_config_static_selectorELNS0_4arch9wavefront6targetE1EEEvSK_
		.amdhsa_group_segment_fixed_size 0
		.amdhsa_private_segment_fixed_size 0
		.amdhsa_kernarg_size 56
		.amdhsa_user_sgpr_count 6
		.amdhsa_user_sgpr_private_segment_buffer 1
		.amdhsa_user_sgpr_dispatch_ptr 0
		.amdhsa_user_sgpr_queue_ptr 0
		.amdhsa_user_sgpr_kernarg_segment_ptr 1
		.amdhsa_user_sgpr_dispatch_id 0
		.amdhsa_user_sgpr_flat_scratch_init 0
		.amdhsa_user_sgpr_kernarg_preload_length 0
		.amdhsa_user_sgpr_kernarg_preload_offset 0
		.amdhsa_user_sgpr_private_segment_size 0
		.amdhsa_uses_dynamic_stack 0
		.amdhsa_system_sgpr_private_segment_wavefront_offset 0
		.amdhsa_system_sgpr_workgroup_id_x 1
		.amdhsa_system_sgpr_workgroup_id_y 0
		.amdhsa_system_sgpr_workgroup_id_z 0
		.amdhsa_system_sgpr_workgroup_info 0
		.amdhsa_system_vgpr_workitem_id 0
		.amdhsa_next_free_vgpr 1
		.amdhsa_next_free_sgpr 0
		.amdhsa_accum_offset 4
		.amdhsa_reserve_vcc 0
		.amdhsa_reserve_flat_scratch 0
		.amdhsa_float_round_mode_32 0
		.amdhsa_float_round_mode_16_64 0
		.amdhsa_float_denorm_mode_32 3
		.amdhsa_float_denorm_mode_16_64 3
		.amdhsa_dx10_clamp 1
		.amdhsa_ieee_mode 1
		.amdhsa_fp16_overflow 0
		.amdhsa_tg_split 0
		.amdhsa_exception_fp_ieee_invalid_op 0
		.amdhsa_exception_fp_denorm_src 0
		.amdhsa_exception_fp_ieee_div_zero 0
		.amdhsa_exception_fp_ieee_overflow 0
		.amdhsa_exception_fp_ieee_underflow 0
		.amdhsa_exception_fp_ieee_inexact 0
		.amdhsa_exception_int_div_zero 0
	.end_amdhsa_kernel
	.section	.text._ZN7rocprim17ROCPRIM_400000_NS6detail17trampoline_kernelINS0_14default_configENS1_22reduce_config_selectorIN6thrust23THRUST_200600_302600_NS5tupleIblNS6_9null_typeES8_S8_S8_S8_S8_S8_S8_EEEEZNS1_11reduce_implILb1ES3_PS9_SC_S9_NS6_11hip_rocprim9__find_if7functorIS9_EEEE10hipError_tPvRmT1_T2_T3_mT4_P12ihipStream_tbEUlT_E1_NS1_11comp_targetILNS1_3genE0ELNS1_11target_archE4294967295ELNS1_3gpuE0ELNS1_3repE0EEENS1_30default_config_static_selectorELNS0_4arch9wavefront6targetE1EEEvSK_,"axG",@progbits,_ZN7rocprim17ROCPRIM_400000_NS6detail17trampoline_kernelINS0_14default_configENS1_22reduce_config_selectorIN6thrust23THRUST_200600_302600_NS5tupleIblNS6_9null_typeES8_S8_S8_S8_S8_S8_S8_EEEEZNS1_11reduce_implILb1ES3_PS9_SC_S9_NS6_11hip_rocprim9__find_if7functorIS9_EEEE10hipError_tPvRmT1_T2_T3_mT4_P12ihipStream_tbEUlT_E1_NS1_11comp_targetILNS1_3genE0ELNS1_11target_archE4294967295ELNS1_3gpuE0ELNS1_3repE0EEENS1_30default_config_static_selectorELNS0_4arch9wavefront6targetE1EEEvSK_,comdat
.Lfunc_end28:
	.size	_ZN7rocprim17ROCPRIM_400000_NS6detail17trampoline_kernelINS0_14default_configENS1_22reduce_config_selectorIN6thrust23THRUST_200600_302600_NS5tupleIblNS6_9null_typeES8_S8_S8_S8_S8_S8_S8_EEEEZNS1_11reduce_implILb1ES3_PS9_SC_S9_NS6_11hip_rocprim9__find_if7functorIS9_EEEE10hipError_tPvRmT1_T2_T3_mT4_P12ihipStream_tbEUlT_E1_NS1_11comp_targetILNS1_3genE0ELNS1_11target_archE4294967295ELNS1_3gpuE0ELNS1_3repE0EEENS1_30default_config_static_selectorELNS0_4arch9wavefront6targetE1EEEvSK_, .Lfunc_end28-_ZN7rocprim17ROCPRIM_400000_NS6detail17trampoline_kernelINS0_14default_configENS1_22reduce_config_selectorIN6thrust23THRUST_200600_302600_NS5tupleIblNS6_9null_typeES8_S8_S8_S8_S8_S8_S8_EEEEZNS1_11reduce_implILb1ES3_PS9_SC_S9_NS6_11hip_rocprim9__find_if7functorIS9_EEEE10hipError_tPvRmT1_T2_T3_mT4_P12ihipStream_tbEUlT_E1_NS1_11comp_targetILNS1_3genE0ELNS1_11target_archE4294967295ELNS1_3gpuE0ELNS1_3repE0EEENS1_30default_config_static_selectorELNS0_4arch9wavefront6targetE1EEEvSK_
                                        ; -- End function
	.section	.AMDGPU.csdata,"",@progbits
; Kernel info:
; codeLenInByte = 0
; NumSgprs: 4
; NumVgprs: 0
; NumAgprs: 0
; TotalNumVgprs: 0
; ScratchSize: 0
; MemoryBound: 0
; FloatMode: 240
; IeeeMode: 1
; LDSByteSize: 0 bytes/workgroup (compile time only)
; SGPRBlocks: 0
; VGPRBlocks: 0
; NumSGPRsForWavesPerEU: 4
; NumVGPRsForWavesPerEU: 1
; AccumOffset: 4
; Occupancy: 8
; WaveLimiterHint : 0
; COMPUTE_PGM_RSRC2:SCRATCH_EN: 0
; COMPUTE_PGM_RSRC2:USER_SGPR: 6
; COMPUTE_PGM_RSRC2:TRAP_HANDLER: 0
; COMPUTE_PGM_RSRC2:TGID_X_EN: 1
; COMPUTE_PGM_RSRC2:TGID_Y_EN: 0
; COMPUTE_PGM_RSRC2:TGID_Z_EN: 0
; COMPUTE_PGM_RSRC2:TIDIG_COMP_CNT: 0
; COMPUTE_PGM_RSRC3_GFX90A:ACCUM_OFFSET: 0
; COMPUTE_PGM_RSRC3_GFX90A:TG_SPLIT: 0
	.section	.text._ZN7rocprim17ROCPRIM_400000_NS6detail17trampoline_kernelINS0_14default_configENS1_22reduce_config_selectorIN6thrust23THRUST_200600_302600_NS5tupleIblNS6_9null_typeES8_S8_S8_S8_S8_S8_S8_EEEEZNS1_11reduce_implILb1ES3_PS9_SC_S9_NS6_11hip_rocprim9__find_if7functorIS9_EEEE10hipError_tPvRmT1_T2_T3_mT4_P12ihipStream_tbEUlT_E1_NS1_11comp_targetILNS1_3genE5ELNS1_11target_archE942ELNS1_3gpuE9ELNS1_3repE0EEENS1_30default_config_static_selectorELNS0_4arch9wavefront6targetE1EEEvSK_,"axG",@progbits,_ZN7rocprim17ROCPRIM_400000_NS6detail17trampoline_kernelINS0_14default_configENS1_22reduce_config_selectorIN6thrust23THRUST_200600_302600_NS5tupleIblNS6_9null_typeES8_S8_S8_S8_S8_S8_S8_EEEEZNS1_11reduce_implILb1ES3_PS9_SC_S9_NS6_11hip_rocprim9__find_if7functorIS9_EEEE10hipError_tPvRmT1_T2_T3_mT4_P12ihipStream_tbEUlT_E1_NS1_11comp_targetILNS1_3genE5ELNS1_11target_archE942ELNS1_3gpuE9ELNS1_3repE0EEENS1_30default_config_static_selectorELNS0_4arch9wavefront6targetE1EEEvSK_,comdat
	.protected	_ZN7rocprim17ROCPRIM_400000_NS6detail17trampoline_kernelINS0_14default_configENS1_22reduce_config_selectorIN6thrust23THRUST_200600_302600_NS5tupleIblNS6_9null_typeES8_S8_S8_S8_S8_S8_S8_EEEEZNS1_11reduce_implILb1ES3_PS9_SC_S9_NS6_11hip_rocprim9__find_if7functorIS9_EEEE10hipError_tPvRmT1_T2_T3_mT4_P12ihipStream_tbEUlT_E1_NS1_11comp_targetILNS1_3genE5ELNS1_11target_archE942ELNS1_3gpuE9ELNS1_3repE0EEENS1_30default_config_static_selectorELNS0_4arch9wavefront6targetE1EEEvSK_ ; -- Begin function _ZN7rocprim17ROCPRIM_400000_NS6detail17trampoline_kernelINS0_14default_configENS1_22reduce_config_selectorIN6thrust23THRUST_200600_302600_NS5tupleIblNS6_9null_typeES8_S8_S8_S8_S8_S8_S8_EEEEZNS1_11reduce_implILb1ES3_PS9_SC_S9_NS6_11hip_rocprim9__find_if7functorIS9_EEEE10hipError_tPvRmT1_T2_T3_mT4_P12ihipStream_tbEUlT_E1_NS1_11comp_targetILNS1_3genE5ELNS1_11target_archE942ELNS1_3gpuE9ELNS1_3repE0EEENS1_30default_config_static_selectorELNS0_4arch9wavefront6targetE1EEEvSK_
	.globl	_ZN7rocprim17ROCPRIM_400000_NS6detail17trampoline_kernelINS0_14default_configENS1_22reduce_config_selectorIN6thrust23THRUST_200600_302600_NS5tupleIblNS6_9null_typeES8_S8_S8_S8_S8_S8_S8_EEEEZNS1_11reduce_implILb1ES3_PS9_SC_S9_NS6_11hip_rocprim9__find_if7functorIS9_EEEE10hipError_tPvRmT1_T2_T3_mT4_P12ihipStream_tbEUlT_E1_NS1_11comp_targetILNS1_3genE5ELNS1_11target_archE942ELNS1_3gpuE9ELNS1_3repE0EEENS1_30default_config_static_selectorELNS0_4arch9wavefront6targetE1EEEvSK_
	.p2align	8
	.type	_ZN7rocprim17ROCPRIM_400000_NS6detail17trampoline_kernelINS0_14default_configENS1_22reduce_config_selectorIN6thrust23THRUST_200600_302600_NS5tupleIblNS6_9null_typeES8_S8_S8_S8_S8_S8_S8_EEEEZNS1_11reduce_implILb1ES3_PS9_SC_S9_NS6_11hip_rocprim9__find_if7functorIS9_EEEE10hipError_tPvRmT1_T2_T3_mT4_P12ihipStream_tbEUlT_E1_NS1_11comp_targetILNS1_3genE5ELNS1_11target_archE942ELNS1_3gpuE9ELNS1_3repE0EEENS1_30default_config_static_selectorELNS0_4arch9wavefront6targetE1EEEvSK_,@function
_ZN7rocprim17ROCPRIM_400000_NS6detail17trampoline_kernelINS0_14default_configENS1_22reduce_config_selectorIN6thrust23THRUST_200600_302600_NS5tupleIblNS6_9null_typeES8_S8_S8_S8_S8_S8_S8_EEEEZNS1_11reduce_implILb1ES3_PS9_SC_S9_NS6_11hip_rocprim9__find_if7functorIS9_EEEE10hipError_tPvRmT1_T2_T3_mT4_P12ihipStream_tbEUlT_E1_NS1_11comp_targetILNS1_3genE5ELNS1_11target_archE942ELNS1_3gpuE9ELNS1_3repE0EEENS1_30default_config_static_selectorELNS0_4arch9wavefront6targetE1EEEvSK_: ; @_ZN7rocprim17ROCPRIM_400000_NS6detail17trampoline_kernelINS0_14default_configENS1_22reduce_config_selectorIN6thrust23THRUST_200600_302600_NS5tupleIblNS6_9null_typeES8_S8_S8_S8_S8_S8_S8_EEEEZNS1_11reduce_implILb1ES3_PS9_SC_S9_NS6_11hip_rocprim9__find_if7functorIS9_EEEE10hipError_tPvRmT1_T2_T3_mT4_P12ihipStream_tbEUlT_E1_NS1_11comp_targetILNS1_3genE5ELNS1_11target_archE942ELNS1_3gpuE9ELNS1_3repE0EEENS1_30default_config_static_selectorELNS0_4arch9wavefront6targetE1EEEvSK_
; %bb.0:
	.section	.rodata,"a",@progbits
	.p2align	6, 0x0
	.amdhsa_kernel _ZN7rocprim17ROCPRIM_400000_NS6detail17trampoline_kernelINS0_14default_configENS1_22reduce_config_selectorIN6thrust23THRUST_200600_302600_NS5tupleIblNS6_9null_typeES8_S8_S8_S8_S8_S8_S8_EEEEZNS1_11reduce_implILb1ES3_PS9_SC_S9_NS6_11hip_rocprim9__find_if7functorIS9_EEEE10hipError_tPvRmT1_T2_T3_mT4_P12ihipStream_tbEUlT_E1_NS1_11comp_targetILNS1_3genE5ELNS1_11target_archE942ELNS1_3gpuE9ELNS1_3repE0EEENS1_30default_config_static_selectorELNS0_4arch9wavefront6targetE1EEEvSK_
		.amdhsa_group_segment_fixed_size 0
		.amdhsa_private_segment_fixed_size 0
		.amdhsa_kernarg_size 56
		.amdhsa_user_sgpr_count 6
		.amdhsa_user_sgpr_private_segment_buffer 1
		.amdhsa_user_sgpr_dispatch_ptr 0
		.amdhsa_user_sgpr_queue_ptr 0
		.amdhsa_user_sgpr_kernarg_segment_ptr 1
		.amdhsa_user_sgpr_dispatch_id 0
		.amdhsa_user_sgpr_flat_scratch_init 0
		.amdhsa_user_sgpr_kernarg_preload_length 0
		.amdhsa_user_sgpr_kernarg_preload_offset 0
		.amdhsa_user_sgpr_private_segment_size 0
		.amdhsa_uses_dynamic_stack 0
		.amdhsa_system_sgpr_private_segment_wavefront_offset 0
		.amdhsa_system_sgpr_workgroup_id_x 1
		.amdhsa_system_sgpr_workgroup_id_y 0
		.amdhsa_system_sgpr_workgroup_id_z 0
		.amdhsa_system_sgpr_workgroup_info 0
		.amdhsa_system_vgpr_workitem_id 0
		.amdhsa_next_free_vgpr 1
		.amdhsa_next_free_sgpr 0
		.amdhsa_accum_offset 4
		.amdhsa_reserve_vcc 0
		.amdhsa_reserve_flat_scratch 0
		.amdhsa_float_round_mode_32 0
		.amdhsa_float_round_mode_16_64 0
		.amdhsa_float_denorm_mode_32 3
		.amdhsa_float_denorm_mode_16_64 3
		.amdhsa_dx10_clamp 1
		.amdhsa_ieee_mode 1
		.amdhsa_fp16_overflow 0
		.amdhsa_tg_split 0
		.amdhsa_exception_fp_ieee_invalid_op 0
		.amdhsa_exception_fp_denorm_src 0
		.amdhsa_exception_fp_ieee_div_zero 0
		.amdhsa_exception_fp_ieee_overflow 0
		.amdhsa_exception_fp_ieee_underflow 0
		.amdhsa_exception_fp_ieee_inexact 0
		.amdhsa_exception_int_div_zero 0
	.end_amdhsa_kernel
	.section	.text._ZN7rocprim17ROCPRIM_400000_NS6detail17trampoline_kernelINS0_14default_configENS1_22reduce_config_selectorIN6thrust23THRUST_200600_302600_NS5tupleIblNS6_9null_typeES8_S8_S8_S8_S8_S8_S8_EEEEZNS1_11reduce_implILb1ES3_PS9_SC_S9_NS6_11hip_rocprim9__find_if7functorIS9_EEEE10hipError_tPvRmT1_T2_T3_mT4_P12ihipStream_tbEUlT_E1_NS1_11comp_targetILNS1_3genE5ELNS1_11target_archE942ELNS1_3gpuE9ELNS1_3repE0EEENS1_30default_config_static_selectorELNS0_4arch9wavefront6targetE1EEEvSK_,"axG",@progbits,_ZN7rocprim17ROCPRIM_400000_NS6detail17trampoline_kernelINS0_14default_configENS1_22reduce_config_selectorIN6thrust23THRUST_200600_302600_NS5tupleIblNS6_9null_typeES8_S8_S8_S8_S8_S8_S8_EEEEZNS1_11reduce_implILb1ES3_PS9_SC_S9_NS6_11hip_rocprim9__find_if7functorIS9_EEEE10hipError_tPvRmT1_T2_T3_mT4_P12ihipStream_tbEUlT_E1_NS1_11comp_targetILNS1_3genE5ELNS1_11target_archE942ELNS1_3gpuE9ELNS1_3repE0EEENS1_30default_config_static_selectorELNS0_4arch9wavefront6targetE1EEEvSK_,comdat
.Lfunc_end29:
	.size	_ZN7rocprim17ROCPRIM_400000_NS6detail17trampoline_kernelINS0_14default_configENS1_22reduce_config_selectorIN6thrust23THRUST_200600_302600_NS5tupleIblNS6_9null_typeES8_S8_S8_S8_S8_S8_S8_EEEEZNS1_11reduce_implILb1ES3_PS9_SC_S9_NS6_11hip_rocprim9__find_if7functorIS9_EEEE10hipError_tPvRmT1_T2_T3_mT4_P12ihipStream_tbEUlT_E1_NS1_11comp_targetILNS1_3genE5ELNS1_11target_archE942ELNS1_3gpuE9ELNS1_3repE0EEENS1_30default_config_static_selectorELNS0_4arch9wavefront6targetE1EEEvSK_, .Lfunc_end29-_ZN7rocprim17ROCPRIM_400000_NS6detail17trampoline_kernelINS0_14default_configENS1_22reduce_config_selectorIN6thrust23THRUST_200600_302600_NS5tupleIblNS6_9null_typeES8_S8_S8_S8_S8_S8_S8_EEEEZNS1_11reduce_implILb1ES3_PS9_SC_S9_NS6_11hip_rocprim9__find_if7functorIS9_EEEE10hipError_tPvRmT1_T2_T3_mT4_P12ihipStream_tbEUlT_E1_NS1_11comp_targetILNS1_3genE5ELNS1_11target_archE942ELNS1_3gpuE9ELNS1_3repE0EEENS1_30default_config_static_selectorELNS0_4arch9wavefront6targetE1EEEvSK_
                                        ; -- End function
	.section	.AMDGPU.csdata,"",@progbits
; Kernel info:
; codeLenInByte = 0
; NumSgprs: 4
; NumVgprs: 0
; NumAgprs: 0
; TotalNumVgprs: 0
; ScratchSize: 0
; MemoryBound: 0
; FloatMode: 240
; IeeeMode: 1
; LDSByteSize: 0 bytes/workgroup (compile time only)
; SGPRBlocks: 0
; VGPRBlocks: 0
; NumSGPRsForWavesPerEU: 4
; NumVGPRsForWavesPerEU: 1
; AccumOffset: 4
; Occupancy: 8
; WaveLimiterHint : 0
; COMPUTE_PGM_RSRC2:SCRATCH_EN: 0
; COMPUTE_PGM_RSRC2:USER_SGPR: 6
; COMPUTE_PGM_RSRC2:TRAP_HANDLER: 0
; COMPUTE_PGM_RSRC2:TGID_X_EN: 1
; COMPUTE_PGM_RSRC2:TGID_Y_EN: 0
; COMPUTE_PGM_RSRC2:TGID_Z_EN: 0
; COMPUTE_PGM_RSRC2:TIDIG_COMP_CNT: 0
; COMPUTE_PGM_RSRC3_GFX90A:ACCUM_OFFSET: 0
; COMPUTE_PGM_RSRC3_GFX90A:TG_SPLIT: 0
	.section	.text._ZN7rocprim17ROCPRIM_400000_NS6detail17trampoline_kernelINS0_14default_configENS1_22reduce_config_selectorIN6thrust23THRUST_200600_302600_NS5tupleIblNS6_9null_typeES8_S8_S8_S8_S8_S8_S8_EEEEZNS1_11reduce_implILb1ES3_PS9_SC_S9_NS6_11hip_rocprim9__find_if7functorIS9_EEEE10hipError_tPvRmT1_T2_T3_mT4_P12ihipStream_tbEUlT_E1_NS1_11comp_targetILNS1_3genE4ELNS1_11target_archE910ELNS1_3gpuE8ELNS1_3repE0EEENS1_30default_config_static_selectorELNS0_4arch9wavefront6targetE1EEEvSK_,"axG",@progbits,_ZN7rocprim17ROCPRIM_400000_NS6detail17trampoline_kernelINS0_14default_configENS1_22reduce_config_selectorIN6thrust23THRUST_200600_302600_NS5tupleIblNS6_9null_typeES8_S8_S8_S8_S8_S8_S8_EEEEZNS1_11reduce_implILb1ES3_PS9_SC_S9_NS6_11hip_rocprim9__find_if7functorIS9_EEEE10hipError_tPvRmT1_T2_T3_mT4_P12ihipStream_tbEUlT_E1_NS1_11comp_targetILNS1_3genE4ELNS1_11target_archE910ELNS1_3gpuE8ELNS1_3repE0EEENS1_30default_config_static_selectorELNS0_4arch9wavefront6targetE1EEEvSK_,comdat
	.protected	_ZN7rocprim17ROCPRIM_400000_NS6detail17trampoline_kernelINS0_14default_configENS1_22reduce_config_selectorIN6thrust23THRUST_200600_302600_NS5tupleIblNS6_9null_typeES8_S8_S8_S8_S8_S8_S8_EEEEZNS1_11reduce_implILb1ES3_PS9_SC_S9_NS6_11hip_rocprim9__find_if7functorIS9_EEEE10hipError_tPvRmT1_T2_T3_mT4_P12ihipStream_tbEUlT_E1_NS1_11comp_targetILNS1_3genE4ELNS1_11target_archE910ELNS1_3gpuE8ELNS1_3repE0EEENS1_30default_config_static_selectorELNS0_4arch9wavefront6targetE1EEEvSK_ ; -- Begin function _ZN7rocprim17ROCPRIM_400000_NS6detail17trampoline_kernelINS0_14default_configENS1_22reduce_config_selectorIN6thrust23THRUST_200600_302600_NS5tupleIblNS6_9null_typeES8_S8_S8_S8_S8_S8_S8_EEEEZNS1_11reduce_implILb1ES3_PS9_SC_S9_NS6_11hip_rocprim9__find_if7functorIS9_EEEE10hipError_tPvRmT1_T2_T3_mT4_P12ihipStream_tbEUlT_E1_NS1_11comp_targetILNS1_3genE4ELNS1_11target_archE910ELNS1_3gpuE8ELNS1_3repE0EEENS1_30default_config_static_selectorELNS0_4arch9wavefront6targetE1EEEvSK_
	.globl	_ZN7rocprim17ROCPRIM_400000_NS6detail17trampoline_kernelINS0_14default_configENS1_22reduce_config_selectorIN6thrust23THRUST_200600_302600_NS5tupleIblNS6_9null_typeES8_S8_S8_S8_S8_S8_S8_EEEEZNS1_11reduce_implILb1ES3_PS9_SC_S9_NS6_11hip_rocprim9__find_if7functorIS9_EEEE10hipError_tPvRmT1_T2_T3_mT4_P12ihipStream_tbEUlT_E1_NS1_11comp_targetILNS1_3genE4ELNS1_11target_archE910ELNS1_3gpuE8ELNS1_3repE0EEENS1_30default_config_static_selectorELNS0_4arch9wavefront6targetE1EEEvSK_
	.p2align	8
	.type	_ZN7rocprim17ROCPRIM_400000_NS6detail17trampoline_kernelINS0_14default_configENS1_22reduce_config_selectorIN6thrust23THRUST_200600_302600_NS5tupleIblNS6_9null_typeES8_S8_S8_S8_S8_S8_S8_EEEEZNS1_11reduce_implILb1ES3_PS9_SC_S9_NS6_11hip_rocprim9__find_if7functorIS9_EEEE10hipError_tPvRmT1_T2_T3_mT4_P12ihipStream_tbEUlT_E1_NS1_11comp_targetILNS1_3genE4ELNS1_11target_archE910ELNS1_3gpuE8ELNS1_3repE0EEENS1_30default_config_static_selectorELNS0_4arch9wavefront6targetE1EEEvSK_,@function
_ZN7rocprim17ROCPRIM_400000_NS6detail17trampoline_kernelINS0_14default_configENS1_22reduce_config_selectorIN6thrust23THRUST_200600_302600_NS5tupleIblNS6_9null_typeES8_S8_S8_S8_S8_S8_S8_EEEEZNS1_11reduce_implILb1ES3_PS9_SC_S9_NS6_11hip_rocprim9__find_if7functorIS9_EEEE10hipError_tPvRmT1_T2_T3_mT4_P12ihipStream_tbEUlT_E1_NS1_11comp_targetILNS1_3genE4ELNS1_11target_archE910ELNS1_3gpuE8ELNS1_3repE0EEENS1_30default_config_static_selectorELNS0_4arch9wavefront6targetE1EEEvSK_: ; @_ZN7rocprim17ROCPRIM_400000_NS6detail17trampoline_kernelINS0_14default_configENS1_22reduce_config_selectorIN6thrust23THRUST_200600_302600_NS5tupleIblNS6_9null_typeES8_S8_S8_S8_S8_S8_S8_EEEEZNS1_11reduce_implILb1ES3_PS9_SC_S9_NS6_11hip_rocprim9__find_if7functorIS9_EEEE10hipError_tPvRmT1_T2_T3_mT4_P12ihipStream_tbEUlT_E1_NS1_11comp_targetILNS1_3genE4ELNS1_11target_archE910ELNS1_3gpuE8ELNS1_3repE0EEENS1_30default_config_static_selectorELNS0_4arch9wavefront6targetE1EEEvSK_
; %bb.0:
	s_load_dword s29, s[4:5], 0x4
	s_load_dwordx4 s[20:23], s[4:5], 0x8
	s_load_dword s28, s[4:5], 0x20
	s_load_dwordx2 s[18:19], s[4:5], 0x28
	s_waitcnt lgkmcnt(0)
	s_cmp_lt_i32 s29, 4
	s_cbranch_scc1 .LBB30_23
; %bb.1:
	s_cmp_gt_i32 s29, 7
	s_cbranch_scc0 .LBB30_24
; %bb.2:
	s_cmp_eq_u32 s29, 8
	s_mov_b64 s[24:25], 0
	s_cbranch_scc0 .LBB30_25
; %bb.3:
	s_mov_b32 s7, 0
	s_lshl_b32 s2, s6, 11
	s_mov_b32 s3, s7
	s_lshr_b64 s[0:1], s[22:23], 11
	s_lshl_b64 s[8:9], s[2:3], 4
	s_add_u32 s16, s20, s8
	s_addc_u32 s17, s21, s9
	s_cmp_lg_u64 s[0:1], s[6:7]
	s_cbranch_scc0 .LBB30_48
; %bb.4:
	v_lshlrev_b32_e32 v1, 4, v0
	v_mov_b32_e32 v2, s17
	v_add_co_u32_e32 v14, vcc, s16, v1
	v_addc_co_u32_e32 v15, vcc, 0, v2, vcc
	v_add_co_u32_e32 v2, vcc, 0x1000, v14
	v_addc_co_u32_e32 v3, vcc, 0, v15, vcc
	;; [unrolled: 2-line block ×3, first 2 shown]
	global_load_ubyte v24, v1, s[16:17]
	global_load_ubyte v23, v[2:3], off
	global_load_dwordx2 v[12:13], v[2:3], off offset:8
	global_load_ubyte v22, v[4:5], off
	v_add_co_u32_e32 v2, vcc, 0x3000, v14
	v_addc_co_u32_e32 v3, vcc, 0, v15, vcc
	v_add_co_u32_e32 v26, vcc, 0x4000, v14
	v_addc_co_u32_e32 v27, vcc, 0, v15, vcc
	global_load_dwordx2 v[16:17], v[4:5], off offset:8
	global_load_ubyte v21, v[2:3], off
	global_load_dwordx2 v[8:9], v[2:3], off offset:8
	global_load_ubyte v20, v[26:27], off
	v_add_co_u32_e32 v2, vcc, 0x5000, v14
	v_addc_co_u32_e32 v3, vcc, 0, v15, vcc
	v_add_co_u32_e32 v28, vcc, 0x6000, v14
	v_addc_co_u32_e32 v29, vcc, 0, v15, vcc
	global_load_dwordx2 v[10:11], v[26:27], off offset:8
	global_load_ubyte v19, v[2:3], off
	global_load_dwordx2 v[6:7], v[2:3], off offset:8
	global_load_ubyte v18, v[28:29], off
	v_add_co_u32_e32 v26, vcc, 0x7000, v14
	v_addc_co_u32_e32 v27, vcc, 0, v15, vcc
	global_load_dwordx2 v[4:5], v[28:29], off offset:8
	global_load_ubyte v1, v[26:27], off
	global_load_dwordx2 v[2:3], v[26:27], off offset:8
	s_waitcnt vmcnt(14)
	v_and_b32_e32 v25, 1, v24
	v_cmp_eq_u32_e32 vcc, 1, v25
	s_and_saveexec_b64 s[8:9], vcc
	s_cbranch_execz .LBB30_6
; %bb.5:
	global_load_dwordx2 v[14:15], v[14:15], off offset:8
	s_waitcnt vmcnt(14)
	v_and_b32_e32 v23, 1, v23
	v_cmp_eq_u32_e32 vcc, 1, v23
	v_cndmask_b32_e64 v23, v24, 1, vcc
	s_waitcnt vmcnt(0)
	v_cmp_lt_i64_e64 s[0:1], v[12:13], v[14:15]
	v_cndmask_b32_e64 v13, v15, v13, s[0:1]
	v_cndmask_b32_e32 v13, v15, v13, vcc
	s_and_b64 vcc, vcc, s[0:1]
	v_cndmask_b32_e32 v12, v14, v12, vcc
.LBB30_6:
	s_or_b64 exec, exec, s[8:9]
	s_waitcnt vmcnt(11)
	v_and_b32_e32 v15, 1, v22
	s_waitcnt vmcnt(10)
	v_cmp_lt_i64_e32 vcc, v[16:17], v[12:13]
	v_cmp_eq_u32_e64 s[0:1], 1, v15
	v_and_b32_e32 v14, 1, v23
	s_and_b64 vcc, s[0:1], vcc
	v_cndmask_b32_e32 v12, v12, v16, vcc
	v_cndmask_b32_e32 v13, v13, v17, vcc
	v_cmp_eq_u32_e32 vcc, 1, v14
	v_cndmask_b32_e64 v15, v23, 1, s[0:1]
	v_cndmask_b32_e32 v13, v17, v13, vcc
	v_cndmask_b32_e32 v12, v16, v12, vcc
	s_waitcnt vmcnt(9)
	v_and_b32_e32 v16, 1, v21
	v_cndmask_b32_e32 v14, v22, v15, vcc
	s_waitcnt vmcnt(8)
	v_cmp_lt_i64_e32 vcc, v[8:9], v[12:13]
	v_cmp_eq_u32_e64 s[0:1], 1, v16
	v_and_b32_e32 v15, 1, v14
	s_and_b64 vcc, s[0:1], vcc
	v_cndmask_b32_e32 v12, v12, v8, vcc
	v_cndmask_b32_e32 v13, v13, v9, vcc
	v_cmp_eq_u32_e32 vcc, 1, v15
	v_cndmask_b32_e64 v14, v14, 1, s[0:1]
	v_cndmask_b32_e32 v9, v9, v13, vcc
	v_cndmask_b32_e32 v8, v8, v12, vcc
	s_waitcnt vmcnt(7)
	v_and_b32_e32 v13, 1, v20
	v_cndmask_b32_e32 v14, v21, v14, vcc
	;; [unrolled: 14-line block ×5, first 2 shown]
	s_waitcnt vmcnt(0)
	v_cmp_lt_i64_e32 vcc, v[2:3], v[4:5]
	v_cmp_eq_u32_e64 s[0:1], 1, v7
	v_and_b32_e32 v6, 1, v8
	s_and_b64 vcc, s[0:1], vcc
	v_cndmask_b32_e64 v7, v8, 1, s[0:1]
	v_cndmask_b32_e32 v4, v4, v2, vcc
	v_cndmask_b32_e32 v5, v5, v3, vcc
	v_cmp_eq_u32_e32 vcc, 1, v6
	v_cndmask_b32_e32 v7, v1, v7, vcc
	v_and_b32_e32 v1, 0xff, v7
	v_cndmask_b32_e32 v3, v3, v5, vcc
	v_cndmask_b32_e32 v2, v2, v4, vcc
	v_mov_b32_dpp v6, v1 quad_perm:[1,0,3,2] row_mask:0xf bank_mask:0xf bound_ctrl:1
	v_and_b32_e32 v8, 1, v6
	v_and_b32_e32 v7, 1, v7
	v_mov_b32_dpp v4, v2 quad_perm:[1,0,3,2] row_mask:0xf bank_mask:0xf bound_ctrl:1
	v_mov_b32_dpp v5, v3 quad_perm:[1,0,3,2] row_mask:0xf bank_mask:0xf bound_ctrl:1
	v_cmp_eq_u32_e32 vcc, 1, v8
	v_cmp_eq_u32_e64 s[0:1], 1, v7
	s_and_saveexec_b64 s[8:9], vcc
	s_xor_b64 s[8:9], exec, s[8:9]
; %bb.7:
	v_cmp_lt_i64_e32 vcc, v[2:3], v[4:5]
	v_cndmask_b32_e64 v6, v6, 1, s[0:1]
	s_and_b64 vcc, s[0:1], vcc
	v_cndmask_b32_e32 v2, v4, v2, vcc
	v_and_b32_e32 v4, 1, v6
	v_cndmask_b32_e32 v3, v5, v3, vcc
	v_cmp_eq_u32_e32 vcc, 1, v4
	s_andn2_b64 s[0:1], s[0:1], exec
	s_and_b64 s[10:11], vcc, exec
	v_and_b32_e32 v1, 0xff, v6
	s_or_b64 s[0:1], s[0:1], s[10:11]
; %bb.8:
	s_or_b64 exec, exec, s[8:9]
	v_mov_b32_dpp v6, v1 quad_perm:[2,3,0,1] row_mask:0xf bank_mask:0xf bound_ctrl:1
	v_and_b32_e32 v7, 1, v6
	v_mov_b32_dpp v4, v2 quad_perm:[2,3,0,1] row_mask:0xf bank_mask:0xf bound_ctrl:1
	v_mov_b32_dpp v5, v3 quad_perm:[2,3,0,1] row_mask:0xf bank_mask:0xf bound_ctrl:1
	v_cmp_eq_u32_e32 vcc, 1, v7
	s_and_saveexec_b64 s[8:9], vcc
; %bb.9:
	v_cmp_lt_i64_e32 vcc, v[2:3], v[4:5]
	v_cndmask_b32_e64 v6, v6, 1, s[0:1]
	s_and_b64 vcc, s[0:1], vcc
	v_cndmask_b32_e32 v2, v4, v2, vcc
	v_and_b32_e32 v4, 1, v6
	v_cndmask_b32_e32 v3, v5, v3, vcc
	v_cmp_eq_u32_e32 vcc, 1, v4
	s_andn2_b64 s[0:1], s[0:1], exec
	s_and_b64 s[10:11], vcc, exec
	v_and_b32_e32 v1, 0xff, v6
	s_or_b64 s[0:1], s[0:1], s[10:11]
; %bb.10:
	s_or_b64 exec, exec, s[8:9]
	v_mov_b32_dpp v6, v1 row_ror:4 row_mask:0xf bank_mask:0xf bound_ctrl:1
	v_and_b32_e32 v7, 1, v6
	v_mov_b32_dpp v4, v2 row_ror:4 row_mask:0xf bank_mask:0xf bound_ctrl:1
	v_mov_b32_dpp v5, v3 row_ror:4 row_mask:0xf bank_mask:0xf bound_ctrl:1
	v_cmp_eq_u32_e32 vcc, 1, v7
	s_and_saveexec_b64 s[8:9], vcc
; %bb.11:
	v_cmp_lt_i64_e32 vcc, v[2:3], v[4:5]
	v_cndmask_b32_e64 v6, v6, 1, s[0:1]
	s_and_b64 vcc, s[0:1], vcc
	v_cndmask_b32_e32 v2, v4, v2, vcc
	v_and_b32_e32 v4, 1, v6
	v_cndmask_b32_e32 v3, v5, v3, vcc
	v_cmp_eq_u32_e32 vcc, 1, v4
	s_andn2_b64 s[0:1], s[0:1], exec
	s_and_b64 s[10:11], vcc, exec
	v_and_b32_e32 v1, 0xff, v6
	s_or_b64 s[0:1], s[0:1], s[10:11]
; %bb.12:
	s_or_b64 exec, exec, s[8:9]
	v_mov_b32_dpp v6, v1 row_ror:8 row_mask:0xf bank_mask:0xf bound_ctrl:1
	v_and_b32_e32 v7, 1, v6
	v_mov_b32_dpp v4, v2 row_ror:8 row_mask:0xf bank_mask:0xf bound_ctrl:1
	v_mov_b32_dpp v5, v3 row_ror:8 row_mask:0xf bank_mask:0xf bound_ctrl:1
	v_cmp_eq_u32_e32 vcc, 1, v7
	s_and_saveexec_b64 s[8:9], vcc
; %bb.13:
	v_cmp_lt_i64_e32 vcc, v[2:3], v[4:5]
	v_cndmask_b32_e64 v6, v6, 1, s[0:1]
	s_and_b64 vcc, s[0:1], vcc
	v_cndmask_b32_e32 v2, v4, v2, vcc
	v_and_b32_e32 v4, 1, v6
	v_cndmask_b32_e32 v3, v5, v3, vcc
	v_cmp_eq_u32_e32 vcc, 1, v4
	s_andn2_b64 s[0:1], s[0:1], exec
	s_and_b64 s[10:11], vcc, exec
	v_and_b32_e32 v1, 0xff, v6
	s_or_b64 s[0:1], s[0:1], s[10:11]
; %bb.14:
	s_or_b64 exec, exec, s[8:9]
	v_mov_b32_dpp v6, v1 row_bcast:15 row_mask:0xf bank_mask:0xf bound_ctrl:1
	v_and_b32_e32 v7, 1, v6
	v_mov_b32_dpp v4, v2 row_bcast:15 row_mask:0xf bank_mask:0xf bound_ctrl:1
	v_mov_b32_dpp v5, v3 row_bcast:15 row_mask:0xf bank_mask:0xf bound_ctrl:1
	v_cmp_eq_u32_e32 vcc, 1, v7
	s_and_saveexec_b64 s[8:9], vcc
; %bb.15:
	v_cmp_lt_i64_e32 vcc, v[2:3], v[4:5]
	v_cndmask_b32_e64 v6, v6, 1, s[0:1]
	s_and_b64 vcc, s[0:1], vcc
	v_cndmask_b32_e32 v2, v4, v2, vcc
	v_and_b32_e32 v4, 1, v6
	v_cndmask_b32_e32 v3, v5, v3, vcc
	v_cmp_eq_u32_e32 vcc, 1, v4
	s_andn2_b64 s[0:1], s[0:1], exec
	s_and_b64 s[10:11], vcc, exec
	v_and_b32_e32 v1, 0xff, v6
	s_or_b64 s[0:1], s[0:1], s[10:11]
; %bb.16:
	s_or_b64 exec, exec, s[8:9]
	v_mov_b32_dpp v6, v1 row_bcast:31 row_mask:0xf bank_mask:0xf bound_ctrl:1
	v_and_b32_e32 v7, 1, v6
	v_mov_b32_dpp v4, v2 row_bcast:31 row_mask:0xf bank_mask:0xf bound_ctrl:1
	v_mov_b32_dpp v5, v3 row_bcast:31 row_mask:0xf bank_mask:0xf bound_ctrl:1
	v_cmp_eq_u32_e32 vcc, 1, v7
	s_and_saveexec_b64 s[8:9], vcc
; %bb.17:
	v_cmp_lt_i64_e32 vcc, v[2:3], v[4:5]
	v_and_b32_e32 v1, 0xff, v6
	s_and_b64 vcc, s[0:1], vcc
	v_cndmask_b32_e32 v2, v4, v2, vcc
	v_cndmask_b32_e32 v3, v5, v3, vcc
	v_cndmask_b32_e64 v1, v1, 1, s[0:1]
; %bb.18:
	s_or_b64 exec, exec, s[8:9]
	v_mbcnt_lo_u32_b32 v4, -1, 0
	v_mbcnt_hi_u32_b32 v4, -1, v4
	v_bfrev_b32_e32 v5, 0.5
	v_lshl_or_b32 v5, v4, 2, v5
	ds_bpermute_b32 v6, v5, v1
	ds_bpermute_b32 v2, v5, v2
	ds_bpermute_b32 v3, v5, v3
	v_cmp_eq_u32_e32 vcc, 0, v4
	s_and_saveexec_b64 s[0:1], vcc
	s_cbranch_execz .LBB30_20
; %bb.19:
	v_lshrrev_b32_e32 v1, 2, v0
	v_and_b32_e32 v1, 48, v1
	s_waitcnt lgkmcnt(2)
	ds_write_b8 v1, v6 offset:192
	s_waitcnt lgkmcnt(1)
	ds_write_b64 v1, v[2:3] offset:200
.LBB30_20:
	s_or_b64 exec, exec, s[0:1]
	v_cmp_gt_u32_e32 vcc, 64, v0
	s_waitcnt lgkmcnt(0)
	s_barrier
	s_and_saveexec_b64 s[8:9], vcc
	s_cbranch_execz .LBB30_22
; %bb.21:
	v_and_b32_e32 v1, 3, v4
	v_lshlrev_b32_e32 v2, 4, v1
	ds_read_u8 v5, v2 offset:192
	ds_read_b64 v[2:3], v2 offset:200
	v_cmp_ne_u32_e32 vcc, 3, v1
	v_addc_co_u32_e32 v6, vcc, 0, v4, vcc
	s_waitcnt lgkmcnt(1)
	v_and_b32_e32 v7, 0xff, v5
	v_lshlrev_b32_e32 v8, 2, v6
	ds_bpermute_b32 v9, v8, v7
	s_waitcnt lgkmcnt(1)
	ds_bpermute_b32 v6, v8, v2
	ds_bpermute_b32 v7, v8, v3
	v_and_b32_e32 v8, 1, v5
	s_waitcnt lgkmcnt(2)
	v_and_b32_e32 v10, 1, v9
	v_cmp_eq_u32_e64 s[0:1], 1, v10
	s_waitcnt lgkmcnt(0)
	v_cmp_lt_i64_e32 vcc, v[6:7], v[2:3]
	s_and_b64 vcc, s[0:1], vcc
	v_cndmask_b32_e64 v5, v5, 1, s[0:1]
	v_cndmask_b32_e32 v2, v2, v6, vcc
	v_cndmask_b32_e32 v3, v3, v7, vcc
	v_cmp_eq_u32_e32 vcc, 1, v8
	v_cndmask_b32_e32 v8, v9, v5, vcc
	v_cndmask_b32_e32 v3, v7, v3, vcc
	;; [unrolled: 1-line block ×3, first 2 shown]
	v_cmp_gt_u32_e32 vcc, 2, v1
	v_cndmask_b32_e64 v1, 0, 1, vcc
	v_lshlrev_b32_e32 v1, 1, v1
	v_and_b32_e32 v5, 0xff, v8
	v_add_lshl_u32 v1, v1, v4, 2
	ds_bpermute_b32 v6, v1, v5
	ds_bpermute_b32 v4, v1, v2
	;; [unrolled: 1-line block ×3, first 2 shown]
	v_and_b32_e32 v1, 1, v8
	s_waitcnt lgkmcnt(2)
	v_and_b32_e32 v7, 1, v6
	v_cmp_eq_u32_e64 s[0:1], 1, v7
	s_waitcnt lgkmcnt(0)
	v_cmp_lt_i64_e32 vcc, v[4:5], v[2:3]
	s_and_b64 vcc, s[0:1], vcc
	v_cndmask_b32_e64 v7, v8, 1, s[0:1]
	v_cndmask_b32_e32 v2, v2, v4, vcc
	v_cndmask_b32_e32 v3, v3, v5, vcc
	v_cmp_eq_u32_e32 vcc, 1, v1
	v_cndmask_b32_e32 v1, v6, v7, vcc
	v_cndmask_b32_e32 v3, v5, v3, vcc
	;; [unrolled: 1-line block ×3, first 2 shown]
	v_and_b32_e32 v6, 0xff, v1
.LBB30_22:
	s_or_b64 exec, exec, s[8:9]
	s_branch .LBB30_93
.LBB30_23:
	s_mov_b64 s[10:11], 0
                                        ; implicit-def: $vgpr4_vgpr5
                                        ; implicit-def: $vgpr1
	s_cbranch_execnz .LBB30_137
	s_branch .LBB30_214
.LBB30_24:
	s_mov_b64 s[24:25], -1
.LBB30_25:
	s_mov_b64 s[10:11], 0
                                        ; implicit-def: $vgpr4_vgpr5
                                        ; implicit-def: $vgpr1
	s_and_b64 vcc, exec, s[24:25]
	s_cbranch_vccz .LBB30_98
.LBB30_26:
	s_cmp_eq_u32 s29, 4
	s_cbranch_scc0 .LBB30_47
; %bb.27:
	s_mov_b32 s7, 0
	s_lshl_b32 s2, s6, 10
	s_mov_b32 s3, s7
	s_lshr_b64 s[0:1], s[22:23], 10
	s_lshl_b64 s[8:9], s[2:3], 4
	s_add_u32 s8, s20, s8
	s_addc_u32 s9, s21, s9
	s_cmp_lg_u64 s[0:1], s[6:7]
	s_cbranch_scc0 .LBB30_99
; %bb.28:
	s_waitcnt lgkmcnt(2)
	v_lshlrev_b32_e32 v1, 4, v0
	v_mov_b32_e32 v2, s9
	v_add_co_u32_e32 v8, vcc, s8, v1
	v_addc_co_u32_e32 v9, vcc, 0, v2, vcc
	v_add_co_u32_e32 v2, vcc, 0x1000, v8
	v_addc_co_u32_e32 v3, vcc, 0, v9, vcc
	;; [unrolled: 2-line block ×3, first 2 shown]
	v_add_co_u32_e32 v16, vcc, 0x3000, v8
	global_load_ubyte v12, v1, s[8:9]
	global_load_ubyte v11, v[2:3], off
	s_waitcnt lgkmcnt(0)
	global_load_dwordx2 v[4:5], v[2:3], off offset:8
	global_load_ubyte v10, v[14:15], off
	v_addc_co_u32_e32 v17, vcc, 0, v9, vcc
	global_load_dwordx2 v[6:7], v[14:15], off offset:8
	global_load_ubyte v1, v[16:17], off
	global_load_dwordx2 v[2:3], v[16:17], off offset:8
	s_waitcnt vmcnt(6)
	v_and_b32_e32 v13, 1, v12
	v_cmp_eq_u32_e32 vcc, 1, v13
	s_and_saveexec_b64 s[12:13], vcc
	s_cbranch_execz .LBB30_30
; %bb.29:
	global_load_dwordx2 v[8:9], v[8:9], off offset:8
	s_waitcnt vmcnt(6)
	v_and_b32_e32 v11, 1, v11
	v_cmp_eq_u32_e32 vcc, 1, v11
	v_cndmask_b32_e64 v11, v12, 1, vcc
	s_waitcnt vmcnt(0)
	v_cmp_lt_i64_e64 s[0:1], v[4:5], v[8:9]
	v_cndmask_b32_e64 v5, v9, v5, s[0:1]
	v_cndmask_b32_e32 v5, v9, v5, vcc
	s_and_b64 vcc, vcc, s[0:1]
	v_cndmask_b32_e32 v4, v8, v4, vcc
.LBB30_30:
	s_or_b64 exec, exec, s[12:13]
	s_waitcnt vmcnt(3)
	v_and_b32_e32 v9, 1, v10
	s_waitcnt vmcnt(2)
	v_cmp_lt_i64_e32 vcc, v[6:7], v[4:5]
	v_cmp_eq_u32_e64 s[0:1], 1, v9
	v_and_b32_e32 v8, 1, v11
	s_and_b64 vcc, s[0:1], vcc
	v_cndmask_b32_e32 v4, v4, v6, vcc
	v_cndmask_b32_e32 v5, v5, v7, vcc
	v_cmp_eq_u32_e32 vcc, 1, v8
	v_cndmask_b32_e64 v9, v11, 1, s[0:1]
	v_cndmask_b32_e32 v5, v7, v5, vcc
	v_cndmask_b32_e32 v4, v6, v4, vcc
	s_waitcnt vmcnt(1)
	v_and_b32_e32 v7, 1, v1
	v_cndmask_b32_e32 v8, v10, v9, vcc
	s_waitcnt vmcnt(0)
	v_cmp_lt_i64_e32 vcc, v[2:3], v[4:5]
	v_cmp_eq_u32_e64 s[0:1], 1, v7
	v_and_b32_e32 v6, 1, v8
	s_and_b64 vcc, s[0:1], vcc
	v_cndmask_b32_e64 v7, v8, 1, s[0:1]
	v_cndmask_b32_e32 v4, v4, v2, vcc
	v_cndmask_b32_e32 v5, v5, v3, vcc
	v_cmp_eq_u32_e32 vcc, 1, v6
	v_cndmask_b32_e32 v7, v1, v7, vcc
	v_and_b32_e32 v1, 0xff, v7
	v_cndmask_b32_e32 v3, v3, v5, vcc
	v_cndmask_b32_e32 v2, v2, v4, vcc
	v_mov_b32_dpp v6, v1 quad_perm:[1,0,3,2] row_mask:0xf bank_mask:0xf bound_ctrl:1
	v_and_b32_e32 v8, 1, v6
	v_and_b32_e32 v7, 1, v7
	v_mov_b32_dpp v4, v2 quad_perm:[1,0,3,2] row_mask:0xf bank_mask:0xf bound_ctrl:1
	v_mov_b32_dpp v5, v3 quad_perm:[1,0,3,2] row_mask:0xf bank_mask:0xf bound_ctrl:1
	v_cmp_eq_u32_e32 vcc, 1, v8
	v_cmp_eq_u32_e64 s[0:1], 1, v7
	s_and_saveexec_b64 s[12:13], vcc
	s_xor_b64 s[12:13], exec, s[12:13]
; %bb.31:
	v_cmp_lt_i64_e32 vcc, v[2:3], v[4:5]
	v_cndmask_b32_e64 v6, v6, 1, s[0:1]
	s_and_b64 vcc, s[0:1], vcc
	v_cndmask_b32_e32 v2, v4, v2, vcc
	v_and_b32_e32 v4, 1, v6
	v_cndmask_b32_e32 v3, v5, v3, vcc
	v_cmp_eq_u32_e32 vcc, 1, v4
	s_andn2_b64 s[0:1], s[0:1], exec
	s_and_b64 s[14:15], vcc, exec
	v_and_b32_e32 v1, 0xff, v6
	s_or_b64 s[0:1], s[0:1], s[14:15]
; %bb.32:
	s_or_b64 exec, exec, s[12:13]
	v_mov_b32_dpp v6, v1 quad_perm:[2,3,0,1] row_mask:0xf bank_mask:0xf bound_ctrl:1
	v_and_b32_e32 v7, 1, v6
	v_mov_b32_dpp v4, v2 quad_perm:[2,3,0,1] row_mask:0xf bank_mask:0xf bound_ctrl:1
	v_mov_b32_dpp v5, v3 quad_perm:[2,3,0,1] row_mask:0xf bank_mask:0xf bound_ctrl:1
	v_cmp_eq_u32_e32 vcc, 1, v7
	s_and_saveexec_b64 s[12:13], vcc
; %bb.33:
	v_cmp_lt_i64_e32 vcc, v[2:3], v[4:5]
	v_cndmask_b32_e64 v6, v6, 1, s[0:1]
	s_and_b64 vcc, s[0:1], vcc
	v_cndmask_b32_e32 v2, v4, v2, vcc
	v_and_b32_e32 v4, 1, v6
	v_cndmask_b32_e32 v3, v5, v3, vcc
	v_cmp_eq_u32_e32 vcc, 1, v4
	s_andn2_b64 s[0:1], s[0:1], exec
	s_and_b64 s[14:15], vcc, exec
	v_and_b32_e32 v1, 0xff, v6
	s_or_b64 s[0:1], s[0:1], s[14:15]
; %bb.34:
	s_or_b64 exec, exec, s[12:13]
	v_mov_b32_dpp v6, v1 row_ror:4 row_mask:0xf bank_mask:0xf bound_ctrl:1
	v_and_b32_e32 v7, 1, v6
	v_mov_b32_dpp v4, v2 row_ror:4 row_mask:0xf bank_mask:0xf bound_ctrl:1
	v_mov_b32_dpp v5, v3 row_ror:4 row_mask:0xf bank_mask:0xf bound_ctrl:1
	v_cmp_eq_u32_e32 vcc, 1, v7
	s_and_saveexec_b64 s[12:13], vcc
; %bb.35:
	v_cmp_lt_i64_e32 vcc, v[2:3], v[4:5]
	v_cndmask_b32_e64 v6, v6, 1, s[0:1]
	s_and_b64 vcc, s[0:1], vcc
	v_cndmask_b32_e32 v2, v4, v2, vcc
	v_and_b32_e32 v4, 1, v6
	v_cndmask_b32_e32 v3, v5, v3, vcc
	v_cmp_eq_u32_e32 vcc, 1, v4
	s_andn2_b64 s[0:1], s[0:1], exec
	s_and_b64 s[14:15], vcc, exec
	v_and_b32_e32 v1, 0xff, v6
	s_or_b64 s[0:1], s[0:1], s[14:15]
; %bb.36:
	s_or_b64 exec, exec, s[12:13]
	v_mov_b32_dpp v6, v1 row_ror:8 row_mask:0xf bank_mask:0xf bound_ctrl:1
	v_and_b32_e32 v7, 1, v6
	v_mov_b32_dpp v4, v2 row_ror:8 row_mask:0xf bank_mask:0xf bound_ctrl:1
	v_mov_b32_dpp v5, v3 row_ror:8 row_mask:0xf bank_mask:0xf bound_ctrl:1
	v_cmp_eq_u32_e32 vcc, 1, v7
	s_and_saveexec_b64 s[12:13], vcc
; %bb.37:
	v_cmp_lt_i64_e32 vcc, v[2:3], v[4:5]
	v_cndmask_b32_e64 v6, v6, 1, s[0:1]
	s_and_b64 vcc, s[0:1], vcc
	v_cndmask_b32_e32 v2, v4, v2, vcc
	v_and_b32_e32 v4, 1, v6
	v_cndmask_b32_e32 v3, v5, v3, vcc
	v_cmp_eq_u32_e32 vcc, 1, v4
	s_andn2_b64 s[0:1], s[0:1], exec
	s_and_b64 s[14:15], vcc, exec
	v_and_b32_e32 v1, 0xff, v6
	s_or_b64 s[0:1], s[0:1], s[14:15]
; %bb.38:
	s_or_b64 exec, exec, s[12:13]
	v_mov_b32_dpp v6, v1 row_bcast:15 row_mask:0xf bank_mask:0xf bound_ctrl:1
	v_and_b32_e32 v7, 1, v6
	v_mov_b32_dpp v4, v2 row_bcast:15 row_mask:0xf bank_mask:0xf bound_ctrl:1
	v_mov_b32_dpp v5, v3 row_bcast:15 row_mask:0xf bank_mask:0xf bound_ctrl:1
	v_cmp_eq_u32_e32 vcc, 1, v7
	s_and_saveexec_b64 s[12:13], vcc
; %bb.39:
	v_cmp_lt_i64_e32 vcc, v[2:3], v[4:5]
	v_cndmask_b32_e64 v6, v6, 1, s[0:1]
	s_and_b64 vcc, s[0:1], vcc
	v_cndmask_b32_e32 v2, v4, v2, vcc
	v_and_b32_e32 v4, 1, v6
	v_cndmask_b32_e32 v3, v5, v3, vcc
	v_cmp_eq_u32_e32 vcc, 1, v4
	s_andn2_b64 s[0:1], s[0:1], exec
	s_and_b64 s[14:15], vcc, exec
	v_and_b32_e32 v1, 0xff, v6
	s_or_b64 s[0:1], s[0:1], s[14:15]
; %bb.40:
	s_or_b64 exec, exec, s[12:13]
	v_mov_b32_dpp v6, v1 row_bcast:31 row_mask:0xf bank_mask:0xf bound_ctrl:1
	v_and_b32_e32 v7, 1, v6
	v_mov_b32_dpp v4, v2 row_bcast:31 row_mask:0xf bank_mask:0xf bound_ctrl:1
	v_mov_b32_dpp v5, v3 row_bcast:31 row_mask:0xf bank_mask:0xf bound_ctrl:1
	v_cmp_eq_u32_e32 vcc, 1, v7
	s_and_saveexec_b64 s[12:13], vcc
; %bb.41:
	v_cmp_lt_i64_e32 vcc, v[2:3], v[4:5]
	v_and_b32_e32 v1, 0xff, v6
	s_and_b64 vcc, s[0:1], vcc
	v_cndmask_b32_e32 v2, v4, v2, vcc
	v_cndmask_b32_e32 v3, v5, v3, vcc
	v_cndmask_b32_e64 v1, v1, 1, s[0:1]
; %bb.42:
	s_or_b64 exec, exec, s[12:13]
	v_mbcnt_lo_u32_b32 v4, -1, 0
	v_mbcnt_hi_u32_b32 v4, -1, v4
	v_bfrev_b32_e32 v5, 0.5
	v_lshl_or_b32 v5, v4, 2, v5
	ds_bpermute_b32 v6, v5, v1
	ds_bpermute_b32 v2, v5, v2
	;; [unrolled: 1-line block ×3, first 2 shown]
	v_cmp_eq_u32_e32 vcc, 0, v4
	s_and_saveexec_b64 s[0:1], vcc
	s_cbranch_execz .LBB30_44
; %bb.43:
	v_lshrrev_b32_e32 v1, 2, v0
	v_and_b32_e32 v1, 48, v1
	s_waitcnt lgkmcnt(2)
	ds_write_b8 v1, v6 offset:128
	s_waitcnt lgkmcnt(1)
	ds_write_b64 v1, v[2:3] offset:136
.LBB30_44:
	s_or_b64 exec, exec, s[0:1]
	v_cmp_gt_u32_e32 vcc, 64, v0
	s_waitcnt lgkmcnt(0)
	s_barrier
	s_and_saveexec_b64 s[12:13], vcc
	s_cbranch_execz .LBB30_46
; %bb.45:
	v_and_b32_e32 v1, 3, v4
	v_lshlrev_b32_e32 v2, 4, v1
	ds_read_u8 v5, v2 offset:128
	ds_read_b64 v[2:3], v2 offset:136
	v_cmp_ne_u32_e32 vcc, 3, v1
	v_addc_co_u32_e32 v6, vcc, 0, v4, vcc
	s_waitcnt lgkmcnt(1)
	v_and_b32_e32 v7, 0xff, v5
	v_lshlrev_b32_e32 v8, 2, v6
	ds_bpermute_b32 v9, v8, v7
	s_waitcnt lgkmcnt(1)
	ds_bpermute_b32 v6, v8, v2
	ds_bpermute_b32 v7, v8, v3
	v_and_b32_e32 v8, 1, v5
	s_waitcnt lgkmcnt(2)
	v_and_b32_e32 v10, 1, v9
	v_cmp_eq_u32_e64 s[0:1], 1, v10
	s_waitcnt lgkmcnt(0)
	v_cmp_lt_i64_e32 vcc, v[6:7], v[2:3]
	s_and_b64 vcc, s[0:1], vcc
	v_cndmask_b32_e64 v5, v5, 1, s[0:1]
	v_cndmask_b32_e32 v2, v2, v6, vcc
	v_cndmask_b32_e32 v3, v3, v7, vcc
	v_cmp_eq_u32_e32 vcc, 1, v8
	v_cndmask_b32_e32 v8, v9, v5, vcc
	v_cndmask_b32_e32 v3, v7, v3, vcc
	;; [unrolled: 1-line block ×3, first 2 shown]
	v_cmp_gt_u32_e32 vcc, 2, v1
	v_cndmask_b32_e64 v1, 0, 1, vcc
	v_lshlrev_b32_e32 v1, 1, v1
	v_and_b32_e32 v5, 0xff, v8
	v_add_lshl_u32 v1, v1, v4, 2
	ds_bpermute_b32 v6, v1, v5
	ds_bpermute_b32 v4, v1, v2
	;; [unrolled: 1-line block ×3, first 2 shown]
	v_and_b32_e32 v1, 1, v8
	s_waitcnt lgkmcnt(2)
	v_and_b32_e32 v7, 1, v6
	v_cmp_eq_u32_e64 s[0:1], 1, v7
	s_waitcnt lgkmcnt(0)
	v_cmp_lt_i64_e32 vcc, v[4:5], v[2:3]
	s_and_b64 vcc, s[0:1], vcc
	v_cndmask_b32_e64 v7, v8, 1, s[0:1]
	v_cndmask_b32_e32 v2, v2, v4, vcc
	v_cndmask_b32_e32 v3, v3, v5, vcc
	v_cmp_eq_u32_e32 vcc, 1, v1
	v_cndmask_b32_e32 v1, v6, v7, vcc
	v_cndmask_b32_e32 v3, v5, v3, vcc
	;; [unrolled: 1-line block ×3, first 2 shown]
	v_and_b32_e32 v6, 0xff, v1
.LBB30_46:
	s_or_b64 exec, exec, s[12:13]
	s_branch .LBB30_132
.LBB30_47:
                                        ; implicit-def: $vgpr4_vgpr5
                                        ; implicit-def: $vgpr1
	s_branch .LBB30_214
.LBB30_48:
                                        ; implicit-def: $vgpr2_vgpr3
                                        ; implicit-def: $vgpr6
	s_cbranch_execz .LBB30_93
; %bb.49:
	s_sub_i32 s30, s22, s2
	v_pk_mov_b32 v[14:15], 0, 0
	v_cmp_gt_u32_e32 vcc, s30, v0
	v_mov_b32_e32 v23, 0
	v_pk_mov_b32 v[2:3], v[14:15], v[14:15] op_sel:[0,1]
	v_mov_b32_e32 v18, 0
	s_and_saveexec_b64 s[0:1], vcc
	s_cbranch_execz .LBB30_51
; %bb.50:
	v_lshlrev_b32_e32 v1, 4, v0
	global_load_ubyte v18, v1, s[16:17]
	global_load_dwordx2 v[2:3], v1, s[16:17] offset:8
.LBB30_51:
	s_or_b64 exec, exec, s[0:1]
	v_or_b32_e32 v1, 0x100, v0
	v_cmp_gt_u32_e64 s[14:15], s30, v1
	s_and_saveexec_b64 s[0:1], s[14:15]
	s_cbranch_execz .LBB30_53
; %bb.52:
	v_lshlrev_b32_e32 v1, 4, v1
	global_load_ubyte v23, v1, s[16:17]
	global_load_dwordx2 v[14:15], v1, s[16:17] offset:8
.LBB30_53:
	s_or_b64 exec, exec, s[0:1]
	v_or_b32_e32 v1, 0x200, v0
	v_pk_mov_b32 v[10:11], 0, 0
	v_cmp_gt_u32_e64 s[12:13], s30, v1
	v_mov_b32_e32 v21, 0
	v_pk_mov_b32 v[16:17], v[10:11], v[10:11] op_sel:[0,1]
	v_mov_b32_e32 v24, 0
	s_and_saveexec_b64 s[0:1], s[12:13]
	s_cbranch_execz .LBB30_55
; %bb.54:
	v_lshlrev_b32_e32 v1, 4, v1
	global_load_ubyte v24, v1, s[16:17]
	global_load_dwordx2 v[16:17], v1, s[16:17] offset:8
.LBB30_55:
	s_or_b64 exec, exec, s[0:1]
	v_or_b32_e32 v1, 0x300, v0
	v_cmp_gt_u32_e64 s[10:11], s30, v1
	s_and_saveexec_b64 s[0:1], s[10:11]
	s_cbranch_execz .LBB30_57
; %bb.56:
	v_lshlrev_b32_e32 v1, 4, v1
	global_load_ubyte v21, v1, s[16:17]
	global_load_dwordx2 v[10:11], v1, s[16:17] offset:8
.LBB30_57:
	s_or_b64 exec, exec, s[0:1]
	v_or_b32_e32 v1, 0x400, v0
	v_pk_mov_b32 v[6:7], 0, 0
	v_cmp_gt_u32_e64 s[8:9], s30, v1
	v_mov_b32_e32 v19, 0
	v_pk_mov_b32 v[12:13], v[6:7], v[6:7] op_sel:[0,1]
	v_mov_b32_e32 v22, 0
	s_and_saveexec_b64 s[0:1], s[8:9]
	s_cbranch_execz .LBB30_59
; %bb.58:
	v_lshlrev_b32_e32 v1, 4, v1
	global_load_ubyte v22, v1, s[16:17]
	global_load_dwordx2 v[12:13], v1, s[16:17] offset:8
.LBB30_59:
	s_or_b64 exec, exec, s[0:1]
	v_or_b32_e32 v1, 0x500, v0
	v_cmp_gt_u32_e64 s[2:3], s30, v1
	s_and_saveexec_b64 s[0:1], s[2:3]
	s_cbranch_execz .LBB30_61
; %bb.60:
	v_lshlrev_b32_e32 v1, 4, v1
	global_load_ubyte v19, v1, s[16:17]
	global_load_dwordx2 v[6:7], v1, s[16:17] offset:8
.LBB30_61:
	s_or_b64 exec, exec, s[0:1]
	v_or_b32_e32 v25, 0x600, v0
	v_pk_mov_b32 v[4:5], 0, 0
	v_cmp_gt_u32_e64 s[0:1], s30, v25
	v_mov_b32_e32 v1, 0
	v_mov_b32_e32 v20, 0
	v_pk_mov_b32 v[8:9], v[4:5], v[4:5] op_sel:[0,1]
	s_and_saveexec_b64 s[26:27], s[0:1]
	s_cbranch_execz .LBB30_63
; %bb.62:
	v_lshlrev_b32_e32 v25, 4, v25
	global_load_ubyte v20, v25, s[16:17]
	global_load_dwordx2 v[8:9], v25, s[16:17] offset:8
.LBB30_63:
	s_or_b64 exec, exec, s[26:27]
	v_or_b32_e32 v25, 0x700, v0
	v_cmp_gt_u32_e32 vcc, s30, v25
	s_and_saveexec_b64 s[26:27], vcc
	s_cbranch_execnz .LBB30_246
; %bb.64:
	s_or_b64 exec, exec, s[26:27]
	s_and_saveexec_b64 s[26:27], s[14:15]
	s_cbranch_execnz .LBB30_247
.LBB30_65:
	s_or_b64 exec, exec, s[26:27]
	s_and_saveexec_b64 s[16:17], s[12:13]
	s_cbranch_execnz .LBB30_248
.LBB30_66:
	s_or_b64 exec, exec, s[16:17]
	s_and_saveexec_b64 s[14:15], s[10:11]
	s_cbranch_execnz .LBB30_249
.LBB30_67:
	s_or_b64 exec, exec, s[14:15]
	s_and_saveexec_b64 s[12:13], s[8:9]
	s_cbranch_execnz .LBB30_250
.LBB30_68:
	s_or_b64 exec, exec, s[12:13]
	s_and_saveexec_b64 s[10:11], s[2:3]
	s_cbranch_execnz .LBB30_251
.LBB30_69:
	s_or_b64 exec, exec, s[10:11]
	s_and_saveexec_b64 s[8:9], s[0:1]
	s_cbranch_execnz .LBB30_252
.LBB30_70:
	s_or_b64 exec, exec, s[8:9]
	s_and_saveexec_b64 s[2:3], vcc
	s_cbranch_execz .LBB30_72
.LBB30_71:
	s_waitcnt vmcnt(0)
	v_and_b32_e32 v7, 1, v1
	v_cmp_lt_i64_e32 vcc, v[4:5], v[2:3]
	v_cmp_eq_u32_e64 s[0:1], 1, v7
	v_and_b32_e32 v6, 1, v18
	s_and_b64 vcc, s[0:1], vcc
	v_cndmask_b32_e64 v7, v18, 1, s[0:1]
	v_cndmask_b32_e32 v2, v2, v4, vcc
	v_cndmask_b32_e32 v3, v3, v5, vcc
	v_cmp_eq_u32_e32 vcc, 1, v6
	v_cndmask_b32_e32 v18, v1, v7, vcc
	v_cndmask_b32_e32 v3, v5, v3, vcc
	;; [unrolled: 1-line block ×3, first 2 shown]
.LBB30_72:
	s_or_b64 exec, exec, s[2:3]
	s_waitcnt vmcnt(1)
	v_mbcnt_lo_u32_b32 v1, -1, 0
	v_mbcnt_hi_u32_b32 v1, -1, v1
	s_waitcnt vmcnt(0)
	v_and_b32_e32 v7, 63, v1
	v_cmp_ne_u32_e32 vcc, 63, v7
	v_addc_co_u32_e32 v4, vcc, 0, v1, vcc
	v_and_b32_e32 v6, 0xff, v18
	v_lshlrev_b32_e32 v5, 2, v4
	ds_bpermute_b32 v10, v5, v6
	ds_bpermute_b32 v4, v5, v2
	;; [unrolled: 1-line block ×3, first 2 shown]
	s_min_u32 s8, s30, 0x100
	v_and_b32_e32 v8, 0xc0, v0
	v_sub_u32_e64 v9, s8, v8 clamp
	v_add_u32_e32 v8, 1, v7
	v_cmp_lt_u32_e32 vcc, v8, v9
	v_mov_b32_e32 v8, v6
	s_and_saveexec_b64 s[0:1], vcc
	s_xor_b64 s[2:3], exec, s[0:1]
	s_cbranch_execz .LBB30_74
; %bb.73:
	s_waitcnt lgkmcnt(2)
	v_and_b32_e32 v11, 1, v10
	s_waitcnt lgkmcnt(0)
	v_cmp_lt_i64_e32 vcc, v[4:5], v[2:3]
	v_cmp_eq_u32_e64 s[0:1], 1, v11
	v_and_b32_e32 v8, 1, v18
	s_and_b64 vcc, s[0:1], vcc
	v_cndmask_b32_e64 v6, v6, 1, s[0:1]
	v_cndmask_b32_e32 v2, v2, v4, vcc
	v_cndmask_b32_e32 v3, v3, v5, vcc
	v_cmp_eq_u32_e32 vcc, 1, v8
	v_cndmask_b32_e32 v8, v10, v6, vcc
	v_cndmask_b32_e32 v3, v5, v3, vcc
	v_cndmask_b32_e32 v2, v4, v2, vcc
	v_and_b32_e32 v6, 0xff, v8
.LBB30_74:
	s_or_b64 exec, exec, s[2:3]
	v_cmp_gt_u32_e32 vcc, 62, v7
	s_waitcnt lgkmcnt(1)
	v_cndmask_b32_e64 v4, 0, 1, vcc
	v_lshlrev_b32_e32 v4, 1, v4
	s_waitcnt lgkmcnt(0)
	v_add_lshl_u32 v5, v4, v1, 2
	ds_bpermute_b32 v10, v5, v6
	ds_bpermute_b32 v4, v5, v2
	ds_bpermute_b32 v5, v5, v3
	v_add_u32_e32 v11, 2, v7
	v_cmp_lt_u32_e32 vcc, v11, v9
	s_and_saveexec_b64 s[2:3], vcc
	s_cbranch_execz .LBB30_76
; %bb.75:
	s_waitcnt lgkmcnt(2)
	v_and_b32_e32 v11, 1, v10
	s_waitcnt lgkmcnt(0)
	v_cmp_lt_i64_e32 vcc, v[4:5], v[2:3]
	v_cmp_eq_u32_e64 s[0:1], 1, v11
	v_and_b32_e32 v6, 1, v8
	s_and_b64 vcc, s[0:1], vcc
	v_cndmask_b32_e64 v8, v8, 1, s[0:1]
	v_cndmask_b32_e32 v2, v2, v4, vcc
	v_cndmask_b32_e32 v3, v3, v5, vcc
	v_cmp_eq_u32_e32 vcc, 1, v6
	v_cndmask_b32_e32 v8, v10, v8, vcc
	v_cndmask_b32_e32 v3, v5, v3, vcc
	v_cndmask_b32_e32 v2, v4, v2, vcc
	v_and_b32_e32 v6, 0xff, v8
.LBB30_76:
	s_or_b64 exec, exec, s[2:3]
	v_cmp_gt_u32_e32 vcc, 60, v7
	s_waitcnt lgkmcnt(1)
	v_cndmask_b32_e64 v4, 0, 1, vcc
	v_lshlrev_b32_e32 v4, 2, v4
	s_waitcnt lgkmcnt(0)
	v_add_lshl_u32 v5, v4, v1, 2
	ds_bpermute_b32 v10, v5, v6
	ds_bpermute_b32 v4, v5, v2
	ds_bpermute_b32 v5, v5, v3
	v_add_u32_e32 v11, 4, v7
	v_cmp_lt_u32_e32 vcc, v11, v9
	s_and_saveexec_b64 s[2:3], vcc
	;; [unrolled: 31-line block ×5, first 2 shown]
	s_cbranch_execz .LBB30_84
; %bb.83:
	s_waitcnt lgkmcnt(2)
	v_and_b32_e32 v7, 1, v10
	s_waitcnt lgkmcnt(0)
	v_cmp_lt_i64_e32 vcc, v[4:5], v[2:3]
	v_cmp_eq_u32_e64 s[0:1], 1, v7
	v_and_b32_e32 v6, 1, v8
	s_and_b64 vcc, s[0:1], vcc
	v_cndmask_b32_e64 v7, v8, 1, s[0:1]
	v_cndmask_b32_e32 v2, v2, v4, vcc
	v_cndmask_b32_e32 v3, v3, v5, vcc
	v_cmp_eq_u32_e32 vcc, 1, v6
	v_cndmask_b32_e32 v8, v10, v7, vcc
	v_cndmask_b32_e32 v3, v5, v3, vcc
	;; [unrolled: 1-line block ×3, first 2 shown]
	v_and_b32_e32 v6, 0xff, v8
.LBB30_84:
	s_or_b64 exec, exec, s[2:3]
	v_cmp_eq_u32_e32 vcc, 0, v1
	s_and_saveexec_b64 s[0:1], vcc
	s_cbranch_execz .LBB30_86
; %bb.85:
	s_waitcnt lgkmcnt(1)
	v_lshrrev_b32_e32 v4, 2, v0
	v_and_b32_e32 v4, 48, v4
	ds_write_b8 v4, v8 offset:256
	ds_write_b64 v4, v[2:3] offset:264
.LBB30_86:
	s_or_b64 exec, exec, s[0:1]
	v_cmp_gt_u32_e32 vcc, 4, v0
	s_waitcnt lgkmcnt(0)
	s_barrier
	s_and_saveexec_b64 s[2:3], vcc
	s_cbranch_execz .LBB30_92
; %bb.87:
	v_lshlrev_b32_e32 v2, 4, v1
	ds_read_u8 v7, v2 offset:256
	ds_read_b64 v[2:3], v2 offset:264
	v_and_b32_e32 v8, 3, v1
	v_cmp_ne_u32_e32 vcc, 3, v8
	v_addc_co_u32_e32 v4, vcc, 0, v1, vcc
	s_waitcnt lgkmcnt(1)
	v_and_b32_e32 v6, 0xff, v7
	v_lshlrev_b32_e32 v5, 2, v4
	ds_bpermute_b32 v9, v5, v6
	s_waitcnt lgkmcnt(1)
	ds_bpermute_b32 v4, v5, v2
	ds_bpermute_b32 v5, v5, v3
	s_add_i32 s8, s8, 63
	s_lshr_b32 s10, s8, 6
	v_add_u32_e32 v10, 1, v8
	v_cmp_gt_u32_e32 vcc, s10, v10
	s_and_saveexec_b64 s[8:9], vcc
	s_cbranch_execz .LBB30_89
; %bb.88:
	s_waitcnt lgkmcnt(2)
	v_and_b32_e32 v10, 1, v9
	s_waitcnt lgkmcnt(0)
	v_cmp_lt_i64_e32 vcc, v[4:5], v[2:3]
	v_cmp_eq_u32_e64 s[0:1], 1, v10
	v_and_b32_e32 v6, 1, v7
	s_and_b64 vcc, s[0:1], vcc
	v_cndmask_b32_e64 v7, v7, 1, s[0:1]
	v_cndmask_b32_e32 v2, v2, v4, vcc
	v_cndmask_b32_e32 v3, v3, v5, vcc
	v_cmp_eq_u32_e32 vcc, 1, v6
	v_cndmask_b32_e32 v7, v9, v7, vcc
	v_cndmask_b32_e32 v3, v5, v3, vcc
	;; [unrolled: 1-line block ×3, first 2 shown]
	v_and_b32_e32 v6, 0xff, v7
.LBB30_89:
	s_or_b64 exec, exec, s[8:9]
	v_cmp_gt_u32_e32 vcc, 2, v8
	s_waitcnt lgkmcnt(1)
	v_cndmask_b32_e64 v4, 0, 1, vcc
	v_lshlrev_b32_e32 v4, 1, v4
	s_waitcnt lgkmcnt(0)
	v_add_lshl_u32 v5, v4, v1, 2
	ds_bpermute_b32 v1, v5, v6
	ds_bpermute_b32 v4, v5, v2
	;; [unrolled: 1-line block ×3, first 2 shown]
	v_add_u32_e32 v8, 2, v8
	v_cmp_gt_u32_e32 vcc, s10, v8
	s_and_saveexec_b64 s[8:9], vcc
	s_cbranch_execz .LBB30_91
; %bb.90:
	s_waitcnt lgkmcnt(2)
	v_and_b32_e32 v8, 1, v1
	s_waitcnt lgkmcnt(0)
	v_cmp_lt_i64_e32 vcc, v[4:5], v[2:3]
	v_cmp_eq_u32_e64 s[0:1], 1, v8
	v_and_b32_e32 v6, 1, v7
	s_and_b64 vcc, s[0:1], vcc
	v_cndmask_b32_e64 v7, v7, 1, s[0:1]
	v_cndmask_b32_e32 v2, v2, v4, vcc
	v_cndmask_b32_e32 v3, v3, v5, vcc
	v_cmp_eq_u32_e32 vcc, 1, v6
	v_cndmask_b32_e32 v1, v1, v7, vcc
	v_cndmask_b32_e32 v3, v5, v3, vcc
	;; [unrolled: 1-line block ×3, first 2 shown]
	v_and_b32_e32 v6, 0xff, v1
.LBB30_91:
	s_or_b64 exec, exec, s[8:9]
.LBB30_92:
	s_or_b64 exec, exec, s[2:3]
.LBB30_93:
	v_cmp_eq_u32_e32 vcc, 0, v0
	s_mov_b64 s[10:11], 0
                                        ; implicit-def: $vgpr4_vgpr5
                                        ; implicit-def: $vgpr1
	s_and_saveexec_b64 s[0:1], vcc
	s_xor_b64 s[8:9], exec, s[0:1]
	s_cbranch_execz .LBB30_97
; %bb.94:
	s_cmp_eq_u64 s[22:23], 0
	s_waitcnt lgkmcnt(0)
	v_pk_mov_b32 v[4:5], s[18:19], s[18:19] op_sel:[0,1]
	v_mov_b32_e32 v1, s28
	s_cbranch_scc1 .LBB30_96
; %bb.95:
	v_and_b32_e32 v1, 1, v6
	s_bitcmp1_b32 s28, 0
	v_mov_b32_e32 v4, s28
	v_cmp_eq_u32_e32 vcc, 1, v1
	v_cmp_gt_i64_e64 s[2:3], s[18:19], v[2:3]
	v_cndmask_b32_e64 v1, v4, 1, vcc
	s_cselect_b64 s[0:1], -1, 0
	v_mov_b32_e32 v4, s18
	s_and_b64 vcc, vcc, s[2:3]
	v_mov_b32_e32 v5, s19
	v_cndmask_b32_e32 v4, v4, v2, vcc
	v_cndmask_b32_e32 v5, v5, v3, vcc
	v_cndmask_b32_e64 v1, v6, v1, s[0:1]
	v_cndmask_b32_e64 v5, v3, v5, s[0:1]
	;; [unrolled: 1-line block ×3, first 2 shown]
.LBB30_96:
	s_mov_b64 s[10:11], exec
.LBB30_97:
	s_or_b64 exec, exec, s[8:9]
	s_and_b64 vcc, exec, s[24:25]
	s_cbranch_vccnz .LBB30_26
.LBB30_98:
	s_branch .LBB30_214
.LBB30_99:
                                        ; implicit-def: $vgpr2_vgpr3
                                        ; implicit-def: $vgpr6
	s_cbranch_execz .LBB30_132
; %bb.100:
	s_sub_i32 s14, s22, s2
	v_pk_mov_b32 v[6:7], 0, 0
	v_cmp_gt_u32_e32 vcc, s14, v0
	v_mov_b32_e32 v11, 0
	v_pk_mov_b32 v[2:3], v[6:7], v[6:7] op_sel:[0,1]
	v_mov_b32_e32 v10, 0
	s_and_saveexec_b64 s[0:1], vcc
	s_cbranch_execz .LBB30_102
; %bb.101:
	s_waitcnt lgkmcnt(2)
	v_lshlrev_b32_e32 v1, 4, v0
	global_load_ubyte v10, v1, s[8:9]
	global_load_dwordx2 v[2:3], v1, s[8:9] offset:8
.LBB30_102:
	s_or_b64 exec, exec, s[0:1]
	s_waitcnt lgkmcnt(2)
	v_or_b32_e32 v1, 0x100, v0
	v_cmp_gt_u32_e64 s[2:3], s14, v1
	s_and_saveexec_b64 s[0:1], s[2:3]
	s_cbranch_execz .LBB30_104
; %bb.103:
	v_lshlrev_b32_e32 v1, 4, v1
	global_load_ubyte v11, v1, s[8:9]
	global_load_dwordx2 v[6:7], v1, s[8:9] offset:8
.LBB30_104:
	s_or_b64 exec, exec, s[0:1]
	v_or_b32_e32 v13, 0x200, v0
	s_waitcnt lgkmcnt(0)
	v_pk_mov_b32 v[4:5], 0, 0
	v_cmp_gt_u32_e64 s[0:1], s14, v13
	v_mov_b32_e32 v1, 0
	v_pk_mov_b32 v[8:9], v[4:5], v[4:5] op_sel:[0,1]
	v_mov_b32_e32 v12, 0
	s_and_saveexec_b64 s[12:13], s[0:1]
	s_cbranch_execz .LBB30_106
; %bb.105:
	v_lshlrev_b32_e32 v13, 4, v13
	global_load_ubyte v12, v13, s[8:9]
	global_load_dwordx2 v[8:9], v13, s[8:9] offset:8
.LBB30_106:
	s_or_b64 exec, exec, s[12:13]
	v_or_b32_e32 v13, 0x300, v0
	v_cmp_gt_u32_e32 vcc, s14, v13
	s_and_saveexec_b64 s[12:13], vcc
	s_cbranch_execnz .LBB30_253
; %bb.107:
	s_or_b64 exec, exec, s[12:13]
	s_and_saveexec_b64 s[12:13], s[2:3]
	s_cbranch_execnz .LBB30_254
.LBB30_108:
	s_or_b64 exec, exec, s[12:13]
	s_and_saveexec_b64 s[8:9], s[0:1]
	s_cbranch_execnz .LBB30_255
.LBB30_109:
	s_or_b64 exec, exec, s[8:9]
	s_and_saveexec_b64 s[2:3], vcc
	s_cbranch_execz .LBB30_111
.LBB30_110:
	s_waitcnt vmcnt(0)
	v_and_b32_e32 v7, 1, v1
	v_cmp_lt_i64_e32 vcc, v[4:5], v[2:3]
	v_cmp_eq_u32_e64 s[0:1], 1, v7
	v_and_b32_e32 v6, 1, v10
	s_and_b64 vcc, s[0:1], vcc
	v_cndmask_b32_e64 v7, v10, 1, s[0:1]
	v_cndmask_b32_e32 v2, v2, v4, vcc
	v_cndmask_b32_e32 v3, v3, v5, vcc
	v_cmp_eq_u32_e32 vcc, 1, v6
	v_cndmask_b32_e32 v10, v1, v7, vcc
	v_cndmask_b32_e32 v3, v5, v3, vcc
	;; [unrolled: 1-line block ×3, first 2 shown]
.LBB30_111:
	s_or_b64 exec, exec, s[2:3]
	s_waitcnt vmcnt(1)
	v_mbcnt_lo_u32_b32 v1, -1, 0
	v_mbcnt_hi_u32_b32 v1, -1, v1
	s_waitcnt vmcnt(0)
	v_and_b32_e32 v7, 63, v1
	v_cmp_ne_u32_e32 vcc, 63, v7
	v_addc_co_u32_e32 v4, vcc, 0, v1, vcc
	v_and_b32_e32 v6, 0xff, v10
	v_lshlrev_b32_e32 v5, 2, v4
	ds_bpermute_b32 v11, v5, v6
	ds_bpermute_b32 v4, v5, v2
	;; [unrolled: 1-line block ×3, first 2 shown]
	s_min_u32 s8, s14, 0x100
	v_and_b32_e32 v8, 0xc0, v0
	v_sub_u32_e64 v9, s8, v8 clamp
	v_add_u32_e32 v8, 1, v7
	v_cmp_lt_u32_e32 vcc, v8, v9
	v_mov_b32_e32 v8, v6
	s_and_saveexec_b64 s[0:1], vcc
	s_xor_b64 s[2:3], exec, s[0:1]
	s_cbranch_execz .LBB30_113
; %bb.112:
	v_and_b32_e32 v8, 1, v10
	s_waitcnt lgkmcnt(2)
	v_and_b32_e32 v10, 1, v11
	s_waitcnt lgkmcnt(0)
	v_cmp_lt_i64_e32 vcc, v[4:5], v[2:3]
	v_cmp_eq_u32_e64 s[0:1], 1, v10
	s_and_b64 vcc, s[0:1], vcc
	v_cndmask_b32_e64 v6, v6, 1, s[0:1]
	v_cndmask_b32_e32 v2, v2, v4, vcc
	v_cndmask_b32_e32 v3, v3, v5, vcc
	v_cmp_eq_u32_e32 vcc, 1, v8
	v_cndmask_b32_e32 v8, v11, v6, vcc
	v_cndmask_b32_e32 v3, v5, v3, vcc
	;; [unrolled: 1-line block ×3, first 2 shown]
	v_and_b32_e32 v6, 0xff, v8
.LBB30_113:
	s_or_b64 exec, exec, s[2:3]
	v_cmp_gt_u32_e32 vcc, 62, v7
	s_waitcnt lgkmcnt(1)
	v_cndmask_b32_e64 v4, 0, 1, vcc
	v_lshlrev_b32_e32 v4, 1, v4
	s_waitcnt lgkmcnt(0)
	v_add_lshl_u32 v5, v4, v1, 2
	ds_bpermute_b32 v10, v5, v6
	ds_bpermute_b32 v4, v5, v2
	ds_bpermute_b32 v5, v5, v3
	v_add_u32_e32 v11, 2, v7
	v_cmp_lt_u32_e32 vcc, v11, v9
	s_and_saveexec_b64 s[2:3], vcc
	s_cbranch_execz .LBB30_115
; %bb.114:
	s_waitcnt lgkmcnt(2)
	v_and_b32_e32 v11, 1, v10
	s_waitcnt lgkmcnt(0)
	v_cmp_lt_i64_e32 vcc, v[4:5], v[2:3]
	v_cmp_eq_u32_e64 s[0:1], 1, v11
	v_and_b32_e32 v6, 1, v8
	s_and_b64 vcc, s[0:1], vcc
	v_cndmask_b32_e64 v8, v8, 1, s[0:1]
	v_cndmask_b32_e32 v2, v2, v4, vcc
	v_cndmask_b32_e32 v3, v3, v5, vcc
	v_cmp_eq_u32_e32 vcc, 1, v6
	v_cndmask_b32_e32 v8, v10, v8, vcc
	v_cndmask_b32_e32 v3, v5, v3, vcc
	v_cndmask_b32_e32 v2, v4, v2, vcc
	v_and_b32_e32 v6, 0xff, v8
.LBB30_115:
	s_or_b64 exec, exec, s[2:3]
	v_cmp_gt_u32_e32 vcc, 60, v7
	s_waitcnt lgkmcnt(1)
	v_cndmask_b32_e64 v4, 0, 1, vcc
	v_lshlrev_b32_e32 v4, 2, v4
	s_waitcnt lgkmcnt(0)
	v_add_lshl_u32 v5, v4, v1, 2
	ds_bpermute_b32 v10, v5, v6
	ds_bpermute_b32 v4, v5, v2
	ds_bpermute_b32 v5, v5, v3
	v_add_u32_e32 v11, 4, v7
	v_cmp_lt_u32_e32 vcc, v11, v9
	s_and_saveexec_b64 s[2:3], vcc
	s_cbranch_execz .LBB30_117
; %bb.116:
	s_waitcnt lgkmcnt(2)
	v_and_b32_e32 v11, 1, v10
	s_waitcnt lgkmcnt(0)
	v_cmp_lt_i64_e32 vcc, v[4:5], v[2:3]
	v_cmp_eq_u32_e64 s[0:1], 1, v11
	v_and_b32_e32 v6, 1, v8
	s_and_b64 vcc, s[0:1], vcc
	v_cndmask_b32_e64 v8, v8, 1, s[0:1]
	v_cndmask_b32_e32 v2, v2, v4, vcc
	v_cndmask_b32_e32 v3, v3, v5, vcc
	v_cmp_eq_u32_e32 vcc, 1, v6
	v_cndmask_b32_e32 v8, v10, v8, vcc
	v_cndmask_b32_e32 v3, v5, v3, vcc
	v_cndmask_b32_e32 v2, v4, v2, vcc
	v_and_b32_e32 v6, 0xff, v8
.LBB30_117:
	;; [unrolled: 31-line block ×5, first 2 shown]
	s_or_b64 exec, exec, s[2:3]
	v_cmp_eq_u32_e32 vcc, 0, v1
	s_and_saveexec_b64 s[0:1], vcc
	s_cbranch_execz .LBB30_125
; %bb.124:
	s_waitcnt lgkmcnt(1)
	v_lshrrev_b32_e32 v4, 2, v0
	v_and_b32_e32 v4, 48, v4
	ds_write_b8 v4, v8 offset:256
	ds_write_b64 v4, v[2:3] offset:264
.LBB30_125:
	s_or_b64 exec, exec, s[0:1]
	v_cmp_gt_u32_e32 vcc, 4, v0
	s_waitcnt lgkmcnt(0)
	s_barrier
	s_and_saveexec_b64 s[2:3], vcc
	s_cbranch_execz .LBB30_131
; %bb.126:
	v_lshlrev_b32_e32 v2, 4, v1
	ds_read_u8 v7, v2 offset:256
	ds_read_b64 v[2:3], v2 offset:264
	v_and_b32_e32 v8, 3, v1
	v_cmp_ne_u32_e32 vcc, 3, v8
	v_addc_co_u32_e32 v4, vcc, 0, v1, vcc
	s_waitcnt lgkmcnt(1)
	v_and_b32_e32 v6, 0xff, v7
	v_lshlrev_b32_e32 v5, 2, v4
	ds_bpermute_b32 v9, v5, v6
	s_waitcnt lgkmcnt(1)
	ds_bpermute_b32 v4, v5, v2
	ds_bpermute_b32 v5, v5, v3
	s_add_i32 s8, s8, 63
	s_lshr_b32 s12, s8, 6
	v_add_u32_e32 v10, 1, v8
	v_cmp_gt_u32_e32 vcc, s12, v10
	s_and_saveexec_b64 s[8:9], vcc
	s_cbranch_execz .LBB30_128
; %bb.127:
	s_waitcnt lgkmcnt(2)
	v_and_b32_e32 v10, 1, v9
	s_waitcnt lgkmcnt(0)
	v_cmp_lt_i64_e32 vcc, v[4:5], v[2:3]
	v_cmp_eq_u32_e64 s[0:1], 1, v10
	v_and_b32_e32 v6, 1, v7
	s_and_b64 vcc, s[0:1], vcc
	v_cndmask_b32_e64 v7, v7, 1, s[0:1]
	v_cndmask_b32_e32 v2, v2, v4, vcc
	v_cndmask_b32_e32 v3, v3, v5, vcc
	v_cmp_eq_u32_e32 vcc, 1, v6
	v_cndmask_b32_e32 v7, v9, v7, vcc
	v_cndmask_b32_e32 v3, v5, v3, vcc
	;; [unrolled: 1-line block ×3, first 2 shown]
	v_and_b32_e32 v6, 0xff, v7
.LBB30_128:
	s_or_b64 exec, exec, s[8:9]
	v_cmp_gt_u32_e32 vcc, 2, v8
	s_waitcnt lgkmcnt(1)
	v_cndmask_b32_e64 v4, 0, 1, vcc
	v_lshlrev_b32_e32 v4, 1, v4
	s_waitcnt lgkmcnt(0)
	v_add_lshl_u32 v5, v4, v1, 2
	ds_bpermute_b32 v1, v5, v6
	ds_bpermute_b32 v4, v5, v2
	;; [unrolled: 1-line block ×3, first 2 shown]
	v_add_u32_e32 v8, 2, v8
	v_cmp_gt_u32_e32 vcc, s12, v8
	s_and_saveexec_b64 s[8:9], vcc
	s_cbranch_execz .LBB30_130
; %bb.129:
	s_waitcnt lgkmcnt(2)
	v_and_b32_e32 v8, 1, v1
	s_waitcnt lgkmcnt(0)
	v_cmp_lt_i64_e32 vcc, v[4:5], v[2:3]
	v_cmp_eq_u32_e64 s[0:1], 1, v8
	v_and_b32_e32 v6, 1, v7
	s_and_b64 vcc, s[0:1], vcc
	v_cndmask_b32_e64 v7, v7, 1, s[0:1]
	v_cndmask_b32_e32 v2, v2, v4, vcc
	v_cndmask_b32_e32 v3, v3, v5, vcc
	v_cmp_eq_u32_e32 vcc, 1, v6
	v_cndmask_b32_e32 v1, v1, v7, vcc
	v_cndmask_b32_e32 v3, v5, v3, vcc
	v_cndmask_b32_e32 v2, v4, v2, vcc
	v_and_b32_e32 v6, 0xff, v1
.LBB30_130:
	s_or_b64 exec, exec, s[8:9]
.LBB30_131:
	s_or_b64 exec, exec, s[2:3]
.LBB30_132:
	v_cmp_eq_u32_e32 vcc, 0, v0
                                        ; implicit-def: $vgpr4_vgpr5
                                        ; implicit-def: $vgpr1
	s_and_saveexec_b64 s[0:1], vcc
	s_xor_b64 s[8:9], exec, s[0:1]
	s_cbranch_execz .LBB30_136
; %bb.133:
	s_cmp_eq_u64 s[22:23], 0
	s_waitcnt lgkmcnt(0)
	v_pk_mov_b32 v[4:5], s[18:19], s[18:19] op_sel:[0,1]
	v_mov_b32_e32 v1, s28
	s_cbranch_scc1 .LBB30_135
; %bb.134:
	v_and_b32_e32 v1, 1, v6
	s_bitcmp1_b32 s28, 0
	v_mov_b32_e32 v4, s28
	v_cmp_eq_u32_e32 vcc, 1, v1
	v_cmp_gt_i64_e64 s[2:3], s[18:19], v[2:3]
	v_cndmask_b32_e64 v1, v4, 1, vcc
	s_cselect_b64 s[0:1], -1, 0
	v_mov_b32_e32 v4, s18
	s_and_b64 vcc, vcc, s[2:3]
	v_mov_b32_e32 v5, s19
	v_cndmask_b32_e32 v4, v4, v2, vcc
	v_cndmask_b32_e32 v5, v5, v3, vcc
	v_cndmask_b32_e64 v1, v6, v1, s[0:1]
	v_cndmask_b32_e64 v5, v3, v5, s[0:1]
	;; [unrolled: 1-line block ×3, first 2 shown]
.LBB30_135:
	s_or_b64 s[10:11], s[10:11], exec
.LBB30_136:
	s_or_b64 exec, exec, s[8:9]
	s_branch .LBB30_214
.LBB30_137:
	s_cmp_gt_i32 s29, 1
	s_cbranch_scc0 .LBB30_159
; %bb.138:
	s_cmp_eq_u32 s29, 2
	s_cbranch_scc0 .LBB30_160
; %bb.139:
	s_mov_b32 s7, 0
	s_lshl_b32 s8, s6, 9
	s_mov_b32 s9, s7
	s_lshr_b64 s[0:1], s[22:23], 9
	s_lshl_b64 s[2:3], s[8:9], 4
	s_add_u32 s2, s20, s2
	s_addc_u32 s3, s21, s3
	s_cmp_lg_u64 s[0:1], s[6:7]
	s_cbranch_scc0 .LBB30_161
; %bb.140:
	v_lshlrev_b32_e32 v7, 4, v0
	s_waitcnt lgkmcnt(2)
	v_mov_b32_e32 v1, s3
	s_waitcnt lgkmcnt(1)
	v_add_co_u32_e32 v4, vcc, s2, v7
	s_waitcnt lgkmcnt(0)
	v_addc_co_u32_e32 v5, vcc, 0, v1, vcc
	v_add_co_u32_e32 v8, vcc, 0x1000, v4
	v_addc_co_u32_e32 v9, vcc, 0, v5, vcc
	global_load_ubyte v1, v7, s[2:3]
	global_load_ubyte v6, v[8:9], off
	global_load_dwordx2 v[2:3], v[8:9], off offset:8
	s_waitcnt vmcnt(2)
	v_and_b32_e32 v7, 1, v1
	v_cmp_eq_u32_e32 vcc, 1, v7
	s_and_saveexec_b64 s[12:13], vcc
	s_cbranch_execz .LBB30_142
; %bb.141:
	global_load_dwordx2 v[4:5], v[4:5], off offset:8
	s_waitcnt vmcnt(2)
	v_and_b32_e32 v6, 1, v6
	v_cmp_eq_u32_e32 vcc, 1, v6
	v_cndmask_b32_e64 v6, v1, 1, vcc
	s_waitcnt vmcnt(0)
	v_cmp_lt_i64_e64 s[0:1], v[2:3], v[4:5]
	v_cndmask_b32_e64 v1, v5, v3, s[0:1]
	v_cndmask_b32_e32 v3, v5, v1, vcc
	s_and_b64 vcc, vcc, s[0:1]
	v_cndmask_b32_e32 v2, v4, v2, vcc
.LBB30_142:
	s_or_b64 exec, exec, s[12:13]
	s_waitcnt vmcnt(1)
	v_and_b32_e32 v1, 0xff, v6
	v_and_b32_e32 v6, 1, v6
	s_waitcnt vmcnt(0)
	v_mov_b32_dpp v4, v2 quad_perm:[1,0,3,2] row_mask:0xf bank_mask:0xf bound_ctrl:1
	v_mov_b32_dpp v7, v1 quad_perm:[1,0,3,2] row_mask:0xf bank_mask:0xf bound_ctrl:1
	v_and_b32_e32 v8, 1, v7
	v_mov_b32_dpp v5, v3 quad_perm:[1,0,3,2] row_mask:0xf bank_mask:0xf bound_ctrl:1
	v_cmp_eq_u32_e32 vcc, 1, v8
	v_cmp_eq_u32_e64 s[0:1], 1, v6
	s_and_saveexec_b64 s[12:13], vcc
; %bb.143:
	v_cmp_lt_i64_e32 vcc, v[2:3], v[4:5]
	v_cndmask_b32_e64 v6, v7, 1, s[0:1]
	s_and_b64 vcc, s[0:1], vcc
	v_cndmask_b32_e32 v2, v4, v2, vcc
	v_and_b32_e32 v4, 1, v6
	v_cndmask_b32_e32 v3, v5, v3, vcc
	v_cmp_eq_u32_e32 vcc, 1, v4
	s_andn2_b64 s[0:1], s[0:1], exec
	s_and_b64 s[14:15], vcc, exec
	v_and_b32_e32 v1, 0xff, v6
	s_or_b64 s[0:1], s[0:1], s[14:15]
; %bb.144:
	s_or_b64 exec, exec, s[12:13]
	v_mov_b32_dpp v6, v1 quad_perm:[2,3,0,1] row_mask:0xf bank_mask:0xf bound_ctrl:1
	v_and_b32_e32 v7, 1, v6
	v_mov_b32_dpp v4, v2 quad_perm:[2,3,0,1] row_mask:0xf bank_mask:0xf bound_ctrl:1
	v_mov_b32_dpp v5, v3 quad_perm:[2,3,0,1] row_mask:0xf bank_mask:0xf bound_ctrl:1
	v_cmp_eq_u32_e32 vcc, 1, v7
	s_and_saveexec_b64 s[12:13], vcc
; %bb.145:
	v_cmp_lt_i64_e32 vcc, v[2:3], v[4:5]
	v_cndmask_b32_e64 v6, v6, 1, s[0:1]
	s_and_b64 vcc, s[0:1], vcc
	v_cndmask_b32_e32 v2, v4, v2, vcc
	v_and_b32_e32 v4, 1, v6
	v_cndmask_b32_e32 v3, v5, v3, vcc
	v_cmp_eq_u32_e32 vcc, 1, v4
	s_andn2_b64 s[0:1], s[0:1], exec
	s_and_b64 s[14:15], vcc, exec
	v_and_b32_e32 v1, 0xff, v6
	s_or_b64 s[0:1], s[0:1], s[14:15]
; %bb.146:
	s_or_b64 exec, exec, s[12:13]
	v_mov_b32_dpp v6, v1 row_ror:4 row_mask:0xf bank_mask:0xf bound_ctrl:1
	v_and_b32_e32 v7, 1, v6
	v_mov_b32_dpp v4, v2 row_ror:4 row_mask:0xf bank_mask:0xf bound_ctrl:1
	v_mov_b32_dpp v5, v3 row_ror:4 row_mask:0xf bank_mask:0xf bound_ctrl:1
	v_cmp_eq_u32_e32 vcc, 1, v7
	s_and_saveexec_b64 s[12:13], vcc
; %bb.147:
	v_cmp_lt_i64_e32 vcc, v[2:3], v[4:5]
	v_cndmask_b32_e64 v6, v6, 1, s[0:1]
	s_and_b64 vcc, s[0:1], vcc
	v_cndmask_b32_e32 v2, v4, v2, vcc
	v_and_b32_e32 v4, 1, v6
	v_cndmask_b32_e32 v3, v5, v3, vcc
	v_cmp_eq_u32_e32 vcc, 1, v4
	s_andn2_b64 s[0:1], s[0:1], exec
	s_and_b64 s[14:15], vcc, exec
	v_and_b32_e32 v1, 0xff, v6
	s_or_b64 s[0:1], s[0:1], s[14:15]
; %bb.148:
	s_or_b64 exec, exec, s[12:13]
	v_mov_b32_dpp v6, v1 row_ror:8 row_mask:0xf bank_mask:0xf bound_ctrl:1
	v_and_b32_e32 v7, 1, v6
	v_mov_b32_dpp v4, v2 row_ror:8 row_mask:0xf bank_mask:0xf bound_ctrl:1
	v_mov_b32_dpp v5, v3 row_ror:8 row_mask:0xf bank_mask:0xf bound_ctrl:1
	v_cmp_eq_u32_e32 vcc, 1, v7
	s_and_saveexec_b64 s[12:13], vcc
; %bb.149:
	v_cmp_lt_i64_e32 vcc, v[2:3], v[4:5]
	v_cndmask_b32_e64 v6, v6, 1, s[0:1]
	s_and_b64 vcc, s[0:1], vcc
	v_cndmask_b32_e32 v2, v4, v2, vcc
	v_and_b32_e32 v4, 1, v6
	v_cndmask_b32_e32 v3, v5, v3, vcc
	v_cmp_eq_u32_e32 vcc, 1, v4
	s_andn2_b64 s[0:1], s[0:1], exec
	s_and_b64 s[14:15], vcc, exec
	v_and_b32_e32 v1, 0xff, v6
	s_or_b64 s[0:1], s[0:1], s[14:15]
; %bb.150:
	s_or_b64 exec, exec, s[12:13]
	v_mov_b32_dpp v6, v1 row_bcast:15 row_mask:0xf bank_mask:0xf bound_ctrl:1
	v_and_b32_e32 v7, 1, v6
	v_mov_b32_dpp v4, v2 row_bcast:15 row_mask:0xf bank_mask:0xf bound_ctrl:1
	v_mov_b32_dpp v5, v3 row_bcast:15 row_mask:0xf bank_mask:0xf bound_ctrl:1
	v_cmp_eq_u32_e32 vcc, 1, v7
	s_and_saveexec_b64 s[12:13], vcc
; %bb.151:
	v_cmp_lt_i64_e32 vcc, v[2:3], v[4:5]
	v_cndmask_b32_e64 v6, v6, 1, s[0:1]
	s_and_b64 vcc, s[0:1], vcc
	v_cndmask_b32_e32 v2, v4, v2, vcc
	v_and_b32_e32 v4, 1, v6
	v_cndmask_b32_e32 v3, v5, v3, vcc
	v_cmp_eq_u32_e32 vcc, 1, v4
	s_andn2_b64 s[0:1], s[0:1], exec
	s_and_b64 s[14:15], vcc, exec
	v_and_b32_e32 v1, 0xff, v6
	s_or_b64 s[0:1], s[0:1], s[14:15]
; %bb.152:
	s_or_b64 exec, exec, s[12:13]
	v_mov_b32_dpp v6, v1 row_bcast:31 row_mask:0xf bank_mask:0xf bound_ctrl:1
	v_and_b32_e32 v7, 1, v6
	v_mov_b32_dpp v4, v2 row_bcast:31 row_mask:0xf bank_mask:0xf bound_ctrl:1
	v_mov_b32_dpp v5, v3 row_bcast:31 row_mask:0xf bank_mask:0xf bound_ctrl:1
	v_cmp_eq_u32_e32 vcc, 1, v7
	s_and_saveexec_b64 s[12:13], vcc
; %bb.153:
	v_cmp_lt_i64_e32 vcc, v[2:3], v[4:5]
	v_and_b32_e32 v1, 0xff, v6
	s_and_b64 vcc, s[0:1], vcc
	v_cndmask_b32_e32 v2, v4, v2, vcc
	v_cndmask_b32_e32 v3, v5, v3, vcc
	v_cndmask_b32_e64 v1, v1, 1, s[0:1]
; %bb.154:
	s_or_b64 exec, exec, s[12:13]
	v_mbcnt_lo_u32_b32 v4, -1, 0
	v_mbcnt_hi_u32_b32 v4, -1, v4
	v_bfrev_b32_e32 v5, 0.5
	v_lshl_or_b32 v5, v4, 2, v5
	ds_bpermute_b32 v6, v5, v1
	ds_bpermute_b32 v2, v5, v2
	;; [unrolled: 1-line block ×3, first 2 shown]
	v_cmp_eq_u32_e32 vcc, 0, v4
	s_and_saveexec_b64 s[0:1], vcc
	s_cbranch_execz .LBB30_156
; %bb.155:
	v_lshrrev_b32_e32 v1, 2, v0
	v_and_b32_e32 v1, 48, v1
	s_waitcnt lgkmcnt(2)
	ds_write_b8 v1, v6 offset:64
	s_waitcnt lgkmcnt(1)
	ds_write_b64 v1, v[2:3] offset:72
.LBB30_156:
	s_or_b64 exec, exec, s[0:1]
	v_cmp_gt_u32_e32 vcc, 64, v0
	s_waitcnt lgkmcnt(0)
	s_barrier
	s_and_saveexec_b64 s[12:13], vcc
	s_cbranch_execz .LBB30_158
; %bb.157:
	v_and_b32_e32 v1, 3, v4
	v_lshlrev_b32_e32 v2, 4, v1
	ds_read_u8 v5, v2 offset:64
	ds_read_b64 v[2:3], v2 offset:72
	v_cmp_ne_u32_e32 vcc, 3, v1
	v_addc_co_u32_e32 v6, vcc, 0, v4, vcc
	s_waitcnt lgkmcnt(1)
	v_and_b32_e32 v7, 0xff, v5
	v_lshlrev_b32_e32 v8, 2, v6
	ds_bpermute_b32 v9, v8, v7
	s_waitcnt lgkmcnt(1)
	ds_bpermute_b32 v6, v8, v2
	ds_bpermute_b32 v7, v8, v3
	v_and_b32_e32 v8, 1, v5
	s_waitcnt lgkmcnt(2)
	v_and_b32_e32 v10, 1, v9
	v_cmp_eq_u32_e64 s[0:1], 1, v10
	s_waitcnt lgkmcnt(0)
	v_cmp_lt_i64_e32 vcc, v[6:7], v[2:3]
	s_and_b64 vcc, s[0:1], vcc
	v_cndmask_b32_e64 v5, v5, 1, s[0:1]
	v_cndmask_b32_e32 v2, v2, v6, vcc
	v_cndmask_b32_e32 v3, v3, v7, vcc
	v_cmp_eq_u32_e32 vcc, 1, v8
	v_cndmask_b32_e32 v8, v9, v5, vcc
	v_cndmask_b32_e32 v3, v7, v3, vcc
	;; [unrolled: 1-line block ×3, first 2 shown]
	v_cmp_gt_u32_e32 vcc, 2, v1
	v_cndmask_b32_e64 v1, 0, 1, vcc
	v_lshlrev_b32_e32 v1, 1, v1
	v_and_b32_e32 v5, 0xff, v8
	v_add_lshl_u32 v1, v1, v4, 2
	ds_bpermute_b32 v6, v1, v5
	ds_bpermute_b32 v4, v1, v2
	;; [unrolled: 1-line block ×3, first 2 shown]
	v_and_b32_e32 v1, 1, v8
	s_waitcnt lgkmcnt(2)
	v_and_b32_e32 v7, 1, v6
	v_cmp_eq_u32_e64 s[0:1], 1, v7
	s_waitcnt lgkmcnt(0)
	v_cmp_lt_i64_e32 vcc, v[4:5], v[2:3]
	s_and_b64 vcc, s[0:1], vcc
	v_cndmask_b32_e64 v7, v8, 1, s[0:1]
	v_cndmask_b32_e32 v2, v2, v4, vcc
	v_cndmask_b32_e32 v3, v3, v5, vcc
	v_cmp_eq_u32_e32 vcc, 1, v1
	v_cndmask_b32_e32 v1, v6, v7, vcc
	v_cndmask_b32_e32 v3, v5, v3, vcc
	;; [unrolled: 1-line block ×3, first 2 shown]
	v_and_b32_e32 v6, 0xff, v1
.LBB30_158:
	s_or_b64 exec, exec, s[12:13]
	s_branch .LBB30_189
.LBB30_159:
                                        ; implicit-def: $vgpr4_vgpr5
                                        ; implicit-def: $vgpr1
	s_cbranch_execnz .LBB30_194
	s_branch .LBB30_214
.LBB30_160:
                                        ; implicit-def: $vgpr4_vgpr5
                                        ; implicit-def: $vgpr1
	s_branch .LBB30_214
.LBB30_161:
                                        ; implicit-def: $vgpr2_vgpr3
                                        ; implicit-def: $vgpr6
	s_cbranch_execz .LBB30_189
; %bb.162:
	s_sub_i32 s8, s22, s8
	s_waitcnt lgkmcnt(0)
	v_pk_mov_b32 v[4:5], 0, 0
	v_cmp_gt_u32_e32 vcc, s8, v0
	v_mov_b32_e32 v1, 0
	v_pk_mov_b32 v[2:3], v[4:5], v[4:5] op_sel:[0,1]
	v_mov_b32_e32 v7, 0
	s_and_saveexec_b64 s[0:1], vcc
	s_cbranch_execz .LBB30_164
; %bb.163:
	v_lshlrev_b32_e32 v6, 4, v0
	global_load_ubyte v7, v6, s[2:3]
	global_load_dwordx2 v[2:3], v6, s[2:3] offset:8
.LBB30_164:
	s_or_b64 exec, exec, s[0:1]
	v_or_b32_e32 v6, 0x100, v0
	v_cmp_gt_u32_e32 vcc, s8, v6
	s_and_saveexec_b64 s[0:1], vcc
	s_cbranch_execz .LBB30_166
; %bb.165:
	v_lshlrev_b32_e32 v6, 4, v6
	global_load_ubyte v1, v6, s[2:3]
	global_load_dwordx2 v[4:5], v6, s[2:3] offset:8
.LBB30_166:
	s_or_b64 exec, exec, s[0:1]
	s_and_saveexec_b64 s[2:3], vcc
	s_cbranch_execz .LBB30_168
; %bb.167:
	s_waitcnt vmcnt(1)
	v_and_b32_e32 v8, 1, v1
	s_waitcnt vmcnt(0)
	v_cmp_lt_i64_e32 vcc, v[4:5], v[2:3]
	v_cmp_eq_u32_e64 s[0:1], 1, v8
	v_and_b32_e32 v6, 1, v7
	s_and_b64 vcc, s[0:1], vcc
	v_cndmask_b32_e64 v7, v7, 1, s[0:1]
	v_cndmask_b32_e32 v2, v2, v4, vcc
	v_cndmask_b32_e32 v3, v3, v5, vcc
	v_cmp_eq_u32_e32 vcc, 1, v6
	v_cndmask_b32_e32 v7, v1, v7, vcc
	v_cndmask_b32_e32 v3, v5, v3, vcc
	;; [unrolled: 1-line block ×3, first 2 shown]
.LBB30_168:
	s_or_b64 exec, exec, s[2:3]
	s_waitcnt vmcnt(1)
	v_mbcnt_lo_u32_b32 v1, -1, 0
	v_mbcnt_hi_u32_b32 v1, -1, v1
	v_and_b32_e32 v8, 63, v1
	v_cmp_ne_u32_e32 vcc, 63, v8
	s_waitcnt vmcnt(0)
	v_addc_co_u32_e32 v4, vcc, 0, v1, vcc
	v_and_b32_e32 v6, 0xff, v7
	v_lshlrev_b32_e32 v5, 2, v4
	ds_bpermute_b32 v10, v5, v6
	ds_bpermute_b32 v4, v5, v2
	ds_bpermute_b32 v5, v5, v3
	s_min_u32 s8, s8, 0x100
	v_and_b32_e32 v9, 0xc0, v0
	v_sub_u32_e64 v9, s8, v9 clamp
	v_add_u32_e32 v11, 1, v8
	v_cmp_lt_u32_e32 vcc, v11, v9
	s_and_saveexec_b64 s[2:3], vcc
	s_cbranch_execz .LBB30_170
; %bb.169:
	s_waitcnt lgkmcnt(2)
	v_and_b32_e32 v11, 1, v10
	s_waitcnt lgkmcnt(0)
	v_cmp_lt_i64_e32 vcc, v[4:5], v[2:3]
	v_cmp_eq_u32_e64 s[0:1], 1, v11
	v_and_b32_e32 v6, 1, v7
	s_and_b64 vcc, s[0:1], vcc
	v_cndmask_b32_e64 v7, v7, 1, s[0:1]
	v_cndmask_b32_e32 v2, v2, v4, vcc
	v_cndmask_b32_e32 v3, v3, v5, vcc
	v_cmp_eq_u32_e32 vcc, 1, v6
	v_cndmask_b32_e32 v7, v10, v7, vcc
	v_cndmask_b32_e32 v3, v5, v3, vcc
	v_cndmask_b32_e32 v2, v4, v2, vcc
	v_and_b32_e32 v6, 0xff, v7
.LBB30_170:
	s_or_b64 exec, exec, s[2:3]
	v_cmp_gt_u32_e32 vcc, 62, v8
	s_waitcnt lgkmcnt(1)
	v_cndmask_b32_e64 v4, 0, 1, vcc
	v_lshlrev_b32_e32 v4, 1, v4
	s_waitcnt lgkmcnt(0)
	v_add_lshl_u32 v5, v4, v1, 2
	ds_bpermute_b32 v10, v5, v6
	ds_bpermute_b32 v4, v5, v2
	ds_bpermute_b32 v5, v5, v3
	v_add_u32_e32 v11, 2, v8
	v_cmp_lt_u32_e32 vcc, v11, v9
	s_and_saveexec_b64 s[2:3], vcc
	s_cbranch_execz .LBB30_172
; %bb.171:
	s_waitcnt lgkmcnt(2)
	v_and_b32_e32 v11, 1, v10
	s_waitcnt lgkmcnt(0)
	v_cmp_lt_i64_e32 vcc, v[4:5], v[2:3]
	v_cmp_eq_u32_e64 s[0:1], 1, v11
	v_and_b32_e32 v6, 1, v7
	s_and_b64 vcc, s[0:1], vcc
	v_cndmask_b32_e64 v7, v7, 1, s[0:1]
	v_cndmask_b32_e32 v2, v2, v4, vcc
	v_cndmask_b32_e32 v3, v3, v5, vcc
	v_cmp_eq_u32_e32 vcc, 1, v6
	v_cndmask_b32_e32 v7, v10, v7, vcc
	v_cndmask_b32_e32 v3, v5, v3, vcc
	v_cndmask_b32_e32 v2, v4, v2, vcc
	v_and_b32_e32 v6, 0xff, v7
.LBB30_172:
	s_or_b64 exec, exec, s[2:3]
	v_cmp_gt_u32_e32 vcc, 60, v8
	s_waitcnt lgkmcnt(1)
	v_cndmask_b32_e64 v4, 0, 1, vcc
	v_lshlrev_b32_e32 v4, 2, v4
	s_waitcnt lgkmcnt(0)
	v_add_lshl_u32 v5, v4, v1, 2
	ds_bpermute_b32 v10, v5, v6
	ds_bpermute_b32 v4, v5, v2
	ds_bpermute_b32 v5, v5, v3
	;; [unrolled: 31-line block ×5, first 2 shown]
	v_add_u32_e32 v8, 32, v8
	v_cmp_lt_u32_e32 vcc, v8, v9
	s_and_saveexec_b64 s[2:3], vcc
	s_cbranch_execz .LBB30_180
; %bb.179:
	s_waitcnt lgkmcnt(2)
	v_and_b32_e32 v8, 1, v10
	s_waitcnt lgkmcnt(0)
	v_cmp_lt_i64_e32 vcc, v[4:5], v[2:3]
	v_cmp_eq_u32_e64 s[0:1], 1, v8
	v_and_b32_e32 v6, 1, v7
	s_and_b64 vcc, s[0:1], vcc
	v_cndmask_b32_e64 v7, v7, 1, s[0:1]
	v_cndmask_b32_e32 v2, v2, v4, vcc
	v_cndmask_b32_e32 v3, v3, v5, vcc
	v_cmp_eq_u32_e32 vcc, 1, v6
	v_cndmask_b32_e32 v7, v10, v7, vcc
	v_cndmask_b32_e32 v3, v5, v3, vcc
	v_cndmask_b32_e32 v2, v4, v2, vcc
	v_and_b32_e32 v6, 0xff, v7
.LBB30_180:
	s_or_b64 exec, exec, s[2:3]
	v_cmp_eq_u32_e32 vcc, 0, v1
	s_and_saveexec_b64 s[0:1], vcc
	s_cbranch_execz .LBB30_182
; %bb.181:
	s_waitcnt lgkmcnt(1)
	v_lshrrev_b32_e32 v4, 2, v0
	v_and_b32_e32 v4, 48, v4
	ds_write_b8 v4, v7 offset:256
	ds_write_b64 v4, v[2:3] offset:264
.LBB30_182:
	s_or_b64 exec, exec, s[0:1]
	v_cmp_gt_u32_e32 vcc, 4, v0
	s_waitcnt lgkmcnt(0)
	s_barrier
	s_and_saveexec_b64 s[2:3], vcc
	s_cbranch_execz .LBB30_188
; %bb.183:
	v_lshlrev_b32_e32 v2, 4, v1
	ds_read_u8 v7, v2 offset:256
	ds_read_b64 v[2:3], v2 offset:264
	v_and_b32_e32 v8, 3, v1
	v_cmp_ne_u32_e32 vcc, 3, v8
	v_addc_co_u32_e32 v4, vcc, 0, v1, vcc
	s_waitcnt lgkmcnt(1)
	v_and_b32_e32 v6, 0xff, v7
	v_lshlrev_b32_e32 v5, 2, v4
	ds_bpermute_b32 v9, v5, v6
	s_waitcnt lgkmcnt(1)
	ds_bpermute_b32 v4, v5, v2
	ds_bpermute_b32 v5, v5, v3
	s_add_i32 s8, s8, 63
	s_lshr_b32 s12, s8, 6
	v_add_u32_e32 v10, 1, v8
	v_cmp_gt_u32_e32 vcc, s12, v10
	s_and_saveexec_b64 s[8:9], vcc
	s_cbranch_execz .LBB30_185
; %bb.184:
	s_waitcnt lgkmcnt(2)
	v_and_b32_e32 v10, 1, v9
	s_waitcnt lgkmcnt(0)
	v_cmp_lt_i64_e32 vcc, v[4:5], v[2:3]
	v_cmp_eq_u32_e64 s[0:1], 1, v10
	v_and_b32_e32 v6, 1, v7
	s_and_b64 vcc, s[0:1], vcc
	v_cndmask_b32_e64 v7, v7, 1, s[0:1]
	v_cndmask_b32_e32 v2, v2, v4, vcc
	v_cndmask_b32_e32 v3, v3, v5, vcc
	v_cmp_eq_u32_e32 vcc, 1, v6
	v_cndmask_b32_e32 v7, v9, v7, vcc
	v_cndmask_b32_e32 v3, v5, v3, vcc
	;; [unrolled: 1-line block ×3, first 2 shown]
	v_and_b32_e32 v6, 0xff, v7
.LBB30_185:
	s_or_b64 exec, exec, s[8:9]
	v_cmp_gt_u32_e32 vcc, 2, v8
	s_waitcnt lgkmcnt(1)
	v_cndmask_b32_e64 v4, 0, 1, vcc
	v_lshlrev_b32_e32 v4, 1, v4
	s_waitcnt lgkmcnt(0)
	v_add_lshl_u32 v5, v4, v1, 2
	ds_bpermute_b32 v1, v5, v6
	ds_bpermute_b32 v4, v5, v2
	;; [unrolled: 1-line block ×3, first 2 shown]
	v_add_u32_e32 v8, 2, v8
	v_cmp_gt_u32_e32 vcc, s12, v8
	s_and_saveexec_b64 s[8:9], vcc
	s_cbranch_execz .LBB30_187
; %bb.186:
	s_waitcnt lgkmcnt(2)
	v_and_b32_e32 v8, 1, v1
	s_waitcnt lgkmcnt(0)
	v_cmp_lt_i64_e32 vcc, v[4:5], v[2:3]
	v_cmp_eq_u32_e64 s[0:1], 1, v8
	v_and_b32_e32 v6, 1, v7
	s_and_b64 vcc, s[0:1], vcc
	v_cndmask_b32_e64 v7, v7, 1, s[0:1]
	v_cndmask_b32_e32 v2, v2, v4, vcc
	v_cndmask_b32_e32 v3, v3, v5, vcc
	v_cmp_eq_u32_e32 vcc, 1, v6
	v_cndmask_b32_e32 v1, v1, v7, vcc
	v_cndmask_b32_e32 v3, v5, v3, vcc
	;; [unrolled: 1-line block ×3, first 2 shown]
	v_and_b32_e32 v6, 0xff, v1
.LBB30_187:
	s_or_b64 exec, exec, s[8:9]
.LBB30_188:
	s_or_b64 exec, exec, s[2:3]
.LBB30_189:
	v_cmp_eq_u32_e32 vcc, 0, v0
                                        ; implicit-def: $vgpr4_vgpr5
                                        ; implicit-def: $vgpr1
	s_and_saveexec_b64 s[0:1], vcc
	s_xor_b64 s[8:9], exec, s[0:1]
	s_cbranch_execz .LBB30_193
; %bb.190:
	s_cmp_eq_u64 s[22:23], 0
	s_waitcnt lgkmcnt(0)
	v_pk_mov_b32 v[4:5], s[18:19], s[18:19] op_sel:[0,1]
	v_mov_b32_e32 v1, s28
	s_cbranch_scc1 .LBB30_192
; %bb.191:
	v_and_b32_e32 v1, 1, v6
	s_bitcmp1_b32 s28, 0
	v_mov_b32_e32 v4, s28
	v_cmp_eq_u32_e32 vcc, 1, v1
	v_cmp_gt_i64_e64 s[2:3], s[18:19], v[2:3]
	v_cndmask_b32_e64 v1, v4, 1, vcc
	s_cselect_b64 s[0:1], -1, 0
	v_mov_b32_e32 v4, s18
	s_and_b64 vcc, vcc, s[2:3]
	v_mov_b32_e32 v5, s19
	v_cndmask_b32_e32 v4, v4, v2, vcc
	v_cndmask_b32_e32 v5, v5, v3, vcc
	v_cndmask_b32_e64 v1, v6, v1, s[0:1]
	v_cndmask_b32_e64 v5, v3, v5, s[0:1]
	;; [unrolled: 1-line block ×3, first 2 shown]
.LBB30_192:
	s_or_b64 s[10:11], s[10:11], exec
.LBB30_193:
	s_or_b64 exec, exec, s[8:9]
	s_branch .LBB30_214
.LBB30_194:
	s_cmp_eq_u32 s29, 1
	s_cbranch_scc0 .LBB30_213
; %bb.195:
	s_mov_b32 s3, 0
	s_lshl_b32 s2, s6, 8
	s_mov_b32 s7, s3
	s_lshr_b64 s[0:1], s[22:23], 8
	s_cmp_lg_u64 s[0:1], s[6:7]
	s_cbranch_scc0 .LBB30_217
; %bb.196:
	s_lshl_b64 s[0:1], s[2:3], 4
	s_add_u32 s0, s20, s0
	s_addc_u32 s1, s21, s1
	s_waitcnt lgkmcnt(2)
	v_lshlrev_b32_e32 v1, 4, v0
	s_waitcnt lgkmcnt(1)
	global_load_ubyte v4, v1, s[0:1]
	global_load_dwordx2 v[2:3], v1, s[0:1] offset:8
	s_waitcnt vmcnt(1)
	v_and_b32_e32 v1, 1, v4
	s_nop 1
	v_mov_b32_dpp v6, v1 quad_perm:[1,0,3,2] row_mask:0xf bank_mask:0xf bound_ctrl:1
	v_and_b32_e32 v7, 1, v6
	s_waitcnt vmcnt(0)
	v_mov_b32_dpp v4, v2 quad_perm:[1,0,3,2] row_mask:0xf bank_mask:0xf bound_ctrl:1
	s_waitcnt lgkmcnt(0)
	v_mov_b32_dpp v5, v3 quad_perm:[1,0,3,2] row_mask:0xf bank_mask:0xf bound_ctrl:1
	v_cmp_eq_u32_e32 vcc, 1, v7
	v_cmp_eq_u32_e64 s[0:1], 1, v1
	s_and_saveexec_b64 s[8:9], vcc
; %bb.197:
	v_cmp_lt_i64_e32 vcc, v[2:3], v[4:5]
	v_cndmask_b32_e64 v6, v6, 1, s[0:1]
	s_and_b64 vcc, s[0:1], vcc
	v_cndmask_b32_e32 v2, v4, v2, vcc
	v_and_b32_e32 v4, 1, v6
	v_cndmask_b32_e32 v3, v5, v3, vcc
	v_cmp_eq_u32_e32 vcc, 1, v4
	s_andn2_b64 s[0:1], s[0:1], exec
	s_and_b64 s[12:13], vcc, exec
	v_and_b32_e32 v1, 0xff, v6
	s_or_b64 s[0:1], s[0:1], s[12:13]
; %bb.198:
	s_or_b64 exec, exec, s[8:9]
	v_mov_b32_dpp v6, v1 quad_perm:[2,3,0,1] row_mask:0xf bank_mask:0xf bound_ctrl:1
	v_and_b32_e32 v7, 1, v6
	v_mov_b32_dpp v4, v2 quad_perm:[2,3,0,1] row_mask:0xf bank_mask:0xf bound_ctrl:1
	v_mov_b32_dpp v5, v3 quad_perm:[2,3,0,1] row_mask:0xf bank_mask:0xf bound_ctrl:1
	v_cmp_eq_u32_e32 vcc, 1, v7
	s_and_saveexec_b64 s[8:9], vcc
; %bb.199:
	v_cmp_lt_i64_e32 vcc, v[2:3], v[4:5]
	v_cndmask_b32_e64 v6, v6, 1, s[0:1]
	s_and_b64 vcc, s[0:1], vcc
	v_cndmask_b32_e32 v2, v4, v2, vcc
	v_and_b32_e32 v4, 1, v6
	v_cndmask_b32_e32 v3, v5, v3, vcc
	v_cmp_eq_u32_e32 vcc, 1, v4
	s_andn2_b64 s[0:1], s[0:1], exec
	s_and_b64 s[12:13], vcc, exec
	v_and_b32_e32 v1, 0xff, v6
	s_or_b64 s[0:1], s[0:1], s[12:13]
; %bb.200:
	s_or_b64 exec, exec, s[8:9]
	v_mov_b32_dpp v6, v1 row_ror:4 row_mask:0xf bank_mask:0xf bound_ctrl:1
	v_and_b32_e32 v7, 1, v6
	v_mov_b32_dpp v4, v2 row_ror:4 row_mask:0xf bank_mask:0xf bound_ctrl:1
	v_mov_b32_dpp v5, v3 row_ror:4 row_mask:0xf bank_mask:0xf bound_ctrl:1
	v_cmp_eq_u32_e32 vcc, 1, v7
	s_and_saveexec_b64 s[8:9], vcc
; %bb.201:
	v_cmp_lt_i64_e32 vcc, v[2:3], v[4:5]
	v_cndmask_b32_e64 v6, v6, 1, s[0:1]
	s_and_b64 vcc, s[0:1], vcc
	v_cndmask_b32_e32 v2, v4, v2, vcc
	v_and_b32_e32 v4, 1, v6
	v_cndmask_b32_e32 v3, v5, v3, vcc
	v_cmp_eq_u32_e32 vcc, 1, v4
	s_andn2_b64 s[0:1], s[0:1], exec
	s_and_b64 s[12:13], vcc, exec
	v_and_b32_e32 v1, 0xff, v6
	s_or_b64 s[0:1], s[0:1], s[12:13]
; %bb.202:
	s_or_b64 exec, exec, s[8:9]
	v_mov_b32_dpp v6, v1 row_ror:8 row_mask:0xf bank_mask:0xf bound_ctrl:1
	v_and_b32_e32 v7, 1, v6
	v_mov_b32_dpp v4, v2 row_ror:8 row_mask:0xf bank_mask:0xf bound_ctrl:1
	v_mov_b32_dpp v5, v3 row_ror:8 row_mask:0xf bank_mask:0xf bound_ctrl:1
	v_cmp_eq_u32_e32 vcc, 1, v7
	s_and_saveexec_b64 s[8:9], vcc
; %bb.203:
	v_cmp_lt_i64_e32 vcc, v[2:3], v[4:5]
	v_cndmask_b32_e64 v6, v6, 1, s[0:1]
	s_and_b64 vcc, s[0:1], vcc
	v_cndmask_b32_e32 v2, v4, v2, vcc
	v_and_b32_e32 v4, 1, v6
	v_cndmask_b32_e32 v3, v5, v3, vcc
	v_cmp_eq_u32_e32 vcc, 1, v4
	s_andn2_b64 s[0:1], s[0:1], exec
	s_and_b64 s[12:13], vcc, exec
	v_and_b32_e32 v1, 0xff, v6
	s_or_b64 s[0:1], s[0:1], s[12:13]
; %bb.204:
	s_or_b64 exec, exec, s[8:9]
	v_mov_b32_dpp v6, v1 row_bcast:15 row_mask:0xf bank_mask:0xf bound_ctrl:1
	v_and_b32_e32 v7, 1, v6
	v_mov_b32_dpp v4, v2 row_bcast:15 row_mask:0xf bank_mask:0xf bound_ctrl:1
	v_mov_b32_dpp v5, v3 row_bcast:15 row_mask:0xf bank_mask:0xf bound_ctrl:1
	v_cmp_eq_u32_e32 vcc, 1, v7
	s_and_saveexec_b64 s[8:9], vcc
; %bb.205:
	v_cmp_lt_i64_e32 vcc, v[2:3], v[4:5]
	v_cndmask_b32_e64 v6, v6, 1, s[0:1]
	s_and_b64 vcc, s[0:1], vcc
	v_cndmask_b32_e32 v2, v4, v2, vcc
	v_and_b32_e32 v4, 1, v6
	v_cndmask_b32_e32 v3, v5, v3, vcc
	v_cmp_eq_u32_e32 vcc, 1, v4
	s_andn2_b64 s[0:1], s[0:1], exec
	s_and_b64 s[12:13], vcc, exec
	v_and_b32_e32 v1, 0xff, v6
	s_or_b64 s[0:1], s[0:1], s[12:13]
; %bb.206:
	s_or_b64 exec, exec, s[8:9]
	v_mov_b32_dpp v6, v1 row_bcast:31 row_mask:0xf bank_mask:0xf bound_ctrl:1
	v_and_b32_e32 v7, 1, v6
	v_mov_b32_dpp v4, v2 row_bcast:31 row_mask:0xf bank_mask:0xf bound_ctrl:1
	v_mov_b32_dpp v5, v3 row_bcast:31 row_mask:0xf bank_mask:0xf bound_ctrl:1
	v_cmp_eq_u32_e32 vcc, 1, v7
	s_and_saveexec_b64 s[8:9], vcc
; %bb.207:
	v_cmp_lt_i64_e32 vcc, v[2:3], v[4:5]
	v_and_b32_e32 v1, 0xff, v6
	s_and_b64 vcc, s[0:1], vcc
	v_cndmask_b32_e32 v2, v4, v2, vcc
	v_cndmask_b32_e32 v3, v5, v3, vcc
	v_cndmask_b32_e64 v1, v1, 1, s[0:1]
; %bb.208:
	s_or_b64 exec, exec, s[8:9]
	v_mbcnt_lo_u32_b32 v4, -1, 0
	v_mbcnt_hi_u32_b32 v4, -1, v4
	v_bfrev_b32_e32 v5, 0.5
	v_lshl_or_b32 v5, v4, 2, v5
	ds_bpermute_b32 v6, v5, v1
	ds_bpermute_b32 v2, v5, v2
	;; [unrolled: 1-line block ×3, first 2 shown]
	v_cmp_eq_u32_e32 vcc, 0, v4
	s_and_saveexec_b64 s[0:1], vcc
	s_cbranch_execz .LBB30_210
; %bb.209:
	v_lshrrev_b32_e32 v1, 2, v0
	v_and_b32_e32 v1, 48, v1
	s_waitcnt lgkmcnt(2)
	ds_write_b8 v1, v6
	s_waitcnt lgkmcnt(1)
	ds_write_b64 v1, v[2:3] offset:8
.LBB30_210:
	s_or_b64 exec, exec, s[0:1]
	v_cmp_gt_u32_e32 vcc, 64, v0
	s_waitcnt lgkmcnt(0)
	s_barrier
	s_and_saveexec_b64 s[8:9], vcc
	s_cbranch_execz .LBB30_212
; %bb.211:
	v_and_b32_e32 v1, 3, v4
	v_lshlrev_b32_e32 v2, 4, v1
	ds_read_u8 v5, v2
	ds_read_b64 v[2:3], v2 offset:8
	v_cmp_ne_u32_e32 vcc, 3, v1
	v_addc_co_u32_e32 v6, vcc, 0, v4, vcc
	s_waitcnt lgkmcnt(1)
	v_and_b32_e32 v7, 0xff, v5
	v_lshlrev_b32_e32 v8, 2, v6
	ds_bpermute_b32 v9, v8, v7
	s_waitcnt lgkmcnt(1)
	ds_bpermute_b32 v6, v8, v2
	ds_bpermute_b32 v7, v8, v3
	v_and_b32_e32 v8, 1, v5
	s_waitcnt lgkmcnt(2)
	v_and_b32_e32 v10, 1, v9
	v_cmp_eq_u32_e64 s[0:1], 1, v10
	s_waitcnt lgkmcnt(0)
	v_cmp_lt_i64_e32 vcc, v[6:7], v[2:3]
	s_and_b64 vcc, s[0:1], vcc
	v_cndmask_b32_e64 v5, v5, 1, s[0:1]
	v_cndmask_b32_e32 v2, v2, v6, vcc
	v_cndmask_b32_e32 v3, v3, v7, vcc
	v_cmp_eq_u32_e32 vcc, 1, v8
	v_cndmask_b32_e32 v8, v9, v5, vcc
	v_cndmask_b32_e32 v3, v7, v3, vcc
	;; [unrolled: 1-line block ×3, first 2 shown]
	v_cmp_gt_u32_e32 vcc, 2, v1
	v_cndmask_b32_e64 v1, 0, 1, vcc
	v_lshlrev_b32_e32 v1, 1, v1
	v_and_b32_e32 v5, 0xff, v8
	v_add_lshl_u32 v1, v1, v4, 2
	ds_bpermute_b32 v6, v1, v5
	ds_bpermute_b32 v4, v1, v2
	;; [unrolled: 1-line block ×3, first 2 shown]
	v_and_b32_e32 v1, 1, v8
	s_waitcnt lgkmcnt(2)
	v_and_b32_e32 v7, 1, v6
	v_cmp_eq_u32_e64 s[0:1], 1, v7
	s_waitcnt lgkmcnt(0)
	v_cmp_lt_i64_e32 vcc, v[4:5], v[2:3]
	s_and_b64 vcc, s[0:1], vcc
	v_cndmask_b32_e64 v7, v8, 1, s[0:1]
	v_cndmask_b32_e32 v2, v2, v4, vcc
	v_cndmask_b32_e32 v3, v3, v5, vcc
	v_cmp_eq_u32_e32 vcc, 1, v1
	v_cndmask_b32_e32 v1, v6, v7, vcc
	v_cndmask_b32_e32 v3, v5, v3, vcc
	;; [unrolled: 1-line block ×3, first 2 shown]
	v_and_b32_e32 v6, 0xff, v1
.LBB30_212:
	s_or_b64 exec, exec, s[8:9]
	s_branch .LBB30_241
.LBB30_213:
                                        ; implicit-def: $vgpr4_vgpr5
                                        ; implicit-def: $vgpr1
                                        ; implicit-def: $sgpr6_sgpr7
.LBB30_214:
	s_and_saveexec_b64 s[0:1], s[10:11]
	s_cbranch_execz .LBB30_216
.LBB30_215:
	s_load_dwordx2 s[0:1], s[4:5], 0x18
	s_lshl_b64 s[2:3], s[6:7], 4
	v_mov_b32_e32 v0, 0
	s_waitcnt lgkmcnt(0)
	s_add_u32 s0, s0, s2
	s_addc_u32 s1, s1, s3
	global_store_byte v0, v1, s[0:1]
	global_store_dwordx2 v0, v[4:5], s[0:1] offset:8
.LBB30_216:
	s_endpgm
.LBB30_217:
                                        ; implicit-def: $vgpr2_vgpr3
                                        ; implicit-def: $vgpr6
	s_cbranch_execz .LBB30_241
; %bb.218:
	s_sub_i32 s8, s22, s2
	v_cmp_gt_u32_e32 vcc, s8, v0
	v_pk_mov_b32 v[2:3], 0, 0
	v_mov_b32_e32 v7, 0
	s_and_saveexec_b64 s[0:1], vcc
	s_cbranch_execz .LBB30_220
; %bb.219:
	s_lshl_b64 s[2:3], s[2:3], 4
	s_add_u32 s2, s20, s2
	s_addc_u32 s3, s21, s3
	s_waitcnt lgkmcnt(2)
	v_lshlrev_b32_e32 v1, 4, v0
	global_load_ubyte v7, v1, s[2:3]
	global_load_dwordx2 v[2:3], v1, s[2:3] offset:8
.LBB30_220:
	s_or_b64 exec, exec, s[0:1]
	s_waitcnt lgkmcnt(2)
	v_mbcnt_lo_u32_b32 v1, -1, 0
	v_mbcnt_hi_u32_b32 v1, -1, v1
	v_and_b32_e32 v8, 63, v1
	v_cmp_ne_u32_e32 vcc, 63, v8
	s_waitcnt lgkmcnt(1)
	v_addc_co_u32_e32 v4, vcc, 0, v1, vcc
	s_waitcnt vmcnt(1)
	v_and_b32_e32 v6, 0xff, v7
	s_waitcnt lgkmcnt(0)
	v_lshlrev_b32_e32 v5, 2, v4
	ds_bpermute_b32 v10, v5, v6
	s_waitcnt vmcnt(0)
	ds_bpermute_b32 v4, v5, v2
	ds_bpermute_b32 v5, v5, v3
	s_min_u32 s8, s8, 0x100
	v_and_b32_e32 v9, 0xc0, v0
	v_sub_u32_e64 v9, s8, v9 clamp
	v_add_u32_e32 v11, 1, v8
	v_cmp_lt_u32_e32 vcc, v11, v9
	s_and_saveexec_b64 s[2:3], vcc
	s_cbranch_execz .LBB30_222
; %bb.221:
	s_waitcnt lgkmcnt(2)
	v_and_b32_e32 v11, 1, v10
	s_waitcnt lgkmcnt(0)
	v_cmp_lt_i64_e32 vcc, v[4:5], v[2:3]
	v_cmp_eq_u32_e64 s[0:1], 1, v11
	v_and_b32_e32 v6, 1, v7
	s_and_b64 vcc, s[0:1], vcc
	v_cndmask_b32_e64 v7, v7, 1, s[0:1]
	v_cndmask_b32_e32 v2, v2, v4, vcc
	v_cndmask_b32_e32 v3, v3, v5, vcc
	v_cmp_eq_u32_e32 vcc, 1, v6
	v_cndmask_b32_e32 v7, v10, v7, vcc
	v_cndmask_b32_e32 v3, v5, v3, vcc
	v_cndmask_b32_e32 v2, v4, v2, vcc
	v_and_b32_e32 v6, 0xff, v7
.LBB30_222:
	s_or_b64 exec, exec, s[2:3]
	v_cmp_gt_u32_e32 vcc, 62, v8
	s_waitcnt lgkmcnt(1)
	v_cndmask_b32_e64 v4, 0, 1, vcc
	v_lshlrev_b32_e32 v4, 1, v4
	s_waitcnt lgkmcnt(0)
	v_add_lshl_u32 v5, v4, v1, 2
	ds_bpermute_b32 v10, v5, v6
	ds_bpermute_b32 v4, v5, v2
	ds_bpermute_b32 v5, v5, v3
	v_add_u32_e32 v11, 2, v8
	v_cmp_lt_u32_e32 vcc, v11, v9
	s_and_saveexec_b64 s[2:3], vcc
	s_cbranch_execz .LBB30_224
; %bb.223:
	s_waitcnt lgkmcnt(2)
	v_and_b32_e32 v11, 1, v10
	s_waitcnt lgkmcnt(0)
	v_cmp_lt_i64_e32 vcc, v[4:5], v[2:3]
	v_cmp_eq_u32_e64 s[0:1], 1, v11
	v_and_b32_e32 v6, 1, v7
	s_and_b64 vcc, s[0:1], vcc
	v_cndmask_b32_e64 v7, v7, 1, s[0:1]
	v_cndmask_b32_e32 v2, v2, v4, vcc
	v_cndmask_b32_e32 v3, v3, v5, vcc
	v_cmp_eq_u32_e32 vcc, 1, v6
	v_cndmask_b32_e32 v7, v10, v7, vcc
	v_cndmask_b32_e32 v3, v5, v3, vcc
	v_cndmask_b32_e32 v2, v4, v2, vcc
	v_and_b32_e32 v6, 0xff, v7
.LBB30_224:
	s_or_b64 exec, exec, s[2:3]
	v_cmp_gt_u32_e32 vcc, 60, v8
	s_waitcnt lgkmcnt(1)
	v_cndmask_b32_e64 v4, 0, 1, vcc
	v_lshlrev_b32_e32 v4, 2, v4
	s_waitcnt lgkmcnt(0)
	v_add_lshl_u32 v5, v4, v1, 2
	ds_bpermute_b32 v10, v5, v6
	ds_bpermute_b32 v4, v5, v2
	ds_bpermute_b32 v5, v5, v3
	;; [unrolled: 31-line block ×5, first 2 shown]
	v_add_u32_e32 v8, 32, v8
	v_cmp_lt_u32_e32 vcc, v8, v9
	s_and_saveexec_b64 s[2:3], vcc
	s_cbranch_execz .LBB30_232
; %bb.231:
	s_waitcnt lgkmcnt(2)
	v_and_b32_e32 v8, 1, v10
	s_waitcnt lgkmcnt(0)
	v_cmp_lt_i64_e32 vcc, v[4:5], v[2:3]
	v_cmp_eq_u32_e64 s[0:1], 1, v8
	v_and_b32_e32 v6, 1, v7
	s_and_b64 vcc, s[0:1], vcc
	v_cndmask_b32_e64 v7, v7, 1, s[0:1]
	v_cndmask_b32_e32 v2, v2, v4, vcc
	v_cndmask_b32_e32 v3, v3, v5, vcc
	v_cmp_eq_u32_e32 vcc, 1, v6
	v_cndmask_b32_e32 v7, v10, v7, vcc
	v_cndmask_b32_e32 v3, v5, v3, vcc
	;; [unrolled: 1-line block ×3, first 2 shown]
	v_and_b32_e32 v6, 0xff, v7
.LBB30_232:
	s_or_b64 exec, exec, s[2:3]
	v_cmp_eq_u32_e32 vcc, 0, v1
	s_and_saveexec_b64 s[0:1], vcc
	s_cbranch_execz .LBB30_234
; %bb.233:
	s_waitcnt lgkmcnt(1)
	v_lshrrev_b32_e32 v4, 2, v0
	v_and_b32_e32 v4, 48, v4
	ds_write_b8 v4, v7 offset:256
	ds_write_b64 v4, v[2:3] offset:264
.LBB30_234:
	s_or_b64 exec, exec, s[0:1]
	v_cmp_gt_u32_e32 vcc, 4, v0
	s_waitcnt lgkmcnt(0)
	s_barrier
	s_and_saveexec_b64 s[2:3], vcc
	s_cbranch_execz .LBB30_240
; %bb.235:
	v_lshlrev_b32_e32 v2, 4, v1
	ds_read_u8 v7, v2 offset:256
	ds_read_b64 v[2:3], v2 offset:264
	v_and_b32_e32 v8, 3, v1
	v_cmp_ne_u32_e32 vcc, 3, v8
	v_addc_co_u32_e32 v4, vcc, 0, v1, vcc
	s_waitcnt lgkmcnt(1)
	v_and_b32_e32 v6, 0xff, v7
	v_lshlrev_b32_e32 v5, 2, v4
	ds_bpermute_b32 v9, v5, v6
	s_waitcnt lgkmcnt(1)
	ds_bpermute_b32 v4, v5, v2
	ds_bpermute_b32 v5, v5, v3
	s_add_i32 s8, s8, 63
	s_lshr_b32 s12, s8, 6
	v_add_u32_e32 v10, 1, v8
	v_cmp_gt_u32_e32 vcc, s12, v10
	s_and_saveexec_b64 s[8:9], vcc
	s_cbranch_execz .LBB30_237
; %bb.236:
	s_waitcnt lgkmcnt(2)
	v_and_b32_e32 v10, 1, v9
	s_waitcnt lgkmcnt(0)
	v_cmp_lt_i64_e32 vcc, v[4:5], v[2:3]
	v_cmp_eq_u32_e64 s[0:1], 1, v10
	v_and_b32_e32 v6, 1, v7
	s_and_b64 vcc, s[0:1], vcc
	v_cndmask_b32_e64 v7, v7, 1, s[0:1]
	v_cndmask_b32_e32 v2, v2, v4, vcc
	v_cndmask_b32_e32 v3, v3, v5, vcc
	v_cmp_eq_u32_e32 vcc, 1, v6
	v_cndmask_b32_e32 v7, v9, v7, vcc
	v_cndmask_b32_e32 v3, v5, v3, vcc
	;; [unrolled: 1-line block ×3, first 2 shown]
	v_and_b32_e32 v6, 0xff, v7
.LBB30_237:
	s_or_b64 exec, exec, s[8:9]
	v_cmp_gt_u32_e32 vcc, 2, v8
	s_waitcnt lgkmcnt(1)
	v_cndmask_b32_e64 v4, 0, 1, vcc
	v_lshlrev_b32_e32 v4, 1, v4
	s_waitcnt lgkmcnt(0)
	v_add_lshl_u32 v5, v4, v1, 2
	ds_bpermute_b32 v1, v5, v6
	ds_bpermute_b32 v4, v5, v2
	;; [unrolled: 1-line block ×3, first 2 shown]
	v_add_u32_e32 v8, 2, v8
	v_cmp_gt_u32_e32 vcc, s12, v8
	s_and_saveexec_b64 s[8:9], vcc
	s_cbranch_execz .LBB30_239
; %bb.238:
	s_waitcnt lgkmcnt(2)
	v_and_b32_e32 v8, 1, v1
	s_waitcnt lgkmcnt(0)
	v_cmp_lt_i64_e32 vcc, v[4:5], v[2:3]
	v_cmp_eq_u32_e64 s[0:1], 1, v8
	v_and_b32_e32 v6, 1, v7
	s_and_b64 vcc, s[0:1], vcc
	v_cndmask_b32_e64 v7, v7, 1, s[0:1]
	v_cndmask_b32_e32 v2, v2, v4, vcc
	v_cndmask_b32_e32 v3, v3, v5, vcc
	v_cmp_eq_u32_e32 vcc, 1, v6
	v_cndmask_b32_e32 v1, v1, v7, vcc
	v_cndmask_b32_e32 v3, v5, v3, vcc
	;; [unrolled: 1-line block ×3, first 2 shown]
	v_and_b32_e32 v6, 0xff, v1
.LBB30_239:
	s_or_b64 exec, exec, s[8:9]
.LBB30_240:
	s_or_b64 exec, exec, s[2:3]
.LBB30_241:
	v_cmp_eq_u32_e32 vcc, 0, v0
                                        ; implicit-def: $vgpr4_vgpr5
                                        ; implicit-def: $vgpr1
	s_and_saveexec_b64 s[8:9], vcc
	s_cbranch_execz .LBB30_245
; %bb.242:
	s_cmp_eq_u64 s[22:23], 0
	s_waitcnt lgkmcnt(0)
	v_pk_mov_b32 v[4:5], s[18:19], s[18:19] op_sel:[0,1]
	v_mov_b32_e32 v1, s28
	s_cbranch_scc1 .LBB30_244
; %bb.243:
	v_and_b32_e32 v0, 1, v6
	s_bitcmp1_b32 s28, 0
	v_mov_b32_e32 v1, s28
	v_cmp_eq_u32_e32 vcc, 1, v0
	v_cmp_gt_i64_e64 s[2:3], s[18:19], v[2:3]
	v_cndmask_b32_e64 v0, v1, 1, vcc
	s_cselect_b64 s[0:1], -1, 0
	v_mov_b32_e32 v1, s18
	s_and_b64 vcc, vcc, s[2:3]
	v_cndmask_b32_e32 v4, v1, v2, vcc
	v_mov_b32_e32 v1, s19
	v_cndmask_b32_e32 v5, v1, v3, vcc
	v_cndmask_b32_e64 v1, v6, v0, s[0:1]
	v_cndmask_b32_e64 v5, v3, v5, s[0:1]
	;; [unrolled: 1-line block ×3, first 2 shown]
.LBB30_244:
	s_or_b64 s[10:11], s[10:11], exec
.LBB30_245:
	s_or_b64 exec, exec, s[8:9]
	s_and_saveexec_b64 s[0:1], s[10:11]
	s_cbranch_execnz .LBB30_215
	s_branch .LBB30_216
.LBB30_246:
	v_lshlrev_b32_e32 v25, 4, v25
	global_load_ubyte v1, v25, s[16:17]
	global_load_dwordx2 v[4:5], v25, s[16:17] offset:8
	s_or_b64 exec, exec, s[26:27]
	s_and_saveexec_b64 s[26:27], s[14:15]
	s_cbranch_execz .LBB30_65
.LBB30_247:
	s_waitcnt vmcnt(1)
	v_and_b32_e32 v26, 1, v23
	s_waitcnt vmcnt(0)
	v_cmp_lt_i64_e64 s[14:15], v[14:15], v[2:3]
	v_cmp_eq_u32_e64 s[16:17], 1, v26
	v_and_b32_e32 v25, 1, v18
	s_and_b64 s[14:15], s[16:17], s[14:15]
	v_cndmask_b32_e64 v18, v18, 1, s[16:17]
	v_cndmask_b32_e64 v2, v2, v14, s[14:15]
	;; [unrolled: 1-line block ×3, first 2 shown]
	v_cmp_eq_u32_e64 s[14:15], 1, v25
	v_cndmask_b32_e64 v18, v23, v18, s[14:15]
	v_cndmask_b32_e64 v3, v15, v3, s[14:15]
	;; [unrolled: 1-line block ×3, first 2 shown]
	s_or_b64 exec, exec, s[26:27]
	s_and_saveexec_b64 s[16:17], s[12:13]
	s_cbranch_execz .LBB30_66
.LBB30_248:
	s_waitcnt vmcnt(0)
	v_and_b32_e32 v15, 1, v24
	v_cmp_lt_i64_e64 s[12:13], v[16:17], v[2:3]
	v_cmp_eq_u32_e64 s[14:15], 1, v15
	v_and_b32_e32 v14, 1, v18
	s_and_b64 s[12:13], s[14:15], s[12:13]
	v_cndmask_b32_e64 v15, v18, 1, s[14:15]
	v_cndmask_b32_e64 v2, v2, v16, s[12:13]
	;; [unrolled: 1-line block ×3, first 2 shown]
	v_cmp_eq_u32_e64 s[12:13], 1, v14
	v_cndmask_b32_e64 v18, v24, v15, s[12:13]
	v_cndmask_b32_e64 v3, v17, v3, s[12:13]
	;; [unrolled: 1-line block ×3, first 2 shown]
	s_or_b64 exec, exec, s[16:17]
	s_and_saveexec_b64 s[14:15], s[10:11]
	s_cbranch_execz .LBB30_67
.LBB30_249:
	s_waitcnt vmcnt(0)
	v_and_b32_e32 v15, 1, v21
	v_cmp_lt_i64_e64 s[10:11], v[10:11], v[2:3]
	v_cmp_eq_u32_e64 s[12:13], 1, v15
	v_and_b32_e32 v14, 1, v18
	s_and_b64 s[10:11], s[12:13], s[10:11]
	v_cndmask_b32_e64 v15, v18, 1, s[12:13]
	v_cndmask_b32_e64 v2, v2, v10, s[10:11]
	;; [unrolled: 1-line block ×3, first 2 shown]
	v_cmp_eq_u32_e64 s[10:11], 1, v14
	v_cndmask_b32_e64 v18, v21, v15, s[10:11]
	v_cndmask_b32_e64 v3, v11, v3, s[10:11]
	;; [unrolled: 1-line block ×3, first 2 shown]
	s_or_b64 exec, exec, s[14:15]
	s_and_saveexec_b64 s[12:13], s[8:9]
	s_cbranch_execz .LBB30_68
.LBB30_250:
	s_waitcnt vmcnt(0)
	v_and_b32_e32 v11, 1, v22
	v_cmp_lt_i64_e64 s[8:9], v[12:13], v[2:3]
	v_cmp_eq_u32_e64 s[10:11], 1, v11
	v_and_b32_e32 v10, 1, v18
	s_and_b64 s[8:9], s[10:11], s[8:9]
	v_cndmask_b32_e64 v11, v18, 1, s[10:11]
	v_cndmask_b32_e64 v2, v2, v12, s[8:9]
	;; [unrolled: 1-line block ×3, first 2 shown]
	v_cmp_eq_u32_e64 s[8:9], 1, v10
	v_cndmask_b32_e64 v18, v22, v11, s[8:9]
	v_cndmask_b32_e64 v3, v13, v3, s[8:9]
	;; [unrolled: 1-line block ×3, first 2 shown]
	s_or_b64 exec, exec, s[12:13]
	s_and_saveexec_b64 s[10:11], s[2:3]
	s_cbranch_execz .LBB30_69
.LBB30_251:
	s_waitcnt vmcnt(0)
	v_and_b32_e32 v11, 1, v19
	v_cmp_lt_i64_e64 s[2:3], v[6:7], v[2:3]
	v_cmp_eq_u32_e64 s[8:9], 1, v11
	v_and_b32_e32 v10, 1, v18
	s_and_b64 s[2:3], s[8:9], s[2:3]
	v_cndmask_b32_e64 v11, v18, 1, s[8:9]
	v_cndmask_b32_e64 v2, v2, v6, s[2:3]
	;; [unrolled: 1-line block ×3, first 2 shown]
	v_cmp_eq_u32_e64 s[2:3], 1, v10
	v_cndmask_b32_e64 v18, v19, v11, s[2:3]
	v_cndmask_b32_e64 v3, v7, v3, s[2:3]
	;; [unrolled: 1-line block ×3, first 2 shown]
	s_or_b64 exec, exec, s[10:11]
	s_and_saveexec_b64 s[8:9], s[0:1]
	s_cbranch_execz .LBB30_70
.LBB30_252:
	s_waitcnt vmcnt(0)
	v_and_b32_e32 v7, 1, v20
	v_cmp_lt_i64_e64 s[0:1], v[8:9], v[2:3]
	v_cmp_eq_u32_e64 s[2:3], 1, v7
	v_and_b32_e32 v6, 1, v18
	s_and_b64 s[0:1], s[2:3], s[0:1]
	v_cndmask_b32_e64 v7, v18, 1, s[2:3]
	v_cndmask_b32_e64 v2, v2, v8, s[0:1]
	;; [unrolled: 1-line block ×3, first 2 shown]
	v_cmp_eq_u32_e64 s[0:1], 1, v6
	v_cndmask_b32_e64 v18, v20, v7, s[0:1]
	v_cndmask_b32_e64 v3, v9, v3, s[0:1]
	v_cndmask_b32_e64 v2, v8, v2, s[0:1]
	s_or_b64 exec, exec, s[8:9]
	s_and_saveexec_b64 s[2:3], vcc
	s_cbranch_execnz .LBB30_71
	s_branch .LBB30_72
.LBB30_253:
	v_lshlrev_b32_e32 v13, 4, v13
	global_load_ubyte v1, v13, s[8:9]
	global_load_dwordx2 v[4:5], v13, s[8:9] offset:8
	s_or_b64 exec, exec, s[12:13]
	s_and_saveexec_b64 s[12:13], s[2:3]
	s_cbranch_execz .LBB30_108
.LBB30_254:
	s_waitcnt vmcnt(1)
	v_and_b32_e32 v14, 1, v11
	s_waitcnt vmcnt(0)
	v_cmp_lt_i64_e64 s[2:3], v[6:7], v[2:3]
	v_cmp_eq_u32_e64 s[8:9], 1, v14
	v_and_b32_e32 v13, 1, v10
	s_and_b64 s[2:3], s[8:9], s[2:3]
	v_cndmask_b32_e64 v10, v10, 1, s[8:9]
	v_cndmask_b32_e64 v2, v2, v6, s[2:3]
	;; [unrolled: 1-line block ×3, first 2 shown]
	v_cmp_eq_u32_e64 s[2:3], 1, v13
	v_cndmask_b32_e64 v10, v11, v10, s[2:3]
	v_cndmask_b32_e64 v3, v7, v3, s[2:3]
	;; [unrolled: 1-line block ×3, first 2 shown]
	s_or_b64 exec, exec, s[12:13]
	s_and_saveexec_b64 s[8:9], s[0:1]
	s_cbranch_execz .LBB30_109
.LBB30_255:
	s_waitcnt vmcnt(0)
	v_and_b32_e32 v7, 1, v12
	v_cmp_lt_i64_e64 s[0:1], v[8:9], v[2:3]
	v_cmp_eq_u32_e64 s[2:3], 1, v7
	v_and_b32_e32 v6, 1, v10
	s_and_b64 s[0:1], s[2:3], s[0:1]
	v_cndmask_b32_e64 v7, v10, 1, s[2:3]
	v_cndmask_b32_e64 v2, v2, v8, s[0:1]
	;; [unrolled: 1-line block ×3, first 2 shown]
	v_cmp_eq_u32_e64 s[0:1], 1, v6
	v_cndmask_b32_e64 v10, v12, v7, s[0:1]
	v_cndmask_b32_e64 v3, v9, v3, s[0:1]
	;; [unrolled: 1-line block ×3, first 2 shown]
	s_or_b64 exec, exec, s[8:9]
	s_and_saveexec_b64 s[2:3], vcc
	s_cbranch_execnz .LBB30_110
	s_branch .LBB30_111
	.section	.rodata,"a",@progbits
	.p2align	6, 0x0
	.amdhsa_kernel _ZN7rocprim17ROCPRIM_400000_NS6detail17trampoline_kernelINS0_14default_configENS1_22reduce_config_selectorIN6thrust23THRUST_200600_302600_NS5tupleIblNS6_9null_typeES8_S8_S8_S8_S8_S8_S8_EEEEZNS1_11reduce_implILb1ES3_PS9_SC_S9_NS6_11hip_rocprim9__find_if7functorIS9_EEEE10hipError_tPvRmT1_T2_T3_mT4_P12ihipStream_tbEUlT_E1_NS1_11comp_targetILNS1_3genE4ELNS1_11target_archE910ELNS1_3gpuE8ELNS1_3repE0EEENS1_30default_config_static_selectorELNS0_4arch9wavefront6targetE1EEEvSK_
		.amdhsa_group_segment_fixed_size 320
		.amdhsa_private_segment_fixed_size 0
		.amdhsa_kernarg_size 56
		.amdhsa_user_sgpr_count 6
		.amdhsa_user_sgpr_private_segment_buffer 1
		.amdhsa_user_sgpr_dispatch_ptr 0
		.amdhsa_user_sgpr_queue_ptr 0
		.amdhsa_user_sgpr_kernarg_segment_ptr 1
		.amdhsa_user_sgpr_dispatch_id 0
		.amdhsa_user_sgpr_flat_scratch_init 0
		.amdhsa_user_sgpr_kernarg_preload_length 0
		.amdhsa_user_sgpr_kernarg_preload_offset 0
		.amdhsa_user_sgpr_private_segment_size 0
		.amdhsa_uses_dynamic_stack 0
		.amdhsa_system_sgpr_private_segment_wavefront_offset 0
		.amdhsa_system_sgpr_workgroup_id_x 1
		.amdhsa_system_sgpr_workgroup_id_y 0
		.amdhsa_system_sgpr_workgroup_id_z 0
		.amdhsa_system_sgpr_workgroup_info 0
		.amdhsa_system_vgpr_workitem_id 0
		.amdhsa_next_free_vgpr 30
		.amdhsa_next_free_sgpr 31
		.amdhsa_accum_offset 32
		.amdhsa_reserve_vcc 1
		.amdhsa_reserve_flat_scratch 0
		.amdhsa_float_round_mode_32 0
		.amdhsa_float_round_mode_16_64 0
		.amdhsa_float_denorm_mode_32 3
		.amdhsa_float_denorm_mode_16_64 3
		.amdhsa_dx10_clamp 1
		.amdhsa_ieee_mode 1
		.amdhsa_fp16_overflow 0
		.amdhsa_tg_split 0
		.amdhsa_exception_fp_ieee_invalid_op 0
		.amdhsa_exception_fp_denorm_src 0
		.amdhsa_exception_fp_ieee_div_zero 0
		.amdhsa_exception_fp_ieee_overflow 0
		.amdhsa_exception_fp_ieee_underflow 0
		.amdhsa_exception_fp_ieee_inexact 0
		.amdhsa_exception_int_div_zero 0
	.end_amdhsa_kernel
	.section	.text._ZN7rocprim17ROCPRIM_400000_NS6detail17trampoline_kernelINS0_14default_configENS1_22reduce_config_selectorIN6thrust23THRUST_200600_302600_NS5tupleIblNS6_9null_typeES8_S8_S8_S8_S8_S8_S8_EEEEZNS1_11reduce_implILb1ES3_PS9_SC_S9_NS6_11hip_rocprim9__find_if7functorIS9_EEEE10hipError_tPvRmT1_T2_T3_mT4_P12ihipStream_tbEUlT_E1_NS1_11comp_targetILNS1_3genE4ELNS1_11target_archE910ELNS1_3gpuE8ELNS1_3repE0EEENS1_30default_config_static_selectorELNS0_4arch9wavefront6targetE1EEEvSK_,"axG",@progbits,_ZN7rocprim17ROCPRIM_400000_NS6detail17trampoline_kernelINS0_14default_configENS1_22reduce_config_selectorIN6thrust23THRUST_200600_302600_NS5tupleIblNS6_9null_typeES8_S8_S8_S8_S8_S8_S8_EEEEZNS1_11reduce_implILb1ES3_PS9_SC_S9_NS6_11hip_rocprim9__find_if7functorIS9_EEEE10hipError_tPvRmT1_T2_T3_mT4_P12ihipStream_tbEUlT_E1_NS1_11comp_targetILNS1_3genE4ELNS1_11target_archE910ELNS1_3gpuE8ELNS1_3repE0EEENS1_30default_config_static_selectorELNS0_4arch9wavefront6targetE1EEEvSK_,comdat
.Lfunc_end30:
	.size	_ZN7rocprim17ROCPRIM_400000_NS6detail17trampoline_kernelINS0_14default_configENS1_22reduce_config_selectorIN6thrust23THRUST_200600_302600_NS5tupleIblNS6_9null_typeES8_S8_S8_S8_S8_S8_S8_EEEEZNS1_11reduce_implILb1ES3_PS9_SC_S9_NS6_11hip_rocprim9__find_if7functorIS9_EEEE10hipError_tPvRmT1_T2_T3_mT4_P12ihipStream_tbEUlT_E1_NS1_11comp_targetILNS1_3genE4ELNS1_11target_archE910ELNS1_3gpuE8ELNS1_3repE0EEENS1_30default_config_static_selectorELNS0_4arch9wavefront6targetE1EEEvSK_, .Lfunc_end30-_ZN7rocprim17ROCPRIM_400000_NS6detail17trampoline_kernelINS0_14default_configENS1_22reduce_config_selectorIN6thrust23THRUST_200600_302600_NS5tupleIblNS6_9null_typeES8_S8_S8_S8_S8_S8_S8_EEEEZNS1_11reduce_implILb1ES3_PS9_SC_S9_NS6_11hip_rocprim9__find_if7functorIS9_EEEE10hipError_tPvRmT1_T2_T3_mT4_P12ihipStream_tbEUlT_E1_NS1_11comp_targetILNS1_3genE4ELNS1_11target_archE910ELNS1_3gpuE8ELNS1_3repE0EEENS1_30default_config_static_selectorELNS0_4arch9wavefront6targetE1EEEvSK_
                                        ; -- End function
	.section	.AMDGPU.csdata,"",@progbits
; Kernel info:
; codeLenInByte = 13260
; NumSgprs: 35
; NumVgprs: 30
; NumAgprs: 0
; TotalNumVgprs: 30
; ScratchSize: 0
; MemoryBound: 0
; FloatMode: 240
; IeeeMode: 1
; LDSByteSize: 320 bytes/workgroup (compile time only)
; SGPRBlocks: 4
; VGPRBlocks: 3
; NumSGPRsForWavesPerEU: 35
; NumVGPRsForWavesPerEU: 30
; AccumOffset: 32
; Occupancy: 8
; WaveLimiterHint : 1
; COMPUTE_PGM_RSRC2:SCRATCH_EN: 0
; COMPUTE_PGM_RSRC2:USER_SGPR: 6
; COMPUTE_PGM_RSRC2:TRAP_HANDLER: 0
; COMPUTE_PGM_RSRC2:TGID_X_EN: 1
; COMPUTE_PGM_RSRC2:TGID_Y_EN: 0
; COMPUTE_PGM_RSRC2:TGID_Z_EN: 0
; COMPUTE_PGM_RSRC2:TIDIG_COMP_CNT: 0
; COMPUTE_PGM_RSRC3_GFX90A:ACCUM_OFFSET: 7
; COMPUTE_PGM_RSRC3_GFX90A:TG_SPLIT: 0
	.section	.text._ZN7rocprim17ROCPRIM_400000_NS6detail17trampoline_kernelINS0_14default_configENS1_22reduce_config_selectorIN6thrust23THRUST_200600_302600_NS5tupleIblNS6_9null_typeES8_S8_S8_S8_S8_S8_S8_EEEEZNS1_11reduce_implILb1ES3_PS9_SC_S9_NS6_11hip_rocprim9__find_if7functorIS9_EEEE10hipError_tPvRmT1_T2_T3_mT4_P12ihipStream_tbEUlT_E1_NS1_11comp_targetILNS1_3genE3ELNS1_11target_archE908ELNS1_3gpuE7ELNS1_3repE0EEENS1_30default_config_static_selectorELNS0_4arch9wavefront6targetE1EEEvSK_,"axG",@progbits,_ZN7rocprim17ROCPRIM_400000_NS6detail17trampoline_kernelINS0_14default_configENS1_22reduce_config_selectorIN6thrust23THRUST_200600_302600_NS5tupleIblNS6_9null_typeES8_S8_S8_S8_S8_S8_S8_EEEEZNS1_11reduce_implILb1ES3_PS9_SC_S9_NS6_11hip_rocprim9__find_if7functorIS9_EEEE10hipError_tPvRmT1_T2_T3_mT4_P12ihipStream_tbEUlT_E1_NS1_11comp_targetILNS1_3genE3ELNS1_11target_archE908ELNS1_3gpuE7ELNS1_3repE0EEENS1_30default_config_static_selectorELNS0_4arch9wavefront6targetE1EEEvSK_,comdat
	.protected	_ZN7rocprim17ROCPRIM_400000_NS6detail17trampoline_kernelINS0_14default_configENS1_22reduce_config_selectorIN6thrust23THRUST_200600_302600_NS5tupleIblNS6_9null_typeES8_S8_S8_S8_S8_S8_S8_EEEEZNS1_11reduce_implILb1ES3_PS9_SC_S9_NS6_11hip_rocprim9__find_if7functorIS9_EEEE10hipError_tPvRmT1_T2_T3_mT4_P12ihipStream_tbEUlT_E1_NS1_11comp_targetILNS1_3genE3ELNS1_11target_archE908ELNS1_3gpuE7ELNS1_3repE0EEENS1_30default_config_static_selectorELNS0_4arch9wavefront6targetE1EEEvSK_ ; -- Begin function _ZN7rocprim17ROCPRIM_400000_NS6detail17trampoline_kernelINS0_14default_configENS1_22reduce_config_selectorIN6thrust23THRUST_200600_302600_NS5tupleIblNS6_9null_typeES8_S8_S8_S8_S8_S8_S8_EEEEZNS1_11reduce_implILb1ES3_PS9_SC_S9_NS6_11hip_rocprim9__find_if7functorIS9_EEEE10hipError_tPvRmT1_T2_T3_mT4_P12ihipStream_tbEUlT_E1_NS1_11comp_targetILNS1_3genE3ELNS1_11target_archE908ELNS1_3gpuE7ELNS1_3repE0EEENS1_30default_config_static_selectorELNS0_4arch9wavefront6targetE1EEEvSK_
	.globl	_ZN7rocprim17ROCPRIM_400000_NS6detail17trampoline_kernelINS0_14default_configENS1_22reduce_config_selectorIN6thrust23THRUST_200600_302600_NS5tupleIblNS6_9null_typeES8_S8_S8_S8_S8_S8_S8_EEEEZNS1_11reduce_implILb1ES3_PS9_SC_S9_NS6_11hip_rocprim9__find_if7functorIS9_EEEE10hipError_tPvRmT1_T2_T3_mT4_P12ihipStream_tbEUlT_E1_NS1_11comp_targetILNS1_3genE3ELNS1_11target_archE908ELNS1_3gpuE7ELNS1_3repE0EEENS1_30default_config_static_selectorELNS0_4arch9wavefront6targetE1EEEvSK_
	.p2align	8
	.type	_ZN7rocprim17ROCPRIM_400000_NS6detail17trampoline_kernelINS0_14default_configENS1_22reduce_config_selectorIN6thrust23THRUST_200600_302600_NS5tupleIblNS6_9null_typeES8_S8_S8_S8_S8_S8_S8_EEEEZNS1_11reduce_implILb1ES3_PS9_SC_S9_NS6_11hip_rocprim9__find_if7functorIS9_EEEE10hipError_tPvRmT1_T2_T3_mT4_P12ihipStream_tbEUlT_E1_NS1_11comp_targetILNS1_3genE3ELNS1_11target_archE908ELNS1_3gpuE7ELNS1_3repE0EEENS1_30default_config_static_selectorELNS0_4arch9wavefront6targetE1EEEvSK_,@function
_ZN7rocprim17ROCPRIM_400000_NS6detail17trampoline_kernelINS0_14default_configENS1_22reduce_config_selectorIN6thrust23THRUST_200600_302600_NS5tupleIblNS6_9null_typeES8_S8_S8_S8_S8_S8_S8_EEEEZNS1_11reduce_implILb1ES3_PS9_SC_S9_NS6_11hip_rocprim9__find_if7functorIS9_EEEE10hipError_tPvRmT1_T2_T3_mT4_P12ihipStream_tbEUlT_E1_NS1_11comp_targetILNS1_3genE3ELNS1_11target_archE908ELNS1_3gpuE7ELNS1_3repE0EEENS1_30default_config_static_selectorELNS0_4arch9wavefront6targetE1EEEvSK_: ; @_ZN7rocprim17ROCPRIM_400000_NS6detail17trampoline_kernelINS0_14default_configENS1_22reduce_config_selectorIN6thrust23THRUST_200600_302600_NS5tupleIblNS6_9null_typeES8_S8_S8_S8_S8_S8_S8_EEEEZNS1_11reduce_implILb1ES3_PS9_SC_S9_NS6_11hip_rocprim9__find_if7functorIS9_EEEE10hipError_tPvRmT1_T2_T3_mT4_P12ihipStream_tbEUlT_E1_NS1_11comp_targetILNS1_3genE3ELNS1_11target_archE908ELNS1_3gpuE7ELNS1_3repE0EEENS1_30default_config_static_selectorELNS0_4arch9wavefront6targetE1EEEvSK_
; %bb.0:
	.section	.rodata,"a",@progbits
	.p2align	6, 0x0
	.amdhsa_kernel _ZN7rocprim17ROCPRIM_400000_NS6detail17trampoline_kernelINS0_14default_configENS1_22reduce_config_selectorIN6thrust23THRUST_200600_302600_NS5tupleIblNS6_9null_typeES8_S8_S8_S8_S8_S8_S8_EEEEZNS1_11reduce_implILb1ES3_PS9_SC_S9_NS6_11hip_rocprim9__find_if7functorIS9_EEEE10hipError_tPvRmT1_T2_T3_mT4_P12ihipStream_tbEUlT_E1_NS1_11comp_targetILNS1_3genE3ELNS1_11target_archE908ELNS1_3gpuE7ELNS1_3repE0EEENS1_30default_config_static_selectorELNS0_4arch9wavefront6targetE1EEEvSK_
		.amdhsa_group_segment_fixed_size 0
		.amdhsa_private_segment_fixed_size 0
		.amdhsa_kernarg_size 56
		.amdhsa_user_sgpr_count 6
		.amdhsa_user_sgpr_private_segment_buffer 1
		.amdhsa_user_sgpr_dispatch_ptr 0
		.amdhsa_user_sgpr_queue_ptr 0
		.amdhsa_user_sgpr_kernarg_segment_ptr 1
		.amdhsa_user_sgpr_dispatch_id 0
		.amdhsa_user_sgpr_flat_scratch_init 0
		.amdhsa_user_sgpr_kernarg_preload_length 0
		.amdhsa_user_sgpr_kernarg_preload_offset 0
		.amdhsa_user_sgpr_private_segment_size 0
		.amdhsa_uses_dynamic_stack 0
		.amdhsa_system_sgpr_private_segment_wavefront_offset 0
		.amdhsa_system_sgpr_workgroup_id_x 1
		.amdhsa_system_sgpr_workgroup_id_y 0
		.amdhsa_system_sgpr_workgroup_id_z 0
		.amdhsa_system_sgpr_workgroup_info 0
		.amdhsa_system_vgpr_workitem_id 0
		.amdhsa_next_free_vgpr 1
		.amdhsa_next_free_sgpr 0
		.amdhsa_accum_offset 4
		.amdhsa_reserve_vcc 0
		.amdhsa_reserve_flat_scratch 0
		.amdhsa_float_round_mode_32 0
		.amdhsa_float_round_mode_16_64 0
		.amdhsa_float_denorm_mode_32 3
		.amdhsa_float_denorm_mode_16_64 3
		.amdhsa_dx10_clamp 1
		.amdhsa_ieee_mode 1
		.amdhsa_fp16_overflow 0
		.amdhsa_tg_split 0
		.amdhsa_exception_fp_ieee_invalid_op 0
		.amdhsa_exception_fp_denorm_src 0
		.amdhsa_exception_fp_ieee_div_zero 0
		.amdhsa_exception_fp_ieee_overflow 0
		.amdhsa_exception_fp_ieee_underflow 0
		.amdhsa_exception_fp_ieee_inexact 0
		.amdhsa_exception_int_div_zero 0
	.end_amdhsa_kernel
	.section	.text._ZN7rocprim17ROCPRIM_400000_NS6detail17trampoline_kernelINS0_14default_configENS1_22reduce_config_selectorIN6thrust23THRUST_200600_302600_NS5tupleIblNS6_9null_typeES8_S8_S8_S8_S8_S8_S8_EEEEZNS1_11reduce_implILb1ES3_PS9_SC_S9_NS6_11hip_rocprim9__find_if7functorIS9_EEEE10hipError_tPvRmT1_T2_T3_mT4_P12ihipStream_tbEUlT_E1_NS1_11comp_targetILNS1_3genE3ELNS1_11target_archE908ELNS1_3gpuE7ELNS1_3repE0EEENS1_30default_config_static_selectorELNS0_4arch9wavefront6targetE1EEEvSK_,"axG",@progbits,_ZN7rocprim17ROCPRIM_400000_NS6detail17trampoline_kernelINS0_14default_configENS1_22reduce_config_selectorIN6thrust23THRUST_200600_302600_NS5tupleIblNS6_9null_typeES8_S8_S8_S8_S8_S8_S8_EEEEZNS1_11reduce_implILb1ES3_PS9_SC_S9_NS6_11hip_rocprim9__find_if7functorIS9_EEEE10hipError_tPvRmT1_T2_T3_mT4_P12ihipStream_tbEUlT_E1_NS1_11comp_targetILNS1_3genE3ELNS1_11target_archE908ELNS1_3gpuE7ELNS1_3repE0EEENS1_30default_config_static_selectorELNS0_4arch9wavefront6targetE1EEEvSK_,comdat
.Lfunc_end31:
	.size	_ZN7rocprim17ROCPRIM_400000_NS6detail17trampoline_kernelINS0_14default_configENS1_22reduce_config_selectorIN6thrust23THRUST_200600_302600_NS5tupleIblNS6_9null_typeES8_S8_S8_S8_S8_S8_S8_EEEEZNS1_11reduce_implILb1ES3_PS9_SC_S9_NS6_11hip_rocprim9__find_if7functorIS9_EEEE10hipError_tPvRmT1_T2_T3_mT4_P12ihipStream_tbEUlT_E1_NS1_11comp_targetILNS1_3genE3ELNS1_11target_archE908ELNS1_3gpuE7ELNS1_3repE0EEENS1_30default_config_static_selectorELNS0_4arch9wavefront6targetE1EEEvSK_, .Lfunc_end31-_ZN7rocprim17ROCPRIM_400000_NS6detail17trampoline_kernelINS0_14default_configENS1_22reduce_config_selectorIN6thrust23THRUST_200600_302600_NS5tupleIblNS6_9null_typeES8_S8_S8_S8_S8_S8_S8_EEEEZNS1_11reduce_implILb1ES3_PS9_SC_S9_NS6_11hip_rocprim9__find_if7functorIS9_EEEE10hipError_tPvRmT1_T2_T3_mT4_P12ihipStream_tbEUlT_E1_NS1_11comp_targetILNS1_3genE3ELNS1_11target_archE908ELNS1_3gpuE7ELNS1_3repE0EEENS1_30default_config_static_selectorELNS0_4arch9wavefront6targetE1EEEvSK_
                                        ; -- End function
	.section	.AMDGPU.csdata,"",@progbits
; Kernel info:
; codeLenInByte = 0
; NumSgprs: 4
; NumVgprs: 0
; NumAgprs: 0
; TotalNumVgprs: 0
; ScratchSize: 0
; MemoryBound: 0
; FloatMode: 240
; IeeeMode: 1
; LDSByteSize: 0 bytes/workgroup (compile time only)
; SGPRBlocks: 0
; VGPRBlocks: 0
; NumSGPRsForWavesPerEU: 4
; NumVGPRsForWavesPerEU: 1
; AccumOffset: 4
; Occupancy: 8
; WaveLimiterHint : 0
; COMPUTE_PGM_RSRC2:SCRATCH_EN: 0
; COMPUTE_PGM_RSRC2:USER_SGPR: 6
; COMPUTE_PGM_RSRC2:TRAP_HANDLER: 0
; COMPUTE_PGM_RSRC2:TGID_X_EN: 1
; COMPUTE_PGM_RSRC2:TGID_Y_EN: 0
; COMPUTE_PGM_RSRC2:TGID_Z_EN: 0
; COMPUTE_PGM_RSRC2:TIDIG_COMP_CNT: 0
; COMPUTE_PGM_RSRC3_GFX90A:ACCUM_OFFSET: 0
; COMPUTE_PGM_RSRC3_GFX90A:TG_SPLIT: 0
	.section	.text._ZN7rocprim17ROCPRIM_400000_NS6detail17trampoline_kernelINS0_14default_configENS1_22reduce_config_selectorIN6thrust23THRUST_200600_302600_NS5tupleIblNS6_9null_typeES8_S8_S8_S8_S8_S8_S8_EEEEZNS1_11reduce_implILb1ES3_PS9_SC_S9_NS6_11hip_rocprim9__find_if7functorIS9_EEEE10hipError_tPvRmT1_T2_T3_mT4_P12ihipStream_tbEUlT_E1_NS1_11comp_targetILNS1_3genE2ELNS1_11target_archE906ELNS1_3gpuE6ELNS1_3repE0EEENS1_30default_config_static_selectorELNS0_4arch9wavefront6targetE1EEEvSK_,"axG",@progbits,_ZN7rocprim17ROCPRIM_400000_NS6detail17trampoline_kernelINS0_14default_configENS1_22reduce_config_selectorIN6thrust23THRUST_200600_302600_NS5tupleIblNS6_9null_typeES8_S8_S8_S8_S8_S8_S8_EEEEZNS1_11reduce_implILb1ES3_PS9_SC_S9_NS6_11hip_rocprim9__find_if7functorIS9_EEEE10hipError_tPvRmT1_T2_T3_mT4_P12ihipStream_tbEUlT_E1_NS1_11comp_targetILNS1_3genE2ELNS1_11target_archE906ELNS1_3gpuE6ELNS1_3repE0EEENS1_30default_config_static_selectorELNS0_4arch9wavefront6targetE1EEEvSK_,comdat
	.protected	_ZN7rocprim17ROCPRIM_400000_NS6detail17trampoline_kernelINS0_14default_configENS1_22reduce_config_selectorIN6thrust23THRUST_200600_302600_NS5tupleIblNS6_9null_typeES8_S8_S8_S8_S8_S8_S8_EEEEZNS1_11reduce_implILb1ES3_PS9_SC_S9_NS6_11hip_rocprim9__find_if7functorIS9_EEEE10hipError_tPvRmT1_T2_T3_mT4_P12ihipStream_tbEUlT_E1_NS1_11comp_targetILNS1_3genE2ELNS1_11target_archE906ELNS1_3gpuE6ELNS1_3repE0EEENS1_30default_config_static_selectorELNS0_4arch9wavefront6targetE1EEEvSK_ ; -- Begin function _ZN7rocprim17ROCPRIM_400000_NS6detail17trampoline_kernelINS0_14default_configENS1_22reduce_config_selectorIN6thrust23THRUST_200600_302600_NS5tupleIblNS6_9null_typeES8_S8_S8_S8_S8_S8_S8_EEEEZNS1_11reduce_implILb1ES3_PS9_SC_S9_NS6_11hip_rocprim9__find_if7functorIS9_EEEE10hipError_tPvRmT1_T2_T3_mT4_P12ihipStream_tbEUlT_E1_NS1_11comp_targetILNS1_3genE2ELNS1_11target_archE906ELNS1_3gpuE6ELNS1_3repE0EEENS1_30default_config_static_selectorELNS0_4arch9wavefront6targetE1EEEvSK_
	.globl	_ZN7rocprim17ROCPRIM_400000_NS6detail17trampoline_kernelINS0_14default_configENS1_22reduce_config_selectorIN6thrust23THRUST_200600_302600_NS5tupleIblNS6_9null_typeES8_S8_S8_S8_S8_S8_S8_EEEEZNS1_11reduce_implILb1ES3_PS9_SC_S9_NS6_11hip_rocprim9__find_if7functorIS9_EEEE10hipError_tPvRmT1_T2_T3_mT4_P12ihipStream_tbEUlT_E1_NS1_11comp_targetILNS1_3genE2ELNS1_11target_archE906ELNS1_3gpuE6ELNS1_3repE0EEENS1_30default_config_static_selectorELNS0_4arch9wavefront6targetE1EEEvSK_
	.p2align	8
	.type	_ZN7rocprim17ROCPRIM_400000_NS6detail17trampoline_kernelINS0_14default_configENS1_22reduce_config_selectorIN6thrust23THRUST_200600_302600_NS5tupleIblNS6_9null_typeES8_S8_S8_S8_S8_S8_S8_EEEEZNS1_11reduce_implILb1ES3_PS9_SC_S9_NS6_11hip_rocprim9__find_if7functorIS9_EEEE10hipError_tPvRmT1_T2_T3_mT4_P12ihipStream_tbEUlT_E1_NS1_11comp_targetILNS1_3genE2ELNS1_11target_archE906ELNS1_3gpuE6ELNS1_3repE0EEENS1_30default_config_static_selectorELNS0_4arch9wavefront6targetE1EEEvSK_,@function
_ZN7rocprim17ROCPRIM_400000_NS6detail17trampoline_kernelINS0_14default_configENS1_22reduce_config_selectorIN6thrust23THRUST_200600_302600_NS5tupleIblNS6_9null_typeES8_S8_S8_S8_S8_S8_S8_EEEEZNS1_11reduce_implILb1ES3_PS9_SC_S9_NS6_11hip_rocprim9__find_if7functorIS9_EEEE10hipError_tPvRmT1_T2_T3_mT4_P12ihipStream_tbEUlT_E1_NS1_11comp_targetILNS1_3genE2ELNS1_11target_archE906ELNS1_3gpuE6ELNS1_3repE0EEENS1_30default_config_static_selectorELNS0_4arch9wavefront6targetE1EEEvSK_: ; @_ZN7rocprim17ROCPRIM_400000_NS6detail17trampoline_kernelINS0_14default_configENS1_22reduce_config_selectorIN6thrust23THRUST_200600_302600_NS5tupleIblNS6_9null_typeES8_S8_S8_S8_S8_S8_S8_EEEEZNS1_11reduce_implILb1ES3_PS9_SC_S9_NS6_11hip_rocprim9__find_if7functorIS9_EEEE10hipError_tPvRmT1_T2_T3_mT4_P12ihipStream_tbEUlT_E1_NS1_11comp_targetILNS1_3genE2ELNS1_11target_archE906ELNS1_3gpuE6ELNS1_3repE0EEENS1_30default_config_static_selectorELNS0_4arch9wavefront6targetE1EEEvSK_
; %bb.0:
	.section	.rodata,"a",@progbits
	.p2align	6, 0x0
	.amdhsa_kernel _ZN7rocprim17ROCPRIM_400000_NS6detail17trampoline_kernelINS0_14default_configENS1_22reduce_config_selectorIN6thrust23THRUST_200600_302600_NS5tupleIblNS6_9null_typeES8_S8_S8_S8_S8_S8_S8_EEEEZNS1_11reduce_implILb1ES3_PS9_SC_S9_NS6_11hip_rocprim9__find_if7functorIS9_EEEE10hipError_tPvRmT1_T2_T3_mT4_P12ihipStream_tbEUlT_E1_NS1_11comp_targetILNS1_3genE2ELNS1_11target_archE906ELNS1_3gpuE6ELNS1_3repE0EEENS1_30default_config_static_selectorELNS0_4arch9wavefront6targetE1EEEvSK_
		.amdhsa_group_segment_fixed_size 0
		.amdhsa_private_segment_fixed_size 0
		.amdhsa_kernarg_size 56
		.amdhsa_user_sgpr_count 6
		.amdhsa_user_sgpr_private_segment_buffer 1
		.amdhsa_user_sgpr_dispatch_ptr 0
		.amdhsa_user_sgpr_queue_ptr 0
		.amdhsa_user_sgpr_kernarg_segment_ptr 1
		.amdhsa_user_sgpr_dispatch_id 0
		.amdhsa_user_sgpr_flat_scratch_init 0
		.amdhsa_user_sgpr_kernarg_preload_length 0
		.amdhsa_user_sgpr_kernarg_preload_offset 0
		.amdhsa_user_sgpr_private_segment_size 0
		.amdhsa_uses_dynamic_stack 0
		.amdhsa_system_sgpr_private_segment_wavefront_offset 0
		.amdhsa_system_sgpr_workgroup_id_x 1
		.amdhsa_system_sgpr_workgroup_id_y 0
		.amdhsa_system_sgpr_workgroup_id_z 0
		.amdhsa_system_sgpr_workgroup_info 0
		.amdhsa_system_vgpr_workitem_id 0
		.amdhsa_next_free_vgpr 1
		.amdhsa_next_free_sgpr 0
		.amdhsa_accum_offset 4
		.amdhsa_reserve_vcc 0
		.amdhsa_reserve_flat_scratch 0
		.amdhsa_float_round_mode_32 0
		.amdhsa_float_round_mode_16_64 0
		.amdhsa_float_denorm_mode_32 3
		.amdhsa_float_denorm_mode_16_64 3
		.amdhsa_dx10_clamp 1
		.amdhsa_ieee_mode 1
		.amdhsa_fp16_overflow 0
		.amdhsa_tg_split 0
		.amdhsa_exception_fp_ieee_invalid_op 0
		.amdhsa_exception_fp_denorm_src 0
		.amdhsa_exception_fp_ieee_div_zero 0
		.amdhsa_exception_fp_ieee_overflow 0
		.amdhsa_exception_fp_ieee_underflow 0
		.amdhsa_exception_fp_ieee_inexact 0
		.amdhsa_exception_int_div_zero 0
	.end_amdhsa_kernel
	.section	.text._ZN7rocprim17ROCPRIM_400000_NS6detail17trampoline_kernelINS0_14default_configENS1_22reduce_config_selectorIN6thrust23THRUST_200600_302600_NS5tupleIblNS6_9null_typeES8_S8_S8_S8_S8_S8_S8_EEEEZNS1_11reduce_implILb1ES3_PS9_SC_S9_NS6_11hip_rocprim9__find_if7functorIS9_EEEE10hipError_tPvRmT1_T2_T3_mT4_P12ihipStream_tbEUlT_E1_NS1_11comp_targetILNS1_3genE2ELNS1_11target_archE906ELNS1_3gpuE6ELNS1_3repE0EEENS1_30default_config_static_selectorELNS0_4arch9wavefront6targetE1EEEvSK_,"axG",@progbits,_ZN7rocprim17ROCPRIM_400000_NS6detail17trampoline_kernelINS0_14default_configENS1_22reduce_config_selectorIN6thrust23THRUST_200600_302600_NS5tupleIblNS6_9null_typeES8_S8_S8_S8_S8_S8_S8_EEEEZNS1_11reduce_implILb1ES3_PS9_SC_S9_NS6_11hip_rocprim9__find_if7functorIS9_EEEE10hipError_tPvRmT1_T2_T3_mT4_P12ihipStream_tbEUlT_E1_NS1_11comp_targetILNS1_3genE2ELNS1_11target_archE906ELNS1_3gpuE6ELNS1_3repE0EEENS1_30default_config_static_selectorELNS0_4arch9wavefront6targetE1EEEvSK_,comdat
.Lfunc_end32:
	.size	_ZN7rocprim17ROCPRIM_400000_NS6detail17trampoline_kernelINS0_14default_configENS1_22reduce_config_selectorIN6thrust23THRUST_200600_302600_NS5tupleIblNS6_9null_typeES8_S8_S8_S8_S8_S8_S8_EEEEZNS1_11reduce_implILb1ES3_PS9_SC_S9_NS6_11hip_rocprim9__find_if7functorIS9_EEEE10hipError_tPvRmT1_T2_T3_mT4_P12ihipStream_tbEUlT_E1_NS1_11comp_targetILNS1_3genE2ELNS1_11target_archE906ELNS1_3gpuE6ELNS1_3repE0EEENS1_30default_config_static_selectorELNS0_4arch9wavefront6targetE1EEEvSK_, .Lfunc_end32-_ZN7rocprim17ROCPRIM_400000_NS6detail17trampoline_kernelINS0_14default_configENS1_22reduce_config_selectorIN6thrust23THRUST_200600_302600_NS5tupleIblNS6_9null_typeES8_S8_S8_S8_S8_S8_S8_EEEEZNS1_11reduce_implILb1ES3_PS9_SC_S9_NS6_11hip_rocprim9__find_if7functorIS9_EEEE10hipError_tPvRmT1_T2_T3_mT4_P12ihipStream_tbEUlT_E1_NS1_11comp_targetILNS1_3genE2ELNS1_11target_archE906ELNS1_3gpuE6ELNS1_3repE0EEENS1_30default_config_static_selectorELNS0_4arch9wavefront6targetE1EEEvSK_
                                        ; -- End function
	.section	.AMDGPU.csdata,"",@progbits
; Kernel info:
; codeLenInByte = 0
; NumSgprs: 4
; NumVgprs: 0
; NumAgprs: 0
; TotalNumVgprs: 0
; ScratchSize: 0
; MemoryBound: 0
; FloatMode: 240
; IeeeMode: 1
; LDSByteSize: 0 bytes/workgroup (compile time only)
; SGPRBlocks: 0
; VGPRBlocks: 0
; NumSGPRsForWavesPerEU: 4
; NumVGPRsForWavesPerEU: 1
; AccumOffset: 4
; Occupancy: 8
; WaveLimiterHint : 0
; COMPUTE_PGM_RSRC2:SCRATCH_EN: 0
; COMPUTE_PGM_RSRC2:USER_SGPR: 6
; COMPUTE_PGM_RSRC2:TRAP_HANDLER: 0
; COMPUTE_PGM_RSRC2:TGID_X_EN: 1
; COMPUTE_PGM_RSRC2:TGID_Y_EN: 0
; COMPUTE_PGM_RSRC2:TGID_Z_EN: 0
; COMPUTE_PGM_RSRC2:TIDIG_COMP_CNT: 0
; COMPUTE_PGM_RSRC3_GFX90A:ACCUM_OFFSET: 0
; COMPUTE_PGM_RSRC3_GFX90A:TG_SPLIT: 0
	.section	.text._ZN7rocprim17ROCPRIM_400000_NS6detail17trampoline_kernelINS0_14default_configENS1_22reduce_config_selectorIN6thrust23THRUST_200600_302600_NS5tupleIblNS6_9null_typeES8_S8_S8_S8_S8_S8_S8_EEEEZNS1_11reduce_implILb1ES3_PS9_SC_S9_NS6_11hip_rocprim9__find_if7functorIS9_EEEE10hipError_tPvRmT1_T2_T3_mT4_P12ihipStream_tbEUlT_E1_NS1_11comp_targetILNS1_3genE10ELNS1_11target_archE1201ELNS1_3gpuE5ELNS1_3repE0EEENS1_30default_config_static_selectorELNS0_4arch9wavefront6targetE1EEEvSK_,"axG",@progbits,_ZN7rocprim17ROCPRIM_400000_NS6detail17trampoline_kernelINS0_14default_configENS1_22reduce_config_selectorIN6thrust23THRUST_200600_302600_NS5tupleIblNS6_9null_typeES8_S8_S8_S8_S8_S8_S8_EEEEZNS1_11reduce_implILb1ES3_PS9_SC_S9_NS6_11hip_rocprim9__find_if7functorIS9_EEEE10hipError_tPvRmT1_T2_T3_mT4_P12ihipStream_tbEUlT_E1_NS1_11comp_targetILNS1_3genE10ELNS1_11target_archE1201ELNS1_3gpuE5ELNS1_3repE0EEENS1_30default_config_static_selectorELNS0_4arch9wavefront6targetE1EEEvSK_,comdat
	.protected	_ZN7rocprim17ROCPRIM_400000_NS6detail17trampoline_kernelINS0_14default_configENS1_22reduce_config_selectorIN6thrust23THRUST_200600_302600_NS5tupleIblNS6_9null_typeES8_S8_S8_S8_S8_S8_S8_EEEEZNS1_11reduce_implILb1ES3_PS9_SC_S9_NS6_11hip_rocprim9__find_if7functorIS9_EEEE10hipError_tPvRmT1_T2_T3_mT4_P12ihipStream_tbEUlT_E1_NS1_11comp_targetILNS1_3genE10ELNS1_11target_archE1201ELNS1_3gpuE5ELNS1_3repE0EEENS1_30default_config_static_selectorELNS0_4arch9wavefront6targetE1EEEvSK_ ; -- Begin function _ZN7rocprim17ROCPRIM_400000_NS6detail17trampoline_kernelINS0_14default_configENS1_22reduce_config_selectorIN6thrust23THRUST_200600_302600_NS5tupleIblNS6_9null_typeES8_S8_S8_S8_S8_S8_S8_EEEEZNS1_11reduce_implILb1ES3_PS9_SC_S9_NS6_11hip_rocprim9__find_if7functorIS9_EEEE10hipError_tPvRmT1_T2_T3_mT4_P12ihipStream_tbEUlT_E1_NS1_11comp_targetILNS1_3genE10ELNS1_11target_archE1201ELNS1_3gpuE5ELNS1_3repE0EEENS1_30default_config_static_selectorELNS0_4arch9wavefront6targetE1EEEvSK_
	.globl	_ZN7rocprim17ROCPRIM_400000_NS6detail17trampoline_kernelINS0_14default_configENS1_22reduce_config_selectorIN6thrust23THRUST_200600_302600_NS5tupleIblNS6_9null_typeES8_S8_S8_S8_S8_S8_S8_EEEEZNS1_11reduce_implILb1ES3_PS9_SC_S9_NS6_11hip_rocprim9__find_if7functorIS9_EEEE10hipError_tPvRmT1_T2_T3_mT4_P12ihipStream_tbEUlT_E1_NS1_11comp_targetILNS1_3genE10ELNS1_11target_archE1201ELNS1_3gpuE5ELNS1_3repE0EEENS1_30default_config_static_selectorELNS0_4arch9wavefront6targetE1EEEvSK_
	.p2align	8
	.type	_ZN7rocprim17ROCPRIM_400000_NS6detail17trampoline_kernelINS0_14default_configENS1_22reduce_config_selectorIN6thrust23THRUST_200600_302600_NS5tupleIblNS6_9null_typeES8_S8_S8_S8_S8_S8_S8_EEEEZNS1_11reduce_implILb1ES3_PS9_SC_S9_NS6_11hip_rocprim9__find_if7functorIS9_EEEE10hipError_tPvRmT1_T2_T3_mT4_P12ihipStream_tbEUlT_E1_NS1_11comp_targetILNS1_3genE10ELNS1_11target_archE1201ELNS1_3gpuE5ELNS1_3repE0EEENS1_30default_config_static_selectorELNS0_4arch9wavefront6targetE1EEEvSK_,@function
_ZN7rocprim17ROCPRIM_400000_NS6detail17trampoline_kernelINS0_14default_configENS1_22reduce_config_selectorIN6thrust23THRUST_200600_302600_NS5tupleIblNS6_9null_typeES8_S8_S8_S8_S8_S8_S8_EEEEZNS1_11reduce_implILb1ES3_PS9_SC_S9_NS6_11hip_rocprim9__find_if7functorIS9_EEEE10hipError_tPvRmT1_T2_T3_mT4_P12ihipStream_tbEUlT_E1_NS1_11comp_targetILNS1_3genE10ELNS1_11target_archE1201ELNS1_3gpuE5ELNS1_3repE0EEENS1_30default_config_static_selectorELNS0_4arch9wavefront6targetE1EEEvSK_: ; @_ZN7rocprim17ROCPRIM_400000_NS6detail17trampoline_kernelINS0_14default_configENS1_22reduce_config_selectorIN6thrust23THRUST_200600_302600_NS5tupleIblNS6_9null_typeES8_S8_S8_S8_S8_S8_S8_EEEEZNS1_11reduce_implILb1ES3_PS9_SC_S9_NS6_11hip_rocprim9__find_if7functorIS9_EEEE10hipError_tPvRmT1_T2_T3_mT4_P12ihipStream_tbEUlT_E1_NS1_11comp_targetILNS1_3genE10ELNS1_11target_archE1201ELNS1_3gpuE5ELNS1_3repE0EEENS1_30default_config_static_selectorELNS0_4arch9wavefront6targetE1EEEvSK_
; %bb.0:
	.section	.rodata,"a",@progbits
	.p2align	6, 0x0
	.amdhsa_kernel _ZN7rocprim17ROCPRIM_400000_NS6detail17trampoline_kernelINS0_14default_configENS1_22reduce_config_selectorIN6thrust23THRUST_200600_302600_NS5tupleIblNS6_9null_typeES8_S8_S8_S8_S8_S8_S8_EEEEZNS1_11reduce_implILb1ES3_PS9_SC_S9_NS6_11hip_rocprim9__find_if7functorIS9_EEEE10hipError_tPvRmT1_T2_T3_mT4_P12ihipStream_tbEUlT_E1_NS1_11comp_targetILNS1_3genE10ELNS1_11target_archE1201ELNS1_3gpuE5ELNS1_3repE0EEENS1_30default_config_static_selectorELNS0_4arch9wavefront6targetE1EEEvSK_
		.amdhsa_group_segment_fixed_size 0
		.amdhsa_private_segment_fixed_size 0
		.amdhsa_kernarg_size 56
		.amdhsa_user_sgpr_count 6
		.amdhsa_user_sgpr_private_segment_buffer 1
		.amdhsa_user_sgpr_dispatch_ptr 0
		.amdhsa_user_sgpr_queue_ptr 0
		.amdhsa_user_sgpr_kernarg_segment_ptr 1
		.amdhsa_user_sgpr_dispatch_id 0
		.amdhsa_user_sgpr_flat_scratch_init 0
		.amdhsa_user_sgpr_kernarg_preload_length 0
		.amdhsa_user_sgpr_kernarg_preload_offset 0
		.amdhsa_user_sgpr_private_segment_size 0
		.amdhsa_uses_dynamic_stack 0
		.amdhsa_system_sgpr_private_segment_wavefront_offset 0
		.amdhsa_system_sgpr_workgroup_id_x 1
		.amdhsa_system_sgpr_workgroup_id_y 0
		.amdhsa_system_sgpr_workgroup_id_z 0
		.amdhsa_system_sgpr_workgroup_info 0
		.amdhsa_system_vgpr_workitem_id 0
		.amdhsa_next_free_vgpr 1
		.amdhsa_next_free_sgpr 0
		.amdhsa_accum_offset 4
		.amdhsa_reserve_vcc 0
		.amdhsa_reserve_flat_scratch 0
		.amdhsa_float_round_mode_32 0
		.amdhsa_float_round_mode_16_64 0
		.amdhsa_float_denorm_mode_32 3
		.amdhsa_float_denorm_mode_16_64 3
		.amdhsa_dx10_clamp 1
		.amdhsa_ieee_mode 1
		.amdhsa_fp16_overflow 0
		.amdhsa_tg_split 0
		.amdhsa_exception_fp_ieee_invalid_op 0
		.amdhsa_exception_fp_denorm_src 0
		.amdhsa_exception_fp_ieee_div_zero 0
		.amdhsa_exception_fp_ieee_overflow 0
		.amdhsa_exception_fp_ieee_underflow 0
		.amdhsa_exception_fp_ieee_inexact 0
		.amdhsa_exception_int_div_zero 0
	.end_amdhsa_kernel
	.section	.text._ZN7rocprim17ROCPRIM_400000_NS6detail17trampoline_kernelINS0_14default_configENS1_22reduce_config_selectorIN6thrust23THRUST_200600_302600_NS5tupleIblNS6_9null_typeES8_S8_S8_S8_S8_S8_S8_EEEEZNS1_11reduce_implILb1ES3_PS9_SC_S9_NS6_11hip_rocprim9__find_if7functorIS9_EEEE10hipError_tPvRmT1_T2_T3_mT4_P12ihipStream_tbEUlT_E1_NS1_11comp_targetILNS1_3genE10ELNS1_11target_archE1201ELNS1_3gpuE5ELNS1_3repE0EEENS1_30default_config_static_selectorELNS0_4arch9wavefront6targetE1EEEvSK_,"axG",@progbits,_ZN7rocprim17ROCPRIM_400000_NS6detail17trampoline_kernelINS0_14default_configENS1_22reduce_config_selectorIN6thrust23THRUST_200600_302600_NS5tupleIblNS6_9null_typeES8_S8_S8_S8_S8_S8_S8_EEEEZNS1_11reduce_implILb1ES3_PS9_SC_S9_NS6_11hip_rocprim9__find_if7functorIS9_EEEE10hipError_tPvRmT1_T2_T3_mT4_P12ihipStream_tbEUlT_E1_NS1_11comp_targetILNS1_3genE10ELNS1_11target_archE1201ELNS1_3gpuE5ELNS1_3repE0EEENS1_30default_config_static_selectorELNS0_4arch9wavefront6targetE1EEEvSK_,comdat
.Lfunc_end33:
	.size	_ZN7rocprim17ROCPRIM_400000_NS6detail17trampoline_kernelINS0_14default_configENS1_22reduce_config_selectorIN6thrust23THRUST_200600_302600_NS5tupleIblNS6_9null_typeES8_S8_S8_S8_S8_S8_S8_EEEEZNS1_11reduce_implILb1ES3_PS9_SC_S9_NS6_11hip_rocprim9__find_if7functorIS9_EEEE10hipError_tPvRmT1_T2_T3_mT4_P12ihipStream_tbEUlT_E1_NS1_11comp_targetILNS1_3genE10ELNS1_11target_archE1201ELNS1_3gpuE5ELNS1_3repE0EEENS1_30default_config_static_selectorELNS0_4arch9wavefront6targetE1EEEvSK_, .Lfunc_end33-_ZN7rocprim17ROCPRIM_400000_NS6detail17trampoline_kernelINS0_14default_configENS1_22reduce_config_selectorIN6thrust23THRUST_200600_302600_NS5tupleIblNS6_9null_typeES8_S8_S8_S8_S8_S8_S8_EEEEZNS1_11reduce_implILb1ES3_PS9_SC_S9_NS6_11hip_rocprim9__find_if7functorIS9_EEEE10hipError_tPvRmT1_T2_T3_mT4_P12ihipStream_tbEUlT_E1_NS1_11comp_targetILNS1_3genE10ELNS1_11target_archE1201ELNS1_3gpuE5ELNS1_3repE0EEENS1_30default_config_static_selectorELNS0_4arch9wavefront6targetE1EEEvSK_
                                        ; -- End function
	.section	.AMDGPU.csdata,"",@progbits
; Kernel info:
; codeLenInByte = 0
; NumSgprs: 4
; NumVgprs: 0
; NumAgprs: 0
; TotalNumVgprs: 0
; ScratchSize: 0
; MemoryBound: 0
; FloatMode: 240
; IeeeMode: 1
; LDSByteSize: 0 bytes/workgroup (compile time only)
; SGPRBlocks: 0
; VGPRBlocks: 0
; NumSGPRsForWavesPerEU: 4
; NumVGPRsForWavesPerEU: 1
; AccumOffset: 4
; Occupancy: 8
; WaveLimiterHint : 0
; COMPUTE_PGM_RSRC2:SCRATCH_EN: 0
; COMPUTE_PGM_RSRC2:USER_SGPR: 6
; COMPUTE_PGM_RSRC2:TRAP_HANDLER: 0
; COMPUTE_PGM_RSRC2:TGID_X_EN: 1
; COMPUTE_PGM_RSRC2:TGID_Y_EN: 0
; COMPUTE_PGM_RSRC2:TGID_Z_EN: 0
; COMPUTE_PGM_RSRC2:TIDIG_COMP_CNT: 0
; COMPUTE_PGM_RSRC3_GFX90A:ACCUM_OFFSET: 0
; COMPUTE_PGM_RSRC3_GFX90A:TG_SPLIT: 0
	.section	.text._ZN7rocprim17ROCPRIM_400000_NS6detail17trampoline_kernelINS0_14default_configENS1_22reduce_config_selectorIN6thrust23THRUST_200600_302600_NS5tupleIblNS6_9null_typeES8_S8_S8_S8_S8_S8_S8_EEEEZNS1_11reduce_implILb1ES3_PS9_SC_S9_NS6_11hip_rocprim9__find_if7functorIS9_EEEE10hipError_tPvRmT1_T2_T3_mT4_P12ihipStream_tbEUlT_E1_NS1_11comp_targetILNS1_3genE10ELNS1_11target_archE1200ELNS1_3gpuE4ELNS1_3repE0EEENS1_30default_config_static_selectorELNS0_4arch9wavefront6targetE1EEEvSK_,"axG",@progbits,_ZN7rocprim17ROCPRIM_400000_NS6detail17trampoline_kernelINS0_14default_configENS1_22reduce_config_selectorIN6thrust23THRUST_200600_302600_NS5tupleIblNS6_9null_typeES8_S8_S8_S8_S8_S8_S8_EEEEZNS1_11reduce_implILb1ES3_PS9_SC_S9_NS6_11hip_rocprim9__find_if7functorIS9_EEEE10hipError_tPvRmT1_T2_T3_mT4_P12ihipStream_tbEUlT_E1_NS1_11comp_targetILNS1_3genE10ELNS1_11target_archE1200ELNS1_3gpuE4ELNS1_3repE0EEENS1_30default_config_static_selectorELNS0_4arch9wavefront6targetE1EEEvSK_,comdat
	.protected	_ZN7rocprim17ROCPRIM_400000_NS6detail17trampoline_kernelINS0_14default_configENS1_22reduce_config_selectorIN6thrust23THRUST_200600_302600_NS5tupleIblNS6_9null_typeES8_S8_S8_S8_S8_S8_S8_EEEEZNS1_11reduce_implILb1ES3_PS9_SC_S9_NS6_11hip_rocprim9__find_if7functorIS9_EEEE10hipError_tPvRmT1_T2_T3_mT4_P12ihipStream_tbEUlT_E1_NS1_11comp_targetILNS1_3genE10ELNS1_11target_archE1200ELNS1_3gpuE4ELNS1_3repE0EEENS1_30default_config_static_selectorELNS0_4arch9wavefront6targetE1EEEvSK_ ; -- Begin function _ZN7rocprim17ROCPRIM_400000_NS6detail17trampoline_kernelINS0_14default_configENS1_22reduce_config_selectorIN6thrust23THRUST_200600_302600_NS5tupleIblNS6_9null_typeES8_S8_S8_S8_S8_S8_S8_EEEEZNS1_11reduce_implILb1ES3_PS9_SC_S9_NS6_11hip_rocprim9__find_if7functorIS9_EEEE10hipError_tPvRmT1_T2_T3_mT4_P12ihipStream_tbEUlT_E1_NS1_11comp_targetILNS1_3genE10ELNS1_11target_archE1200ELNS1_3gpuE4ELNS1_3repE0EEENS1_30default_config_static_selectorELNS0_4arch9wavefront6targetE1EEEvSK_
	.globl	_ZN7rocprim17ROCPRIM_400000_NS6detail17trampoline_kernelINS0_14default_configENS1_22reduce_config_selectorIN6thrust23THRUST_200600_302600_NS5tupleIblNS6_9null_typeES8_S8_S8_S8_S8_S8_S8_EEEEZNS1_11reduce_implILb1ES3_PS9_SC_S9_NS6_11hip_rocprim9__find_if7functorIS9_EEEE10hipError_tPvRmT1_T2_T3_mT4_P12ihipStream_tbEUlT_E1_NS1_11comp_targetILNS1_3genE10ELNS1_11target_archE1200ELNS1_3gpuE4ELNS1_3repE0EEENS1_30default_config_static_selectorELNS0_4arch9wavefront6targetE1EEEvSK_
	.p2align	8
	.type	_ZN7rocprim17ROCPRIM_400000_NS6detail17trampoline_kernelINS0_14default_configENS1_22reduce_config_selectorIN6thrust23THRUST_200600_302600_NS5tupleIblNS6_9null_typeES8_S8_S8_S8_S8_S8_S8_EEEEZNS1_11reduce_implILb1ES3_PS9_SC_S9_NS6_11hip_rocprim9__find_if7functorIS9_EEEE10hipError_tPvRmT1_T2_T3_mT4_P12ihipStream_tbEUlT_E1_NS1_11comp_targetILNS1_3genE10ELNS1_11target_archE1200ELNS1_3gpuE4ELNS1_3repE0EEENS1_30default_config_static_selectorELNS0_4arch9wavefront6targetE1EEEvSK_,@function
_ZN7rocprim17ROCPRIM_400000_NS6detail17trampoline_kernelINS0_14default_configENS1_22reduce_config_selectorIN6thrust23THRUST_200600_302600_NS5tupleIblNS6_9null_typeES8_S8_S8_S8_S8_S8_S8_EEEEZNS1_11reduce_implILb1ES3_PS9_SC_S9_NS6_11hip_rocprim9__find_if7functorIS9_EEEE10hipError_tPvRmT1_T2_T3_mT4_P12ihipStream_tbEUlT_E1_NS1_11comp_targetILNS1_3genE10ELNS1_11target_archE1200ELNS1_3gpuE4ELNS1_3repE0EEENS1_30default_config_static_selectorELNS0_4arch9wavefront6targetE1EEEvSK_: ; @_ZN7rocprim17ROCPRIM_400000_NS6detail17trampoline_kernelINS0_14default_configENS1_22reduce_config_selectorIN6thrust23THRUST_200600_302600_NS5tupleIblNS6_9null_typeES8_S8_S8_S8_S8_S8_S8_EEEEZNS1_11reduce_implILb1ES3_PS9_SC_S9_NS6_11hip_rocprim9__find_if7functorIS9_EEEE10hipError_tPvRmT1_T2_T3_mT4_P12ihipStream_tbEUlT_E1_NS1_11comp_targetILNS1_3genE10ELNS1_11target_archE1200ELNS1_3gpuE4ELNS1_3repE0EEENS1_30default_config_static_selectorELNS0_4arch9wavefront6targetE1EEEvSK_
; %bb.0:
	.section	.rodata,"a",@progbits
	.p2align	6, 0x0
	.amdhsa_kernel _ZN7rocprim17ROCPRIM_400000_NS6detail17trampoline_kernelINS0_14default_configENS1_22reduce_config_selectorIN6thrust23THRUST_200600_302600_NS5tupleIblNS6_9null_typeES8_S8_S8_S8_S8_S8_S8_EEEEZNS1_11reduce_implILb1ES3_PS9_SC_S9_NS6_11hip_rocprim9__find_if7functorIS9_EEEE10hipError_tPvRmT1_T2_T3_mT4_P12ihipStream_tbEUlT_E1_NS1_11comp_targetILNS1_3genE10ELNS1_11target_archE1200ELNS1_3gpuE4ELNS1_3repE0EEENS1_30default_config_static_selectorELNS0_4arch9wavefront6targetE1EEEvSK_
		.amdhsa_group_segment_fixed_size 0
		.amdhsa_private_segment_fixed_size 0
		.amdhsa_kernarg_size 56
		.amdhsa_user_sgpr_count 6
		.amdhsa_user_sgpr_private_segment_buffer 1
		.amdhsa_user_sgpr_dispatch_ptr 0
		.amdhsa_user_sgpr_queue_ptr 0
		.amdhsa_user_sgpr_kernarg_segment_ptr 1
		.amdhsa_user_sgpr_dispatch_id 0
		.amdhsa_user_sgpr_flat_scratch_init 0
		.amdhsa_user_sgpr_kernarg_preload_length 0
		.amdhsa_user_sgpr_kernarg_preload_offset 0
		.amdhsa_user_sgpr_private_segment_size 0
		.amdhsa_uses_dynamic_stack 0
		.amdhsa_system_sgpr_private_segment_wavefront_offset 0
		.amdhsa_system_sgpr_workgroup_id_x 1
		.amdhsa_system_sgpr_workgroup_id_y 0
		.amdhsa_system_sgpr_workgroup_id_z 0
		.amdhsa_system_sgpr_workgroup_info 0
		.amdhsa_system_vgpr_workitem_id 0
		.amdhsa_next_free_vgpr 1
		.amdhsa_next_free_sgpr 0
		.amdhsa_accum_offset 4
		.amdhsa_reserve_vcc 0
		.amdhsa_reserve_flat_scratch 0
		.amdhsa_float_round_mode_32 0
		.amdhsa_float_round_mode_16_64 0
		.amdhsa_float_denorm_mode_32 3
		.amdhsa_float_denorm_mode_16_64 3
		.amdhsa_dx10_clamp 1
		.amdhsa_ieee_mode 1
		.amdhsa_fp16_overflow 0
		.amdhsa_tg_split 0
		.amdhsa_exception_fp_ieee_invalid_op 0
		.amdhsa_exception_fp_denorm_src 0
		.amdhsa_exception_fp_ieee_div_zero 0
		.amdhsa_exception_fp_ieee_overflow 0
		.amdhsa_exception_fp_ieee_underflow 0
		.amdhsa_exception_fp_ieee_inexact 0
		.amdhsa_exception_int_div_zero 0
	.end_amdhsa_kernel
	.section	.text._ZN7rocprim17ROCPRIM_400000_NS6detail17trampoline_kernelINS0_14default_configENS1_22reduce_config_selectorIN6thrust23THRUST_200600_302600_NS5tupleIblNS6_9null_typeES8_S8_S8_S8_S8_S8_S8_EEEEZNS1_11reduce_implILb1ES3_PS9_SC_S9_NS6_11hip_rocprim9__find_if7functorIS9_EEEE10hipError_tPvRmT1_T2_T3_mT4_P12ihipStream_tbEUlT_E1_NS1_11comp_targetILNS1_3genE10ELNS1_11target_archE1200ELNS1_3gpuE4ELNS1_3repE0EEENS1_30default_config_static_selectorELNS0_4arch9wavefront6targetE1EEEvSK_,"axG",@progbits,_ZN7rocprim17ROCPRIM_400000_NS6detail17trampoline_kernelINS0_14default_configENS1_22reduce_config_selectorIN6thrust23THRUST_200600_302600_NS5tupleIblNS6_9null_typeES8_S8_S8_S8_S8_S8_S8_EEEEZNS1_11reduce_implILb1ES3_PS9_SC_S9_NS6_11hip_rocprim9__find_if7functorIS9_EEEE10hipError_tPvRmT1_T2_T3_mT4_P12ihipStream_tbEUlT_E1_NS1_11comp_targetILNS1_3genE10ELNS1_11target_archE1200ELNS1_3gpuE4ELNS1_3repE0EEENS1_30default_config_static_selectorELNS0_4arch9wavefront6targetE1EEEvSK_,comdat
.Lfunc_end34:
	.size	_ZN7rocprim17ROCPRIM_400000_NS6detail17trampoline_kernelINS0_14default_configENS1_22reduce_config_selectorIN6thrust23THRUST_200600_302600_NS5tupleIblNS6_9null_typeES8_S8_S8_S8_S8_S8_S8_EEEEZNS1_11reduce_implILb1ES3_PS9_SC_S9_NS6_11hip_rocprim9__find_if7functorIS9_EEEE10hipError_tPvRmT1_T2_T3_mT4_P12ihipStream_tbEUlT_E1_NS1_11comp_targetILNS1_3genE10ELNS1_11target_archE1200ELNS1_3gpuE4ELNS1_3repE0EEENS1_30default_config_static_selectorELNS0_4arch9wavefront6targetE1EEEvSK_, .Lfunc_end34-_ZN7rocprim17ROCPRIM_400000_NS6detail17trampoline_kernelINS0_14default_configENS1_22reduce_config_selectorIN6thrust23THRUST_200600_302600_NS5tupleIblNS6_9null_typeES8_S8_S8_S8_S8_S8_S8_EEEEZNS1_11reduce_implILb1ES3_PS9_SC_S9_NS6_11hip_rocprim9__find_if7functorIS9_EEEE10hipError_tPvRmT1_T2_T3_mT4_P12ihipStream_tbEUlT_E1_NS1_11comp_targetILNS1_3genE10ELNS1_11target_archE1200ELNS1_3gpuE4ELNS1_3repE0EEENS1_30default_config_static_selectorELNS0_4arch9wavefront6targetE1EEEvSK_
                                        ; -- End function
	.section	.AMDGPU.csdata,"",@progbits
; Kernel info:
; codeLenInByte = 0
; NumSgprs: 4
; NumVgprs: 0
; NumAgprs: 0
; TotalNumVgprs: 0
; ScratchSize: 0
; MemoryBound: 0
; FloatMode: 240
; IeeeMode: 1
; LDSByteSize: 0 bytes/workgroup (compile time only)
; SGPRBlocks: 0
; VGPRBlocks: 0
; NumSGPRsForWavesPerEU: 4
; NumVGPRsForWavesPerEU: 1
; AccumOffset: 4
; Occupancy: 8
; WaveLimiterHint : 0
; COMPUTE_PGM_RSRC2:SCRATCH_EN: 0
; COMPUTE_PGM_RSRC2:USER_SGPR: 6
; COMPUTE_PGM_RSRC2:TRAP_HANDLER: 0
; COMPUTE_PGM_RSRC2:TGID_X_EN: 1
; COMPUTE_PGM_RSRC2:TGID_Y_EN: 0
; COMPUTE_PGM_RSRC2:TGID_Z_EN: 0
; COMPUTE_PGM_RSRC2:TIDIG_COMP_CNT: 0
; COMPUTE_PGM_RSRC3_GFX90A:ACCUM_OFFSET: 0
; COMPUTE_PGM_RSRC3_GFX90A:TG_SPLIT: 0
	.section	.text._ZN7rocprim17ROCPRIM_400000_NS6detail17trampoline_kernelINS0_14default_configENS1_22reduce_config_selectorIN6thrust23THRUST_200600_302600_NS5tupleIblNS6_9null_typeES8_S8_S8_S8_S8_S8_S8_EEEEZNS1_11reduce_implILb1ES3_PS9_SC_S9_NS6_11hip_rocprim9__find_if7functorIS9_EEEE10hipError_tPvRmT1_T2_T3_mT4_P12ihipStream_tbEUlT_E1_NS1_11comp_targetILNS1_3genE9ELNS1_11target_archE1100ELNS1_3gpuE3ELNS1_3repE0EEENS1_30default_config_static_selectorELNS0_4arch9wavefront6targetE1EEEvSK_,"axG",@progbits,_ZN7rocprim17ROCPRIM_400000_NS6detail17trampoline_kernelINS0_14default_configENS1_22reduce_config_selectorIN6thrust23THRUST_200600_302600_NS5tupleIblNS6_9null_typeES8_S8_S8_S8_S8_S8_S8_EEEEZNS1_11reduce_implILb1ES3_PS9_SC_S9_NS6_11hip_rocprim9__find_if7functorIS9_EEEE10hipError_tPvRmT1_T2_T3_mT4_P12ihipStream_tbEUlT_E1_NS1_11comp_targetILNS1_3genE9ELNS1_11target_archE1100ELNS1_3gpuE3ELNS1_3repE0EEENS1_30default_config_static_selectorELNS0_4arch9wavefront6targetE1EEEvSK_,comdat
	.protected	_ZN7rocprim17ROCPRIM_400000_NS6detail17trampoline_kernelINS0_14default_configENS1_22reduce_config_selectorIN6thrust23THRUST_200600_302600_NS5tupleIblNS6_9null_typeES8_S8_S8_S8_S8_S8_S8_EEEEZNS1_11reduce_implILb1ES3_PS9_SC_S9_NS6_11hip_rocprim9__find_if7functorIS9_EEEE10hipError_tPvRmT1_T2_T3_mT4_P12ihipStream_tbEUlT_E1_NS1_11comp_targetILNS1_3genE9ELNS1_11target_archE1100ELNS1_3gpuE3ELNS1_3repE0EEENS1_30default_config_static_selectorELNS0_4arch9wavefront6targetE1EEEvSK_ ; -- Begin function _ZN7rocprim17ROCPRIM_400000_NS6detail17trampoline_kernelINS0_14default_configENS1_22reduce_config_selectorIN6thrust23THRUST_200600_302600_NS5tupleIblNS6_9null_typeES8_S8_S8_S8_S8_S8_S8_EEEEZNS1_11reduce_implILb1ES3_PS9_SC_S9_NS6_11hip_rocprim9__find_if7functorIS9_EEEE10hipError_tPvRmT1_T2_T3_mT4_P12ihipStream_tbEUlT_E1_NS1_11comp_targetILNS1_3genE9ELNS1_11target_archE1100ELNS1_3gpuE3ELNS1_3repE0EEENS1_30default_config_static_selectorELNS0_4arch9wavefront6targetE1EEEvSK_
	.globl	_ZN7rocprim17ROCPRIM_400000_NS6detail17trampoline_kernelINS0_14default_configENS1_22reduce_config_selectorIN6thrust23THRUST_200600_302600_NS5tupleIblNS6_9null_typeES8_S8_S8_S8_S8_S8_S8_EEEEZNS1_11reduce_implILb1ES3_PS9_SC_S9_NS6_11hip_rocprim9__find_if7functorIS9_EEEE10hipError_tPvRmT1_T2_T3_mT4_P12ihipStream_tbEUlT_E1_NS1_11comp_targetILNS1_3genE9ELNS1_11target_archE1100ELNS1_3gpuE3ELNS1_3repE0EEENS1_30default_config_static_selectorELNS0_4arch9wavefront6targetE1EEEvSK_
	.p2align	8
	.type	_ZN7rocprim17ROCPRIM_400000_NS6detail17trampoline_kernelINS0_14default_configENS1_22reduce_config_selectorIN6thrust23THRUST_200600_302600_NS5tupleIblNS6_9null_typeES8_S8_S8_S8_S8_S8_S8_EEEEZNS1_11reduce_implILb1ES3_PS9_SC_S9_NS6_11hip_rocprim9__find_if7functorIS9_EEEE10hipError_tPvRmT1_T2_T3_mT4_P12ihipStream_tbEUlT_E1_NS1_11comp_targetILNS1_3genE9ELNS1_11target_archE1100ELNS1_3gpuE3ELNS1_3repE0EEENS1_30default_config_static_selectorELNS0_4arch9wavefront6targetE1EEEvSK_,@function
_ZN7rocprim17ROCPRIM_400000_NS6detail17trampoline_kernelINS0_14default_configENS1_22reduce_config_selectorIN6thrust23THRUST_200600_302600_NS5tupleIblNS6_9null_typeES8_S8_S8_S8_S8_S8_S8_EEEEZNS1_11reduce_implILb1ES3_PS9_SC_S9_NS6_11hip_rocprim9__find_if7functorIS9_EEEE10hipError_tPvRmT1_T2_T3_mT4_P12ihipStream_tbEUlT_E1_NS1_11comp_targetILNS1_3genE9ELNS1_11target_archE1100ELNS1_3gpuE3ELNS1_3repE0EEENS1_30default_config_static_selectorELNS0_4arch9wavefront6targetE1EEEvSK_: ; @_ZN7rocprim17ROCPRIM_400000_NS6detail17trampoline_kernelINS0_14default_configENS1_22reduce_config_selectorIN6thrust23THRUST_200600_302600_NS5tupleIblNS6_9null_typeES8_S8_S8_S8_S8_S8_S8_EEEEZNS1_11reduce_implILb1ES3_PS9_SC_S9_NS6_11hip_rocprim9__find_if7functorIS9_EEEE10hipError_tPvRmT1_T2_T3_mT4_P12ihipStream_tbEUlT_E1_NS1_11comp_targetILNS1_3genE9ELNS1_11target_archE1100ELNS1_3gpuE3ELNS1_3repE0EEENS1_30default_config_static_selectorELNS0_4arch9wavefront6targetE1EEEvSK_
; %bb.0:
	.section	.rodata,"a",@progbits
	.p2align	6, 0x0
	.amdhsa_kernel _ZN7rocprim17ROCPRIM_400000_NS6detail17trampoline_kernelINS0_14default_configENS1_22reduce_config_selectorIN6thrust23THRUST_200600_302600_NS5tupleIblNS6_9null_typeES8_S8_S8_S8_S8_S8_S8_EEEEZNS1_11reduce_implILb1ES3_PS9_SC_S9_NS6_11hip_rocprim9__find_if7functorIS9_EEEE10hipError_tPvRmT1_T2_T3_mT4_P12ihipStream_tbEUlT_E1_NS1_11comp_targetILNS1_3genE9ELNS1_11target_archE1100ELNS1_3gpuE3ELNS1_3repE0EEENS1_30default_config_static_selectorELNS0_4arch9wavefront6targetE1EEEvSK_
		.amdhsa_group_segment_fixed_size 0
		.amdhsa_private_segment_fixed_size 0
		.amdhsa_kernarg_size 56
		.amdhsa_user_sgpr_count 6
		.amdhsa_user_sgpr_private_segment_buffer 1
		.amdhsa_user_sgpr_dispatch_ptr 0
		.amdhsa_user_sgpr_queue_ptr 0
		.amdhsa_user_sgpr_kernarg_segment_ptr 1
		.amdhsa_user_sgpr_dispatch_id 0
		.amdhsa_user_sgpr_flat_scratch_init 0
		.amdhsa_user_sgpr_kernarg_preload_length 0
		.amdhsa_user_sgpr_kernarg_preload_offset 0
		.amdhsa_user_sgpr_private_segment_size 0
		.amdhsa_uses_dynamic_stack 0
		.amdhsa_system_sgpr_private_segment_wavefront_offset 0
		.amdhsa_system_sgpr_workgroup_id_x 1
		.amdhsa_system_sgpr_workgroup_id_y 0
		.amdhsa_system_sgpr_workgroup_id_z 0
		.amdhsa_system_sgpr_workgroup_info 0
		.amdhsa_system_vgpr_workitem_id 0
		.amdhsa_next_free_vgpr 1
		.amdhsa_next_free_sgpr 0
		.amdhsa_accum_offset 4
		.amdhsa_reserve_vcc 0
		.amdhsa_reserve_flat_scratch 0
		.amdhsa_float_round_mode_32 0
		.amdhsa_float_round_mode_16_64 0
		.amdhsa_float_denorm_mode_32 3
		.amdhsa_float_denorm_mode_16_64 3
		.amdhsa_dx10_clamp 1
		.amdhsa_ieee_mode 1
		.amdhsa_fp16_overflow 0
		.amdhsa_tg_split 0
		.amdhsa_exception_fp_ieee_invalid_op 0
		.amdhsa_exception_fp_denorm_src 0
		.amdhsa_exception_fp_ieee_div_zero 0
		.amdhsa_exception_fp_ieee_overflow 0
		.amdhsa_exception_fp_ieee_underflow 0
		.amdhsa_exception_fp_ieee_inexact 0
		.amdhsa_exception_int_div_zero 0
	.end_amdhsa_kernel
	.section	.text._ZN7rocprim17ROCPRIM_400000_NS6detail17trampoline_kernelINS0_14default_configENS1_22reduce_config_selectorIN6thrust23THRUST_200600_302600_NS5tupleIblNS6_9null_typeES8_S8_S8_S8_S8_S8_S8_EEEEZNS1_11reduce_implILb1ES3_PS9_SC_S9_NS6_11hip_rocprim9__find_if7functorIS9_EEEE10hipError_tPvRmT1_T2_T3_mT4_P12ihipStream_tbEUlT_E1_NS1_11comp_targetILNS1_3genE9ELNS1_11target_archE1100ELNS1_3gpuE3ELNS1_3repE0EEENS1_30default_config_static_selectorELNS0_4arch9wavefront6targetE1EEEvSK_,"axG",@progbits,_ZN7rocprim17ROCPRIM_400000_NS6detail17trampoline_kernelINS0_14default_configENS1_22reduce_config_selectorIN6thrust23THRUST_200600_302600_NS5tupleIblNS6_9null_typeES8_S8_S8_S8_S8_S8_S8_EEEEZNS1_11reduce_implILb1ES3_PS9_SC_S9_NS6_11hip_rocprim9__find_if7functorIS9_EEEE10hipError_tPvRmT1_T2_T3_mT4_P12ihipStream_tbEUlT_E1_NS1_11comp_targetILNS1_3genE9ELNS1_11target_archE1100ELNS1_3gpuE3ELNS1_3repE0EEENS1_30default_config_static_selectorELNS0_4arch9wavefront6targetE1EEEvSK_,comdat
.Lfunc_end35:
	.size	_ZN7rocprim17ROCPRIM_400000_NS6detail17trampoline_kernelINS0_14default_configENS1_22reduce_config_selectorIN6thrust23THRUST_200600_302600_NS5tupleIblNS6_9null_typeES8_S8_S8_S8_S8_S8_S8_EEEEZNS1_11reduce_implILb1ES3_PS9_SC_S9_NS6_11hip_rocprim9__find_if7functorIS9_EEEE10hipError_tPvRmT1_T2_T3_mT4_P12ihipStream_tbEUlT_E1_NS1_11comp_targetILNS1_3genE9ELNS1_11target_archE1100ELNS1_3gpuE3ELNS1_3repE0EEENS1_30default_config_static_selectorELNS0_4arch9wavefront6targetE1EEEvSK_, .Lfunc_end35-_ZN7rocprim17ROCPRIM_400000_NS6detail17trampoline_kernelINS0_14default_configENS1_22reduce_config_selectorIN6thrust23THRUST_200600_302600_NS5tupleIblNS6_9null_typeES8_S8_S8_S8_S8_S8_S8_EEEEZNS1_11reduce_implILb1ES3_PS9_SC_S9_NS6_11hip_rocprim9__find_if7functorIS9_EEEE10hipError_tPvRmT1_T2_T3_mT4_P12ihipStream_tbEUlT_E1_NS1_11comp_targetILNS1_3genE9ELNS1_11target_archE1100ELNS1_3gpuE3ELNS1_3repE0EEENS1_30default_config_static_selectorELNS0_4arch9wavefront6targetE1EEEvSK_
                                        ; -- End function
	.section	.AMDGPU.csdata,"",@progbits
; Kernel info:
; codeLenInByte = 0
; NumSgprs: 4
; NumVgprs: 0
; NumAgprs: 0
; TotalNumVgprs: 0
; ScratchSize: 0
; MemoryBound: 0
; FloatMode: 240
; IeeeMode: 1
; LDSByteSize: 0 bytes/workgroup (compile time only)
; SGPRBlocks: 0
; VGPRBlocks: 0
; NumSGPRsForWavesPerEU: 4
; NumVGPRsForWavesPerEU: 1
; AccumOffset: 4
; Occupancy: 8
; WaveLimiterHint : 0
; COMPUTE_PGM_RSRC2:SCRATCH_EN: 0
; COMPUTE_PGM_RSRC2:USER_SGPR: 6
; COMPUTE_PGM_RSRC2:TRAP_HANDLER: 0
; COMPUTE_PGM_RSRC2:TGID_X_EN: 1
; COMPUTE_PGM_RSRC2:TGID_Y_EN: 0
; COMPUTE_PGM_RSRC2:TGID_Z_EN: 0
; COMPUTE_PGM_RSRC2:TIDIG_COMP_CNT: 0
; COMPUTE_PGM_RSRC3_GFX90A:ACCUM_OFFSET: 0
; COMPUTE_PGM_RSRC3_GFX90A:TG_SPLIT: 0
	.section	.text._ZN7rocprim17ROCPRIM_400000_NS6detail17trampoline_kernelINS0_14default_configENS1_22reduce_config_selectorIN6thrust23THRUST_200600_302600_NS5tupleIblNS6_9null_typeES8_S8_S8_S8_S8_S8_S8_EEEEZNS1_11reduce_implILb1ES3_PS9_SC_S9_NS6_11hip_rocprim9__find_if7functorIS9_EEEE10hipError_tPvRmT1_T2_T3_mT4_P12ihipStream_tbEUlT_E1_NS1_11comp_targetILNS1_3genE8ELNS1_11target_archE1030ELNS1_3gpuE2ELNS1_3repE0EEENS1_30default_config_static_selectorELNS0_4arch9wavefront6targetE1EEEvSK_,"axG",@progbits,_ZN7rocprim17ROCPRIM_400000_NS6detail17trampoline_kernelINS0_14default_configENS1_22reduce_config_selectorIN6thrust23THRUST_200600_302600_NS5tupleIblNS6_9null_typeES8_S8_S8_S8_S8_S8_S8_EEEEZNS1_11reduce_implILb1ES3_PS9_SC_S9_NS6_11hip_rocprim9__find_if7functorIS9_EEEE10hipError_tPvRmT1_T2_T3_mT4_P12ihipStream_tbEUlT_E1_NS1_11comp_targetILNS1_3genE8ELNS1_11target_archE1030ELNS1_3gpuE2ELNS1_3repE0EEENS1_30default_config_static_selectorELNS0_4arch9wavefront6targetE1EEEvSK_,comdat
	.protected	_ZN7rocprim17ROCPRIM_400000_NS6detail17trampoline_kernelINS0_14default_configENS1_22reduce_config_selectorIN6thrust23THRUST_200600_302600_NS5tupleIblNS6_9null_typeES8_S8_S8_S8_S8_S8_S8_EEEEZNS1_11reduce_implILb1ES3_PS9_SC_S9_NS6_11hip_rocprim9__find_if7functorIS9_EEEE10hipError_tPvRmT1_T2_T3_mT4_P12ihipStream_tbEUlT_E1_NS1_11comp_targetILNS1_3genE8ELNS1_11target_archE1030ELNS1_3gpuE2ELNS1_3repE0EEENS1_30default_config_static_selectorELNS0_4arch9wavefront6targetE1EEEvSK_ ; -- Begin function _ZN7rocprim17ROCPRIM_400000_NS6detail17trampoline_kernelINS0_14default_configENS1_22reduce_config_selectorIN6thrust23THRUST_200600_302600_NS5tupleIblNS6_9null_typeES8_S8_S8_S8_S8_S8_S8_EEEEZNS1_11reduce_implILb1ES3_PS9_SC_S9_NS6_11hip_rocprim9__find_if7functorIS9_EEEE10hipError_tPvRmT1_T2_T3_mT4_P12ihipStream_tbEUlT_E1_NS1_11comp_targetILNS1_3genE8ELNS1_11target_archE1030ELNS1_3gpuE2ELNS1_3repE0EEENS1_30default_config_static_selectorELNS0_4arch9wavefront6targetE1EEEvSK_
	.globl	_ZN7rocprim17ROCPRIM_400000_NS6detail17trampoline_kernelINS0_14default_configENS1_22reduce_config_selectorIN6thrust23THRUST_200600_302600_NS5tupleIblNS6_9null_typeES8_S8_S8_S8_S8_S8_S8_EEEEZNS1_11reduce_implILb1ES3_PS9_SC_S9_NS6_11hip_rocprim9__find_if7functorIS9_EEEE10hipError_tPvRmT1_T2_T3_mT4_P12ihipStream_tbEUlT_E1_NS1_11comp_targetILNS1_3genE8ELNS1_11target_archE1030ELNS1_3gpuE2ELNS1_3repE0EEENS1_30default_config_static_selectorELNS0_4arch9wavefront6targetE1EEEvSK_
	.p2align	8
	.type	_ZN7rocprim17ROCPRIM_400000_NS6detail17trampoline_kernelINS0_14default_configENS1_22reduce_config_selectorIN6thrust23THRUST_200600_302600_NS5tupleIblNS6_9null_typeES8_S8_S8_S8_S8_S8_S8_EEEEZNS1_11reduce_implILb1ES3_PS9_SC_S9_NS6_11hip_rocprim9__find_if7functorIS9_EEEE10hipError_tPvRmT1_T2_T3_mT4_P12ihipStream_tbEUlT_E1_NS1_11comp_targetILNS1_3genE8ELNS1_11target_archE1030ELNS1_3gpuE2ELNS1_3repE0EEENS1_30default_config_static_selectorELNS0_4arch9wavefront6targetE1EEEvSK_,@function
_ZN7rocprim17ROCPRIM_400000_NS6detail17trampoline_kernelINS0_14default_configENS1_22reduce_config_selectorIN6thrust23THRUST_200600_302600_NS5tupleIblNS6_9null_typeES8_S8_S8_S8_S8_S8_S8_EEEEZNS1_11reduce_implILb1ES3_PS9_SC_S9_NS6_11hip_rocprim9__find_if7functorIS9_EEEE10hipError_tPvRmT1_T2_T3_mT4_P12ihipStream_tbEUlT_E1_NS1_11comp_targetILNS1_3genE8ELNS1_11target_archE1030ELNS1_3gpuE2ELNS1_3repE0EEENS1_30default_config_static_selectorELNS0_4arch9wavefront6targetE1EEEvSK_: ; @_ZN7rocprim17ROCPRIM_400000_NS6detail17trampoline_kernelINS0_14default_configENS1_22reduce_config_selectorIN6thrust23THRUST_200600_302600_NS5tupleIblNS6_9null_typeES8_S8_S8_S8_S8_S8_S8_EEEEZNS1_11reduce_implILb1ES3_PS9_SC_S9_NS6_11hip_rocprim9__find_if7functorIS9_EEEE10hipError_tPvRmT1_T2_T3_mT4_P12ihipStream_tbEUlT_E1_NS1_11comp_targetILNS1_3genE8ELNS1_11target_archE1030ELNS1_3gpuE2ELNS1_3repE0EEENS1_30default_config_static_selectorELNS0_4arch9wavefront6targetE1EEEvSK_
; %bb.0:
	.section	.rodata,"a",@progbits
	.p2align	6, 0x0
	.amdhsa_kernel _ZN7rocprim17ROCPRIM_400000_NS6detail17trampoline_kernelINS0_14default_configENS1_22reduce_config_selectorIN6thrust23THRUST_200600_302600_NS5tupleIblNS6_9null_typeES8_S8_S8_S8_S8_S8_S8_EEEEZNS1_11reduce_implILb1ES3_PS9_SC_S9_NS6_11hip_rocprim9__find_if7functorIS9_EEEE10hipError_tPvRmT1_T2_T3_mT4_P12ihipStream_tbEUlT_E1_NS1_11comp_targetILNS1_3genE8ELNS1_11target_archE1030ELNS1_3gpuE2ELNS1_3repE0EEENS1_30default_config_static_selectorELNS0_4arch9wavefront6targetE1EEEvSK_
		.amdhsa_group_segment_fixed_size 0
		.amdhsa_private_segment_fixed_size 0
		.amdhsa_kernarg_size 56
		.amdhsa_user_sgpr_count 6
		.amdhsa_user_sgpr_private_segment_buffer 1
		.amdhsa_user_sgpr_dispatch_ptr 0
		.amdhsa_user_sgpr_queue_ptr 0
		.amdhsa_user_sgpr_kernarg_segment_ptr 1
		.amdhsa_user_sgpr_dispatch_id 0
		.amdhsa_user_sgpr_flat_scratch_init 0
		.amdhsa_user_sgpr_kernarg_preload_length 0
		.amdhsa_user_sgpr_kernarg_preload_offset 0
		.amdhsa_user_sgpr_private_segment_size 0
		.amdhsa_uses_dynamic_stack 0
		.amdhsa_system_sgpr_private_segment_wavefront_offset 0
		.amdhsa_system_sgpr_workgroup_id_x 1
		.amdhsa_system_sgpr_workgroup_id_y 0
		.amdhsa_system_sgpr_workgroup_id_z 0
		.amdhsa_system_sgpr_workgroup_info 0
		.amdhsa_system_vgpr_workitem_id 0
		.amdhsa_next_free_vgpr 1
		.amdhsa_next_free_sgpr 0
		.amdhsa_accum_offset 4
		.amdhsa_reserve_vcc 0
		.amdhsa_reserve_flat_scratch 0
		.amdhsa_float_round_mode_32 0
		.amdhsa_float_round_mode_16_64 0
		.amdhsa_float_denorm_mode_32 3
		.amdhsa_float_denorm_mode_16_64 3
		.amdhsa_dx10_clamp 1
		.amdhsa_ieee_mode 1
		.amdhsa_fp16_overflow 0
		.amdhsa_tg_split 0
		.amdhsa_exception_fp_ieee_invalid_op 0
		.amdhsa_exception_fp_denorm_src 0
		.amdhsa_exception_fp_ieee_div_zero 0
		.amdhsa_exception_fp_ieee_overflow 0
		.amdhsa_exception_fp_ieee_underflow 0
		.amdhsa_exception_fp_ieee_inexact 0
		.amdhsa_exception_int_div_zero 0
	.end_amdhsa_kernel
	.section	.text._ZN7rocprim17ROCPRIM_400000_NS6detail17trampoline_kernelINS0_14default_configENS1_22reduce_config_selectorIN6thrust23THRUST_200600_302600_NS5tupleIblNS6_9null_typeES8_S8_S8_S8_S8_S8_S8_EEEEZNS1_11reduce_implILb1ES3_PS9_SC_S9_NS6_11hip_rocprim9__find_if7functorIS9_EEEE10hipError_tPvRmT1_T2_T3_mT4_P12ihipStream_tbEUlT_E1_NS1_11comp_targetILNS1_3genE8ELNS1_11target_archE1030ELNS1_3gpuE2ELNS1_3repE0EEENS1_30default_config_static_selectorELNS0_4arch9wavefront6targetE1EEEvSK_,"axG",@progbits,_ZN7rocprim17ROCPRIM_400000_NS6detail17trampoline_kernelINS0_14default_configENS1_22reduce_config_selectorIN6thrust23THRUST_200600_302600_NS5tupleIblNS6_9null_typeES8_S8_S8_S8_S8_S8_S8_EEEEZNS1_11reduce_implILb1ES3_PS9_SC_S9_NS6_11hip_rocprim9__find_if7functorIS9_EEEE10hipError_tPvRmT1_T2_T3_mT4_P12ihipStream_tbEUlT_E1_NS1_11comp_targetILNS1_3genE8ELNS1_11target_archE1030ELNS1_3gpuE2ELNS1_3repE0EEENS1_30default_config_static_selectorELNS0_4arch9wavefront6targetE1EEEvSK_,comdat
.Lfunc_end36:
	.size	_ZN7rocprim17ROCPRIM_400000_NS6detail17trampoline_kernelINS0_14default_configENS1_22reduce_config_selectorIN6thrust23THRUST_200600_302600_NS5tupleIblNS6_9null_typeES8_S8_S8_S8_S8_S8_S8_EEEEZNS1_11reduce_implILb1ES3_PS9_SC_S9_NS6_11hip_rocprim9__find_if7functorIS9_EEEE10hipError_tPvRmT1_T2_T3_mT4_P12ihipStream_tbEUlT_E1_NS1_11comp_targetILNS1_3genE8ELNS1_11target_archE1030ELNS1_3gpuE2ELNS1_3repE0EEENS1_30default_config_static_selectorELNS0_4arch9wavefront6targetE1EEEvSK_, .Lfunc_end36-_ZN7rocprim17ROCPRIM_400000_NS6detail17trampoline_kernelINS0_14default_configENS1_22reduce_config_selectorIN6thrust23THRUST_200600_302600_NS5tupleIblNS6_9null_typeES8_S8_S8_S8_S8_S8_S8_EEEEZNS1_11reduce_implILb1ES3_PS9_SC_S9_NS6_11hip_rocprim9__find_if7functorIS9_EEEE10hipError_tPvRmT1_T2_T3_mT4_P12ihipStream_tbEUlT_E1_NS1_11comp_targetILNS1_3genE8ELNS1_11target_archE1030ELNS1_3gpuE2ELNS1_3repE0EEENS1_30default_config_static_selectorELNS0_4arch9wavefront6targetE1EEEvSK_
                                        ; -- End function
	.section	.AMDGPU.csdata,"",@progbits
; Kernel info:
; codeLenInByte = 0
; NumSgprs: 4
; NumVgprs: 0
; NumAgprs: 0
; TotalNumVgprs: 0
; ScratchSize: 0
; MemoryBound: 0
; FloatMode: 240
; IeeeMode: 1
; LDSByteSize: 0 bytes/workgroup (compile time only)
; SGPRBlocks: 0
; VGPRBlocks: 0
; NumSGPRsForWavesPerEU: 4
; NumVGPRsForWavesPerEU: 1
; AccumOffset: 4
; Occupancy: 8
; WaveLimiterHint : 0
; COMPUTE_PGM_RSRC2:SCRATCH_EN: 0
; COMPUTE_PGM_RSRC2:USER_SGPR: 6
; COMPUTE_PGM_RSRC2:TRAP_HANDLER: 0
; COMPUTE_PGM_RSRC2:TGID_X_EN: 1
; COMPUTE_PGM_RSRC2:TGID_Y_EN: 0
; COMPUTE_PGM_RSRC2:TGID_Z_EN: 0
; COMPUTE_PGM_RSRC2:TIDIG_COMP_CNT: 0
; COMPUTE_PGM_RSRC3_GFX90A:ACCUM_OFFSET: 0
; COMPUTE_PGM_RSRC3_GFX90A:TG_SPLIT: 0
	.section	.text._ZN7rocprim17ROCPRIM_400000_NS6detail17trampoline_kernelINS0_14default_configENS1_22reduce_config_selectorIN6thrust23THRUST_200600_302600_NS5tupleIblNS6_9null_typeES8_S8_S8_S8_S8_S8_S8_EEEEZNS1_11reduce_implILb1ES3_NS6_12zip_iteratorINS7_INS6_11hip_rocprim26transform_input_iterator_tIbNSD_35transform_pair_of_input_iterators_tIbNS6_6detail15normal_iteratorINS6_10device_ptrIKdEEEESL_NS6_8equal_toIdEEEENSG_9not_fun_tINSD_8identityEEEEENSD_19counting_iterator_tIlEES8_S8_S8_S8_S8_S8_S8_S8_EEEEPS9_S9_NSD_9__find_if7functorIS9_EEEE10hipError_tPvRmT1_T2_T3_mT4_P12ihipStream_tbEUlT_E0_NS1_11comp_targetILNS1_3genE0ELNS1_11target_archE4294967295ELNS1_3gpuE0ELNS1_3repE0EEENS1_30default_config_static_selectorELNS0_4arch9wavefront6targetE1EEEvS14_,"axG",@progbits,_ZN7rocprim17ROCPRIM_400000_NS6detail17trampoline_kernelINS0_14default_configENS1_22reduce_config_selectorIN6thrust23THRUST_200600_302600_NS5tupleIblNS6_9null_typeES8_S8_S8_S8_S8_S8_S8_EEEEZNS1_11reduce_implILb1ES3_NS6_12zip_iteratorINS7_INS6_11hip_rocprim26transform_input_iterator_tIbNSD_35transform_pair_of_input_iterators_tIbNS6_6detail15normal_iteratorINS6_10device_ptrIKdEEEESL_NS6_8equal_toIdEEEENSG_9not_fun_tINSD_8identityEEEEENSD_19counting_iterator_tIlEES8_S8_S8_S8_S8_S8_S8_S8_EEEEPS9_S9_NSD_9__find_if7functorIS9_EEEE10hipError_tPvRmT1_T2_T3_mT4_P12ihipStream_tbEUlT_E0_NS1_11comp_targetILNS1_3genE0ELNS1_11target_archE4294967295ELNS1_3gpuE0ELNS1_3repE0EEENS1_30default_config_static_selectorELNS0_4arch9wavefront6targetE1EEEvS14_,comdat
	.protected	_ZN7rocprim17ROCPRIM_400000_NS6detail17trampoline_kernelINS0_14default_configENS1_22reduce_config_selectorIN6thrust23THRUST_200600_302600_NS5tupleIblNS6_9null_typeES8_S8_S8_S8_S8_S8_S8_EEEEZNS1_11reduce_implILb1ES3_NS6_12zip_iteratorINS7_INS6_11hip_rocprim26transform_input_iterator_tIbNSD_35transform_pair_of_input_iterators_tIbNS6_6detail15normal_iteratorINS6_10device_ptrIKdEEEESL_NS6_8equal_toIdEEEENSG_9not_fun_tINSD_8identityEEEEENSD_19counting_iterator_tIlEES8_S8_S8_S8_S8_S8_S8_S8_EEEEPS9_S9_NSD_9__find_if7functorIS9_EEEE10hipError_tPvRmT1_T2_T3_mT4_P12ihipStream_tbEUlT_E0_NS1_11comp_targetILNS1_3genE0ELNS1_11target_archE4294967295ELNS1_3gpuE0ELNS1_3repE0EEENS1_30default_config_static_selectorELNS0_4arch9wavefront6targetE1EEEvS14_ ; -- Begin function _ZN7rocprim17ROCPRIM_400000_NS6detail17trampoline_kernelINS0_14default_configENS1_22reduce_config_selectorIN6thrust23THRUST_200600_302600_NS5tupleIblNS6_9null_typeES8_S8_S8_S8_S8_S8_S8_EEEEZNS1_11reduce_implILb1ES3_NS6_12zip_iteratorINS7_INS6_11hip_rocprim26transform_input_iterator_tIbNSD_35transform_pair_of_input_iterators_tIbNS6_6detail15normal_iteratorINS6_10device_ptrIKdEEEESL_NS6_8equal_toIdEEEENSG_9not_fun_tINSD_8identityEEEEENSD_19counting_iterator_tIlEES8_S8_S8_S8_S8_S8_S8_S8_EEEEPS9_S9_NSD_9__find_if7functorIS9_EEEE10hipError_tPvRmT1_T2_T3_mT4_P12ihipStream_tbEUlT_E0_NS1_11comp_targetILNS1_3genE0ELNS1_11target_archE4294967295ELNS1_3gpuE0ELNS1_3repE0EEENS1_30default_config_static_selectorELNS0_4arch9wavefront6targetE1EEEvS14_
	.globl	_ZN7rocprim17ROCPRIM_400000_NS6detail17trampoline_kernelINS0_14default_configENS1_22reduce_config_selectorIN6thrust23THRUST_200600_302600_NS5tupleIblNS6_9null_typeES8_S8_S8_S8_S8_S8_S8_EEEEZNS1_11reduce_implILb1ES3_NS6_12zip_iteratorINS7_INS6_11hip_rocprim26transform_input_iterator_tIbNSD_35transform_pair_of_input_iterators_tIbNS6_6detail15normal_iteratorINS6_10device_ptrIKdEEEESL_NS6_8equal_toIdEEEENSG_9not_fun_tINSD_8identityEEEEENSD_19counting_iterator_tIlEES8_S8_S8_S8_S8_S8_S8_S8_EEEEPS9_S9_NSD_9__find_if7functorIS9_EEEE10hipError_tPvRmT1_T2_T3_mT4_P12ihipStream_tbEUlT_E0_NS1_11comp_targetILNS1_3genE0ELNS1_11target_archE4294967295ELNS1_3gpuE0ELNS1_3repE0EEENS1_30default_config_static_selectorELNS0_4arch9wavefront6targetE1EEEvS14_
	.p2align	8
	.type	_ZN7rocprim17ROCPRIM_400000_NS6detail17trampoline_kernelINS0_14default_configENS1_22reduce_config_selectorIN6thrust23THRUST_200600_302600_NS5tupleIblNS6_9null_typeES8_S8_S8_S8_S8_S8_S8_EEEEZNS1_11reduce_implILb1ES3_NS6_12zip_iteratorINS7_INS6_11hip_rocprim26transform_input_iterator_tIbNSD_35transform_pair_of_input_iterators_tIbNS6_6detail15normal_iteratorINS6_10device_ptrIKdEEEESL_NS6_8equal_toIdEEEENSG_9not_fun_tINSD_8identityEEEEENSD_19counting_iterator_tIlEES8_S8_S8_S8_S8_S8_S8_S8_EEEEPS9_S9_NSD_9__find_if7functorIS9_EEEE10hipError_tPvRmT1_T2_T3_mT4_P12ihipStream_tbEUlT_E0_NS1_11comp_targetILNS1_3genE0ELNS1_11target_archE4294967295ELNS1_3gpuE0ELNS1_3repE0EEENS1_30default_config_static_selectorELNS0_4arch9wavefront6targetE1EEEvS14_,@function
_ZN7rocprim17ROCPRIM_400000_NS6detail17trampoline_kernelINS0_14default_configENS1_22reduce_config_selectorIN6thrust23THRUST_200600_302600_NS5tupleIblNS6_9null_typeES8_S8_S8_S8_S8_S8_S8_EEEEZNS1_11reduce_implILb1ES3_NS6_12zip_iteratorINS7_INS6_11hip_rocprim26transform_input_iterator_tIbNSD_35transform_pair_of_input_iterators_tIbNS6_6detail15normal_iteratorINS6_10device_ptrIKdEEEESL_NS6_8equal_toIdEEEENSG_9not_fun_tINSD_8identityEEEEENSD_19counting_iterator_tIlEES8_S8_S8_S8_S8_S8_S8_S8_EEEEPS9_S9_NSD_9__find_if7functorIS9_EEEE10hipError_tPvRmT1_T2_T3_mT4_P12ihipStream_tbEUlT_E0_NS1_11comp_targetILNS1_3genE0ELNS1_11target_archE4294967295ELNS1_3gpuE0ELNS1_3repE0EEENS1_30default_config_static_selectorELNS0_4arch9wavefront6targetE1EEEvS14_: ; @_ZN7rocprim17ROCPRIM_400000_NS6detail17trampoline_kernelINS0_14default_configENS1_22reduce_config_selectorIN6thrust23THRUST_200600_302600_NS5tupleIblNS6_9null_typeES8_S8_S8_S8_S8_S8_S8_EEEEZNS1_11reduce_implILb1ES3_NS6_12zip_iteratorINS7_INS6_11hip_rocprim26transform_input_iterator_tIbNSD_35transform_pair_of_input_iterators_tIbNS6_6detail15normal_iteratorINS6_10device_ptrIKdEEEESL_NS6_8equal_toIdEEEENSG_9not_fun_tINSD_8identityEEEEENSD_19counting_iterator_tIlEES8_S8_S8_S8_S8_S8_S8_S8_EEEEPS9_S9_NSD_9__find_if7functorIS9_EEEE10hipError_tPvRmT1_T2_T3_mT4_P12ihipStream_tbEUlT_E0_NS1_11comp_targetILNS1_3genE0ELNS1_11target_archE4294967295ELNS1_3gpuE0ELNS1_3repE0EEENS1_30default_config_static_selectorELNS0_4arch9wavefront6targetE1EEEvS14_
; %bb.0:
	.section	.rodata,"a",@progbits
	.p2align	6, 0x0
	.amdhsa_kernel _ZN7rocprim17ROCPRIM_400000_NS6detail17trampoline_kernelINS0_14default_configENS1_22reduce_config_selectorIN6thrust23THRUST_200600_302600_NS5tupleIblNS6_9null_typeES8_S8_S8_S8_S8_S8_S8_EEEEZNS1_11reduce_implILb1ES3_NS6_12zip_iteratorINS7_INS6_11hip_rocprim26transform_input_iterator_tIbNSD_35transform_pair_of_input_iterators_tIbNS6_6detail15normal_iteratorINS6_10device_ptrIKdEEEESL_NS6_8equal_toIdEEEENSG_9not_fun_tINSD_8identityEEEEENSD_19counting_iterator_tIlEES8_S8_S8_S8_S8_S8_S8_S8_EEEEPS9_S9_NSD_9__find_if7functorIS9_EEEE10hipError_tPvRmT1_T2_T3_mT4_P12ihipStream_tbEUlT_E0_NS1_11comp_targetILNS1_3genE0ELNS1_11target_archE4294967295ELNS1_3gpuE0ELNS1_3repE0EEENS1_30default_config_static_selectorELNS0_4arch9wavefront6targetE1EEEvS14_
		.amdhsa_group_segment_fixed_size 0
		.amdhsa_private_segment_fixed_size 0
		.amdhsa_kernarg_size 104
		.amdhsa_user_sgpr_count 6
		.amdhsa_user_sgpr_private_segment_buffer 1
		.amdhsa_user_sgpr_dispatch_ptr 0
		.amdhsa_user_sgpr_queue_ptr 0
		.amdhsa_user_sgpr_kernarg_segment_ptr 1
		.amdhsa_user_sgpr_dispatch_id 0
		.amdhsa_user_sgpr_flat_scratch_init 0
		.amdhsa_user_sgpr_kernarg_preload_length 0
		.amdhsa_user_sgpr_kernarg_preload_offset 0
		.amdhsa_user_sgpr_private_segment_size 0
		.amdhsa_uses_dynamic_stack 0
		.amdhsa_system_sgpr_private_segment_wavefront_offset 0
		.amdhsa_system_sgpr_workgroup_id_x 1
		.amdhsa_system_sgpr_workgroup_id_y 0
		.amdhsa_system_sgpr_workgroup_id_z 0
		.amdhsa_system_sgpr_workgroup_info 0
		.amdhsa_system_vgpr_workitem_id 0
		.amdhsa_next_free_vgpr 1
		.amdhsa_next_free_sgpr 0
		.amdhsa_accum_offset 4
		.amdhsa_reserve_vcc 0
		.amdhsa_reserve_flat_scratch 0
		.amdhsa_float_round_mode_32 0
		.amdhsa_float_round_mode_16_64 0
		.amdhsa_float_denorm_mode_32 3
		.amdhsa_float_denorm_mode_16_64 3
		.amdhsa_dx10_clamp 1
		.amdhsa_ieee_mode 1
		.amdhsa_fp16_overflow 0
		.amdhsa_tg_split 0
		.amdhsa_exception_fp_ieee_invalid_op 0
		.amdhsa_exception_fp_denorm_src 0
		.amdhsa_exception_fp_ieee_div_zero 0
		.amdhsa_exception_fp_ieee_overflow 0
		.amdhsa_exception_fp_ieee_underflow 0
		.amdhsa_exception_fp_ieee_inexact 0
		.amdhsa_exception_int_div_zero 0
	.end_amdhsa_kernel
	.section	.text._ZN7rocprim17ROCPRIM_400000_NS6detail17trampoline_kernelINS0_14default_configENS1_22reduce_config_selectorIN6thrust23THRUST_200600_302600_NS5tupleIblNS6_9null_typeES8_S8_S8_S8_S8_S8_S8_EEEEZNS1_11reduce_implILb1ES3_NS6_12zip_iteratorINS7_INS6_11hip_rocprim26transform_input_iterator_tIbNSD_35transform_pair_of_input_iterators_tIbNS6_6detail15normal_iteratorINS6_10device_ptrIKdEEEESL_NS6_8equal_toIdEEEENSG_9not_fun_tINSD_8identityEEEEENSD_19counting_iterator_tIlEES8_S8_S8_S8_S8_S8_S8_S8_EEEEPS9_S9_NSD_9__find_if7functorIS9_EEEE10hipError_tPvRmT1_T2_T3_mT4_P12ihipStream_tbEUlT_E0_NS1_11comp_targetILNS1_3genE0ELNS1_11target_archE4294967295ELNS1_3gpuE0ELNS1_3repE0EEENS1_30default_config_static_selectorELNS0_4arch9wavefront6targetE1EEEvS14_,"axG",@progbits,_ZN7rocprim17ROCPRIM_400000_NS6detail17trampoline_kernelINS0_14default_configENS1_22reduce_config_selectorIN6thrust23THRUST_200600_302600_NS5tupleIblNS6_9null_typeES8_S8_S8_S8_S8_S8_S8_EEEEZNS1_11reduce_implILb1ES3_NS6_12zip_iteratorINS7_INS6_11hip_rocprim26transform_input_iterator_tIbNSD_35transform_pair_of_input_iterators_tIbNS6_6detail15normal_iteratorINS6_10device_ptrIKdEEEESL_NS6_8equal_toIdEEEENSG_9not_fun_tINSD_8identityEEEEENSD_19counting_iterator_tIlEES8_S8_S8_S8_S8_S8_S8_S8_EEEEPS9_S9_NSD_9__find_if7functorIS9_EEEE10hipError_tPvRmT1_T2_T3_mT4_P12ihipStream_tbEUlT_E0_NS1_11comp_targetILNS1_3genE0ELNS1_11target_archE4294967295ELNS1_3gpuE0ELNS1_3repE0EEENS1_30default_config_static_selectorELNS0_4arch9wavefront6targetE1EEEvS14_,comdat
.Lfunc_end37:
	.size	_ZN7rocprim17ROCPRIM_400000_NS6detail17trampoline_kernelINS0_14default_configENS1_22reduce_config_selectorIN6thrust23THRUST_200600_302600_NS5tupleIblNS6_9null_typeES8_S8_S8_S8_S8_S8_S8_EEEEZNS1_11reduce_implILb1ES3_NS6_12zip_iteratorINS7_INS6_11hip_rocprim26transform_input_iterator_tIbNSD_35transform_pair_of_input_iterators_tIbNS6_6detail15normal_iteratorINS6_10device_ptrIKdEEEESL_NS6_8equal_toIdEEEENSG_9not_fun_tINSD_8identityEEEEENSD_19counting_iterator_tIlEES8_S8_S8_S8_S8_S8_S8_S8_EEEEPS9_S9_NSD_9__find_if7functorIS9_EEEE10hipError_tPvRmT1_T2_T3_mT4_P12ihipStream_tbEUlT_E0_NS1_11comp_targetILNS1_3genE0ELNS1_11target_archE4294967295ELNS1_3gpuE0ELNS1_3repE0EEENS1_30default_config_static_selectorELNS0_4arch9wavefront6targetE1EEEvS14_, .Lfunc_end37-_ZN7rocprim17ROCPRIM_400000_NS6detail17trampoline_kernelINS0_14default_configENS1_22reduce_config_selectorIN6thrust23THRUST_200600_302600_NS5tupleIblNS6_9null_typeES8_S8_S8_S8_S8_S8_S8_EEEEZNS1_11reduce_implILb1ES3_NS6_12zip_iteratorINS7_INS6_11hip_rocprim26transform_input_iterator_tIbNSD_35transform_pair_of_input_iterators_tIbNS6_6detail15normal_iteratorINS6_10device_ptrIKdEEEESL_NS6_8equal_toIdEEEENSG_9not_fun_tINSD_8identityEEEEENSD_19counting_iterator_tIlEES8_S8_S8_S8_S8_S8_S8_S8_EEEEPS9_S9_NSD_9__find_if7functorIS9_EEEE10hipError_tPvRmT1_T2_T3_mT4_P12ihipStream_tbEUlT_E0_NS1_11comp_targetILNS1_3genE0ELNS1_11target_archE4294967295ELNS1_3gpuE0ELNS1_3repE0EEENS1_30default_config_static_selectorELNS0_4arch9wavefront6targetE1EEEvS14_
                                        ; -- End function
	.section	.AMDGPU.csdata,"",@progbits
; Kernel info:
; codeLenInByte = 0
; NumSgprs: 4
; NumVgprs: 0
; NumAgprs: 0
; TotalNumVgprs: 0
; ScratchSize: 0
; MemoryBound: 0
; FloatMode: 240
; IeeeMode: 1
; LDSByteSize: 0 bytes/workgroup (compile time only)
; SGPRBlocks: 0
; VGPRBlocks: 0
; NumSGPRsForWavesPerEU: 4
; NumVGPRsForWavesPerEU: 1
; AccumOffset: 4
; Occupancy: 8
; WaveLimiterHint : 0
; COMPUTE_PGM_RSRC2:SCRATCH_EN: 0
; COMPUTE_PGM_RSRC2:USER_SGPR: 6
; COMPUTE_PGM_RSRC2:TRAP_HANDLER: 0
; COMPUTE_PGM_RSRC2:TGID_X_EN: 1
; COMPUTE_PGM_RSRC2:TGID_Y_EN: 0
; COMPUTE_PGM_RSRC2:TGID_Z_EN: 0
; COMPUTE_PGM_RSRC2:TIDIG_COMP_CNT: 0
; COMPUTE_PGM_RSRC3_GFX90A:ACCUM_OFFSET: 0
; COMPUTE_PGM_RSRC3_GFX90A:TG_SPLIT: 0
	.section	.text._ZN7rocprim17ROCPRIM_400000_NS6detail17trampoline_kernelINS0_14default_configENS1_22reduce_config_selectorIN6thrust23THRUST_200600_302600_NS5tupleIblNS6_9null_typeES8_S8_S8_S8_S8_S8_S8_EEEEZNS1_11reduce_implILb1ES3_NS6_12zip_iteratorINS7_INS6_11hip_rocprim26transform_input_iterator_tIbNSD_35transform_pair_of_input_iterators_tIbNS6_6detail15normal_iteratorINS6_10device_ptrIKdEEEESL_NS6_8equal_toIdEEEENSG_9not_fun_tINSD_8identityEEEEENSD_19counting_iterator_tIlEES8_S8_S8_S8_S8_S8_S8_S8_EEEEPS9_S9_NSD_9__find_if7functorIS9_EEEE10hipError_tPvRmT1_T2_T3_mT4_P12ihipStream_tbEUlT_E0_NS1_11comp_targetILNS1_3genE5ELNS1_11target_archE942ELNS1_3gpuE9ELNS1_3repE0EEENS1_30default_config_static_selectorELNS0_4arch9wavefront6targetE1EEEvS14_,"axG",@progbits,_ZN7rocprim17ROCPRIM_400000_NS6detail17trampoline_kernelINS0_14default_configENS1_22reduce_config_selectorIN6thrust23THRUST_200600_302600_NS5tupleIblNS6_9null_typeES8_S8_S8_S8_S8_S8_S8_EEEEZNS1_11reduce_implILb1ES3_NS6_12zip_iteratorINS7_INS6_11hip_rocprim26transform_input_iterator_tIbNSD_35transform_pair_of_input_iterators_tIbNS6_6detail15normal_iteratorINS6_10device_ptrIKdEEEESL_NS6_8equal_toIdEEEENSG_9not_fun_tINSD_8identityEEEEENSD_19counting_iterator_tIlEES8_S8_S8_S8_S8_S8_S8_S8_EEEEPS9_S9_NSD_9__find_if7functorIS9_EEEE10hipError_tPvRmT1_T2_T3_mT4_P12ihipStream_tbEUlT_E0_NS1_11comp_targetILNS1_3genE5ELNS1_11target_archE942ELNS1_3gpuE9ELNS1_3repE0EEENS1_30default_config_static_selectorELNS0_4arch9wavefront6targetE1EEEvS14_,comdat
	.protected	_ZN7rocprim17ROCPRIM_400000_NS6detail17trampoline_kernelINS0_14default_configENS1_22reduce_config_selectorIN6thrust23THRUST_200600_302600_NS5tupleIblNS6_9null_typeES8_S8_S8_S8_S8_S8_S8_EEEEZNS1_11reduce_implILb1ES3_NS6_12zip_iteratorINS7_INS6_11hip_rocprim26transform_input_iterator_tIbNSD_35transform_pair_of_input_iterators_tIbNS6_6detail15normal_iteratorINS6_10device_ptrIKdEEEESL_NS6_8equal_toIdEEEENSG_9not_fun_tINSD_8identityEEEEENSD_19counting_iterator_tIlEES8_S8_S8_S8_S8_S8_S8_S8_EEEEPS9_S9_NSD_9__find_if7functorIS9_EEEE10hipError_tPvRmT1_T2_T3_mT4_P12ihipStream_tbEUlT_E0_NS1_11comp_targetILNS1_3genE5ELNS1_11target_archE942ELNS1_3gpuE9ELNS1_3repE0EEENS1_30default_config_static_selectorELNS0_4arch9wavefront6targetE1EEEvS14_ ; -- Begin function _ZN7rocprim17ROCPRIM_400000_NS6detail17trampoline_kernelINS0_14default_configENS1_22reduce_config_selectorIN6thrust23THRUST_200600_302600_NS5tupleIblNS6_9null_typeES8_S8_S8_S8_S8_S8_S8_EEEEZNS1_11reduce_implILb1ES3_NS6_12zip_iteratorINS7_INS6_11hip_rocprim26transform_input_iterator_tIbNSD_35transform_pair_of_input_iterators_tIbNS6_6detail15normal_iteratorINS6_10device_ptrIKdEEEESL_NS6_8equal_toIdEEEENSG_9not_fun_tINSD_8identityEEEEENSD_19counting_iterator_tIlEES8_S8_S8_S8_S8_S8_S8_S8_EEEEPS9_S9_NSD_9__find_if7functorIS9_EEEE10hipError_tPvRmT1_T2_T3_mT4_P12ihipStream_tbEUlT_E0_NS1_11comp_targetILNS1_3genE5ELNS1_11target_archE942ELNS1_3gpuE9ELNS1_3repE0EEENS1_30default_config_static_selectorELNS0_4arch9wavefront6targetE1EEEvS14_
	.globl	_ZN7rocprim17ROCPRIM_400000_NS6detail17trampoline_kernelINS0_14default_configENS1_22reduce_config_selectorIN6thrust23THRUST_200600_302600_NS5tupleIblNS6_9null_typeES8_S8_S8_S8_S8_S8_S8_EEEEZNS1_11reduce_implILb1ES3_NS6_12zip_iteratorINS7_INS6_11hip_rocprim26transform_input_iterator_tIbNSD_35transform_pair_of_input_iterators_tIbNS6_6detail15normal_iteratorINS6_10device_ptrIKdEEEESL_NS6_8equal_toIdEEEENSG_9not_fun_tINSD_8identityEEEEENSD_19counting_iterator_tIlEES8_S8_S8_S8_S8_S8_S8_S8_EEEEPS9_S9_NSD_9__find_if7functorIS9_EEEE10hipError_tPvRmT1_T2_T3_mT4_P12ihipStream_tbEUlT_E0_NS1_11comp_targetILNS1_3genE5ELNS1_11target_archE942ELNS1_3gpuE9ELNS1_3repE0EEENS1_30default_config_static_selectorELNS0_4arch9wavefront6targetE1EEEvS14_
	.p2align	8
	.type	_ZN7rocprim17ROCPRIM_400000_NS6detail17trampoline_kernelINS0_14default_configENS1_22reduce_config_selectorIN6thrust23THRUST_200600_302600_NS5tupleIblNS6_9null_typeES8_S8_S8_S8_S8_S8_S8_EEEEZNS1_11reduce_implILb1ES3_NS6_12zip_iteratorINS7_INS6_11hip_rocprim26transform_input_iterator_tIbNSD_35transform_pair_of_input_iterators_tIbNS6_6detail15normal_iteratorINS6_10device_ptrIKdEEEESL_NS6_8equal_toIdEEEENSG_9not_fun_tINSD_8identityEEEEENSD_19counting_iterator_tIlEES8_S8_S8_S8_S8_S8_S8_S8_EEEEPS9_S9_NSD_9__find_if7functorIS9_EEEE10hipError_tPvRmT1_T2_T3_mT4_P12ihipStream_tbEUlT_E0_NS1_11comp_targetILNS1_3genE5ELNS1_11target_archE942ELNS1_3gpuE9ELNS1_3repE0EEENS1_30default_config_static_selectorELNS0_4arch9wavefront6targetE1EEEvS14_,@function
_ZN7rocprim17ROCPRIM_400000_NS6detail17trampoline_kernelINS0_14default_configENS1_22reduce_config_selectorIN6thrust23THRUST_200600_302600_NS5tupleIblNS6_9null_typeES8_S8_S8_S8_S8_S8_S8_EEEEZNS1_11reduce_implILb1ES3_NS6_12zip_iteratorINS7_INS6_11hip_rocprim26transform_input_iterator_tIbNSD_35transform_pair_of_input_iterators_tIbNS6_6detail15normal_iteratorINS6_10device_ptrIKdEEEESL_NS6_8equal_toIdEEEENSG_9not_fun_tINSD_8identityEEEEENSD_19counting_iterator_tIlEES8_S8_S8_S8_S8_S8_S8_S8_EEEEPS9_S9_NSD_9__find_if7functorIS9_EEEE10hipError_tPvRmT1_T2_T3_mT4_P12ihipStream_tbEUlT_E0_NS1_11comp_targetILNS1_3genE5ELNS1_11target_archE942ELNS1_3gpuE9ELNS1_3repE0EEENS1_30default_config_static_selectorELNS0_4arch9wavefront6targetE1EEEvS14_: ; @_ZN7rocprim17ROCPRIM_400000_NS6detail17trampoline_kernelINS0_14default_configENS1_22reduce_config_selectorIN6thrust23THRUST_200600_302600_NS5tupleIblNS6_9null_typeES8_S8_S8_S8_S8_S8_S8_EEEEZNS1_11reduce_implILb1ES3_NS6_12zip_iteratorINS7_INS6_11hip_rocprim26transform_input_iterator_tIbNSD_35transform_pair_of_input_iterators_tIbNS6_6detail15normal_iteratorINS6_10device_ptrIKdEEEESL_NS6_8equal_toIdEEEENSG_9not_fun_tINSD_8identityEEEEENSD_19counting_iterator_tIlEES8_S8_S8_S8_S8_S8_S8_S8_EEEEPS9_S9_NSD_9__find_if7functorIS9_EEEE10hipError_tPvRmT1_T2_T3_mT4_P12ihipStream_tbEUlT_E0_NS1_11comp_targetILNS1_3genE5ELNS1_11target_archE942ELNS1_3gpuE9ELNS1_3repE0EEENS1_30default_config_static_selectorELNS0_4arch9wavefront6targetE1EEEvS14_
; %bb.0:
	.section	.rodata,"a",@progbits
	.p2align	6, 0x0
	.amdhsa_kernel _ZN7rocprim17ROCPRIM_400000_NS6detail17trampoline_kernelINS0_14default_configENS1_22reduce_config_selectorIN6thrust23THRUST_200600_302600_NS5tupleIblNS6_9null_typeES8_S8_S8_S8_S8_S8_S8_EEEEZNS1_11reduce_implILb1ES3_NS6_12zip_iteratorINS7_INS6_11hip_rocprim26transform_input_iterator_tIbNSD_35transform_pair_of_input_iterators_tIbNS6_6detail15normal_iteratorINS6_10device_ptrIKdEEEESL_NS6_8equal_toIdEEEENSG_9not_fun_tINSD_8identityEEEEENSD_19counting_iterator_tIlEES8_S8_S8_S8_S8_S8_S8_S8_EEEEPS9_S9_NSD_9__find_if7functorIS9_EEEE10hipError_tPvRmT1_T2_T3_mT4_P12ihipStream_tbEUlT_E0_NS1_11comp_targetILNS1_3genE5ELNS1_11target_archE942ELNS1_3gpuE9ELNS1_3repE0EEENS1_30default_config_static_selectorELNS0_4arch9wavefront6targetE1EEEvS14_
		.amdhsa_group_segment_fixed_size 0
		.amdhsa_private_segment_fixed_size 0
		.amdhsa_kernarg_size 104
		.amdhsa_user_sgpr_count 6
		.amdhsa_user_sgpr_private_segment_buffer 1
		.amdhsa_user_sgpr_dispatch_ptr 0
		.amdhsa_user_sgpr_queue_ptr 0
		.amdhsa_user_sgpr_kernarg_segment_ptr 1
		.amdhsa_user_sgpr_dispatch_id 0
		.amdhsa_user_sgpr_flat_scratch_init 0
		.amdhsa_user_sgpr_kernarg_preload_length 0
		.amdhsa_user_sgpr_kernarg_preload_offset 0
		.amdhsa_user_sgpr_private_segment_size 0
		.amdhsa_uses_dynamic_stack 0
		.amdhsa_system_sgpr_private_segment_wavefront_offset 0
		.amdhsa_system_sgpr_workgroup_id_x 1
		.amdhsa_system_sgpr_workgroup_id_y 0
		.amdhsa_system_sgpr_workgroup_id_z 0
		.amdhsa_system_sgpr_workgroup_info 0
		.amdhsa_system_vgpr_workitem_id 0
		.amdhsa_next_free_vgpr 1
		.amdhsa_next_free_sgpr 0
		.amdhsa_accum_offset 4
		.amdhsa_reserve_vcc 0
		.amdhsa_reserve_flat_scratch 0
		.amdhsa_float_round_mode_32 0
		.amdhsa_float_round_mode_16_64 0
		.amdhsa_float_denorm_mode_32 3
		.amdhsa_float_denorm_mode_16_64 3
		.amdhsa_dx10_clamp 1
		.amdhsa_ieee_mode 1
		.amdhsa_fp16_overflow 0
		.amdhsa_tg_split 0
		.amdhsa_exception_fp_ieee_invalid_op 0
		.amdhsa_exception_fp_denorm_src 0
		.amdhsa_exception_fp_ieee_div_zero 0
		.amdhsa_exception_fp_ieee_overflow 0
		.amdhsa_exception_fp_ieee_underflow 0
		.amdhsa_exception_fp_ieee_inexact 0
		.amdhsa_exception_int_div_zero 0
	.end_amdhsa_kernel
	.section	.text._ZN7rocprim17ROCPRIM_400000_NS6detail17trampoline_kernelINS0_14default_configENS1_22reduce_config_selectorIN6thrust23THRUST_200600_302600_NS5tupleIblNS6_9null_typeES8_S8_S8_S8_S8_S8_S8_EEEEZNS1_11reduce_implILb1ES3_NS6_12zip_iteratorINS7_INS6_11hip_rocprim26transform_input_iterator_tIbNSD_35transform_pair_of_input_iterators_tIbNS6_6detail15normal_iteratorINS6_10device_ptrIKdEEEESL_NS6_8equal_toIdEEEENSG_9not_fun_tINSD_8identityEEEEENSD_19counting_iterator_tIlEES8_S8_S8_S8_S8_S8_S8_S8_EEEEPS9_S9_NSD_9__find_if7functorIS9_EEEE10hipError_tPvRmT1_T2_T3_mT4_P12ihipStream_tbEUlT_E0_NS1_11comp_targetILNS1_3genE5ELNS1_11target_archE942ELNS1_3gpuE9ELNS1_3repE0EEENS1_30default_config_static_selectorELNS0_4arch9wavefront6targetE1EEEvS14_,"axG",@progbits,_ZN7rocprim17ROCPRIM_400000_NS6detail17trampoline_kernelINS0_14default_configENS1_22reduce_config_selectorIN6thrust23THRUST_200600_302600_NS5tupleIblNS6_9null_typeES8_S8_S8_S8_S8_S8_S8_EEEEZNS1_11reduce_implILb1ES3_NS6_12zip_iteratorINS7_INS6_11hip_rocprim26transform_input_iterator_tIbNSD_35transform_pair_of_input_iterators_tIbNS6_6detail15normal_iteratorINS6_10device_ptrIKdEEEESL_NS6_8equal_toIdEEEENSG_9not_fun_tINSD_8identityEEEEENSD_19counting_iterator_tIlEES8_S8_S8_S8_S8_S8_S8_S8_EEEEPS9_S9_NSD_9__find_if7functorIS9_EEEE10hipError_tPvRmT1_T2_T3_mT4_P12ihipStream_tbEUlT_E0_NS1_11comp_targetILNS1_3genE5ELNS1_11target_archE942ELNS1_3gpuE9ELNS1_3repE0EEENS1_30default_config_static_selectorELNS0_4arch9wavefront6targetE1EEEvS14_,comdat
.Lfunc_end38:
	.size	_ZN7rocprim17ROCPRIM_400000_NS6detail17trampoline_kernelINS0_14default_configENS1_22reduce_config_selectorIN6thrust23THRUST_200600_302600_NS5tupleIblNS6_9null_typeES8_S8_S8_S8_S8_S8_S8_EEEEZNS1_11reduce_implILb1ES3_NS6_12zip_iteratorINS7_INS6_11hip_rocprim26transform_input_iterator_tIbNSD_35transform_pair_of_input_iterators_tIbNS6_6detail15normal_iteratorINS6_10device_ptrIKdEEEESL_NS6_8equal_toIdEEEENSG_9not_fun_tINSD_8identityEEEEENSD_19counting_iterator_tIlEES8_S8_S8_S8_S8_S8_S8_S8_EEEEPS9_S9_NSD_9__find_if7functorIS9_EEEE10hipError_tPvRmT1_T2_T3_mT4_P12ihipStream_tbEUlT_E0_NS1_11comp_targetILNS1_3genE5ELNS1_11target_archE942ELNS1_3gpuE9ELNS1_3repE0EEENS1_30default_config_static_selectorELNS0_4arch9wavefront6targetE1EEEvS14_, .Lfunc_end38-_ZN7rocprim17ROCPRIM_400000_NS6detail17trampoline_kernelINS0_14default_configENS1_22reduce_config_selectorIN6thrust23THRUST_200600_302600_NS5tupleIblNS6_9null_typeES8_S8_S8_S8_S8_S8_S8_EEEEZNS1_11reduce_implILb1ES3_NS6_12zip_iteratorINS7_INS6_11hip_rocprim26transform_input_iterator_tIbNSD_35transform_pair_of_input_iterators_tIbNS6_6detail15normal_iteratorINS6_10device_ptrIKdEEEESL_NS6_8equal_toIdEEEENSG_9not_fun_tINSD_8identityEEEEENSD_19counting_iterator_tIlEES8_S8_S8_S8_S8_S8_S8_S8_EEEEPS9_S9_NSD_9__find_if7functorIS9_EEEE10hipError_tPvRmT1_T2_T3_mT4_P12ihipStream_tbEUlT_E0_NS1_11comp_targetILNS1_3genE5ELNS1_11target_archE942ELNS1_3gpuE9ELNS1_3repE0EEENS1_30default_config_static_selectorELNS0_4arch9wavefront6targetE1EEEvS14_
                                        ; -- End function
	.section	.AMDGPU.csdata,"",@progbits
; Kernel info:
; codeLenInByte = 0
; NumSgprs: 4
; NumVgprs: 0
; NumAgprs: 0
; TotalNumVgprs: 0
; ScratchSize: 0
; MemoryBound: 0
; FloatMode: 240
; IeeeMode: 1
; LDSByteSize: 0 bytes/workgroup (compile time only)
; SGPRBlocks: 0
; VGPRBlocks: 0
; NumSGPRsForWavesPerEU: 4
; NumVGPRsForWavesPerEU: 1
; AccumOffset: 4
; Occupancy: 8
; WaveLimiterHint : 0
; COMPUTE_PGM_RSRC2:SCRATCH_EN: 0
; COMPUTE_PGM_RSRC2:USER_SGPR: 6
; COMPUTE_PGM_RSRC2:TRAP_HANDLER: 0
; COMPUTE_PGM_RSRC2:TGID_X_EN: 1
; COMPUTE_PGM_RSRC2:TGID_Y_EN: 0
; COMPUTE_PGM_RSRC2:TGID_Z_EN: 0
; COMPUTE_PGM_RSRC2:TIDIG_COMP_CNT: 0
; COMPUTE_PGM_RSRC3_GFX90A:ACCUM_OFFSET: 0
; COMPUTE_PGM_RSRC3_GFX90A:TG_SPLIT: 0
	.section	.text._ZN7rocprim17ROCPRIM_400000_NS6detail17trampoline_kernelINS0_14default_configENS1_22reduce_config_selectorIN6thrust23THRUST_200600_302600_NS5tupleIblNS6_9null_typeES8_S8_S8_S8_S8_S8_S8_EEEEZNS1_11reduce_implILb1ES3_NS6_12zip_iteratorINS7_INS6_11hip_rocprim26transform_input_iterator_tIbNSD_35transform_pair_of_input_iterators_tIbNS6_6detail15normal_iteratorINS6_10device_ptrIKdEEEESL_NS6_8equal_toIdEEEENSG_9not_fun_tINSD_8identityEEEEENSD_19counting_iterator_tIlEES8_S8_S8_S8_S8_S8_S8_S8_EEEEPS9_S9_NSD_9__find_if7functorIS9_EEEE10hipError_tPvRmT1_T2_T3_mT4_P12ihipStream_tbEUlT_E0_NS1_11comp_targetILNS1_3genE4ELNS1_11target_archE910ELNS1_3gpuE8ELNS1_3repE0EEENS1_30default_config_static_selectorELNS0_4arch9wavefront6targetE1EEEvS14_,"axG",@progbits,_ZN7rocprim17ROCPRIM_400000_NS6detail17trampoline_kernelINS0_14default_configENS1_22reduce_config_selectorIN6thrust23THRUST_200600_302600_NS5tupleIblNS6_9null_typeES8_S8_S8_S8_S8_S8_S8_EEEEZNS1_11reduce_implILb1ES3_NS6_12zip_iteratorINS7_INS6_11hip_rocprim26transform_input_iterator_tIbNSD_35transform_pair_of_input_iterators_tIbNS6_6detail15normal_iteratorINS6_10device_ptrIKdEEEESL_NS6_8equal_toIdEEEENSG_9not_fun_tINSD_8identityEEEEENSD_19counting_iterator_tIlEES8_S8_S8_S8_S8_S8_S8_S8_EEEEPS9_S9_NSD_9__find_if7functorIS9_EEEE10hipError_tPvRmT1_T2_T3_mT4_P12ihipStream_tbEUlT_E0_NS1_11comp_targetILNS1_3genE4ELNS1_11target_archE910ELNS1_3gpuE8ELNS1_3repE0EEENS1_30default_config_static_selectorELNS0_4arch9wavefront6targetE1EEEvS14_,comdat
	.protected	_ZN7rocprim17ROCPRIM_400000_NS6detail17trampoline_kernelINS0_14default_configENS1_22reduce_config_selectorIN6thrust23THRUST_200600_302600_NS5tupleIblNS6_9null_typeES8_S8_S8_S8_S8_S8_S8_EEEEZNS1_11reduce_implILb1ES3_NS6_12zip_iteratorINS7_INS6_11hip_rocprim26transform_input_iterator_tIbNSD_35transform_pair_of_input_iterators_tIbNS6_6detail15normal_iteratorINS6_10device_ptrIKdEEEESL_NS6_8equal_toIdEEEENSG_9not_fun_tINSD_8identityEEEEENSD_19counting_iterator_tIlEES8_S8_S8_S8_S8_S8_S8_S8_EEEEPS9_S9_NSD_9__find_if7functorIS9_EEEE10hipError_tPvRmT1_T2_T3_mT4_P12ihipStream_tbEUlT_E0_NS1_11comp_targetILNS1_3genE4ELNS1_11target_archE910ELNS1_3gpuE8ELNS1_3repE0EEENS1_30default_config_static_selectorELNS0_4arch9wavefront6targetE1EEEvS14_ ; -- Begin function _ZN7rocprim17ROCPRIM_400000_NS6detail17trampoline_kernelINS0_14default_configENS1_22reduce_config_selectorIN6thrust23THRUST_200600_302600_NS5tupleIblNS6_9null_typeES8_S8_S8_S8_S8_S8_S8_EEEEZNS1_11reduce_implILb1ES3_NS6_12zip_iteratorINS7_INS6_11hip_rocprim26transform_input_iterator_tIbNSD_35transform_pair_of_input_iterators_tIbNS6_6detail15normal_iteratorINS6_10device_ptrIKdEEEESL_NS6_8equal_toIdEEEENSG_9not_fun_tINSD_8identityEEEEENSD_19counting_iterator_tIlEES8_S8_S8_S8_S8_S8_S8_S8_EEEEPS9_S9_NSD_9__find_if7functorIS9_EEEE10hipError_tPvRmT1_T2_T3_mT4_P12ihipStream_tbEUlT_E0_NS1_11comp_targetILNS1_3genE4ELNS1_11target_archE910ELNS1_3gpuE8ELNS1_3repE0EEENS1_30default_config_static_selectorELNS0_4arch9wavefront6targetE1EEEvS14_
	.globl	_ZN7rocprim17ROCPRIM_400000_NS6detail17trampoline_kernelINS0_14default_configENS1_22reduce_config_selectorIN6thrust23THRUST_200600_302600_NS5tupleIblNS6_9null_typeES8_S8_S8_S8_S8_S8_S8_EEEEZNS1_11reduce_implILb1ES3_NS6_12zip_iteratorINS7_INS6_11hip_rocprim26transform_input_iterator_tIbNSD_35transform_pair_of_input_iterators_tIbNS6_6detail15normal_iteratorINS6_10device_ptrIKdEEEESL_NS6_8equal_toIdEEEENSG_9not_fun_tINSD_8identityEEEEENSD_19counting_iterator_tIlEES8_S8_S8_S8_S8_S8_S8_S8_EEEEPS9_S9_NSD_9__find_if7functorIS9_EEEE10hipError_tPvRmT1_T2_T3_mT4_P12ihipStream_tbEUlT_E0_NS1_11comp_targetILNS1_3genE4ELNS1_11target_archE910ELNS1_3gpuE8ELNS1_3repE0EEENS1_30default_config_static_selectorELNS0_4arch9wavefront6targetE1EEEvS14_
	.p2align	8
	.type	_ZN7rocprim17ROCPRIM_400000_NS6detail17trampoline_kernelINS0_14default_configENS1_22reduce_config_selectorIN6thrust23THRUST_200600_302600_NS5tupleIblNS6_9null_typeES8_S8_S8_S8_S8_S8_S8_EEEEZNS1_11reduce_implILb1ES3_NS6_12zip_iteratorINS7_INS6_11hip_rocprim26transform_input_iterator_tIbNSD_35transform_pair_of_input_iterators_tIbNS6_6detail15normal_iteratorINS6_10device_ptrIKdEEEESL_NS6_8equal_toIdEEEENSG_9not_fun_tINSD_8identityEEEEENSD_19counting_iterator_tIlEES8_S8_S8_S8_S8_S8_S8_S8_EEEEPS9_S9_NSD_9__find_if7functorIS9_EEEE10hipError_tPvRmT1_T2_T3_mT4_P12ihipStream_tbEUlT_E0_NS1_11comp_targetILNS1_3genE4ELNS1_11target_archE910ELNS1_3gpuE8ELNS1_3repE0EEENS1_30default_config_static_selectorELNS0_4arch9wavefront6targetE1EEEvS14_,@function
_ZN7rocprim17ROCPRIM_400000_NS6detail17trampoline_kernelINS0_14default_configENS1_22reduce_config_selectorIN6thrust23THRUST_200600_302600_NS5tupleIblNS6_9null_typeES8_S8_S8_S8_S8_S8_S8_EEEEZNS1_11reduce_implILb1ES3_NS6_12zip_iteratorINS7_INS6_11hip_rocprim26transform_input_iterator_tIbNSD_35transform_pair_of_input_iterators_tIbNS6_6detail15normal_iteratorINS6_10device_ptrIKdEEEESL_NS6_8equal_toIdEEEENSG_9not_fun_tINSD_8identityEEEEENSD_19counting_iterator_tIlEES8_S8_S8_S8_S8_S8_S8_S8_EEEEPS9_S9_NSD_9__find_if7functorIS9_EEEE10hipError_tPvRmT1_T2_T3_mT4_P12ihipStream_tbEUlT_E0_NS1_11comp_targetILNS1_3genE4ELNS1_11target_archE910ELNS1_3gpuE8ELNS1_3repE0EEENS1_30default_config_static_selectorELNS0_4arch9wavefront6targetE1EEEvS14_: ; @_ZN7rocprim17ROCPRIM_400000_NS6detail17trampoline_kernelINS0_14default_configENS1_22reduce_config_selectorIN6thrust23THRUST_200600_302600_NS5tupleIblNS6_9null_typeES8_S8_S8_S8_S8_S8_S8_EEEEZNS1_11reduce_implILb1ES3_NS6_12zip_iteratorINS7_INS6_11hip_rocprim26transform_input_iterator_tIbNSD_35transform_pair_of_input_iterators_tIbNS6_6detail15normal_iteratorINS6_10device_ptrIKdEEEESL_NS6_8equal_toIdEEEENSG_9not_fun_tINSD_8identityEEEEENSD_19counting_iterator_tIlEES8_S8_S8_S8_S8_S8_S8_S8_EEEEPS9_S9_NSD_9__find_if7functorIS9_EEEE10hipError_tPvRmT1_T2_T3_mT4_P12ihipStream_tbEUlT_E0_NS1_11comp_targetILNS1_3genE4ELNS1_11target_archE910ELNS1_3gpuE8ELNS1_3repE0EEENS1_30default_config_static_selectorELNS0_4arch9wavefront6targetE1EEEvS14_
; %bb.0:
	s_load_dwordx8 s[8:15], s[4:5], 0x20
	s_load_dwordx4 s[0:3], s[4:5], 0x0
	s_load_dwordx4 s[16:19], s[4:5], 0x40
	s_mov_b32 s25, 0
	s_mov_b32 s7, s25
	s_waitcnt lgkmcnt(0)
	s_lshl_b64 s[20:21], s[10:11], 3
	s_add_u32 s22, s0, s20
	s_addc_u32 s23, s1, s21
	s_add_u32 s26, s2, s20
	s_addc_u32 s27, s3, s21
	s_lshl_b32 s24, s6, 9
	s_lshr_b64 s[0:1], s[12:13], 9
	s_lshl_b64 s[2:3], s[24:25], 3
	s_add_u32 s20, s22, s2
	s_addc_u32 s21, s23, s3
	s_add_u32 s22, s26, s2
	s_addc_u32 s23, s27, s3
	;; [unrolled: 2-line block ×4, first 2 shown]
	s_cmp_lg_u64 s[0:1], s[6:7]
	v_lshlrev_b32_e32 v1, 3, v0
	s_cbranch_scc0 .LBB39_18
; %bb.1:
	global_load_dwordx2 v[2:3], v1, s[22:23] offset:2048
	global_load_dwordx2 v[4:5], v1, s[22:23]
	global_load_dwordx2 v[6:7], v1, s[20:21] offset:2048
	global_load_dwordx2 v[8:9], v1, s[20:21]
	v_mov_b32_e32 v10, s9
	v_add_co_u32_e32 v11, vcc, s8, v0
	v_addc_co_u32_e32 v10, vcc, 0, v10, vcc
	v_add_co_u32_e32 v12, vcc, 0x100, v11
	v_addc_co_u32_e32 v13, vcc, 0, v10, vcc
	s_waitcnt vmcnt(1)
	v_cmp_neq_f64_e32 vcc, v[6:7], v[2:3]
	s_waitcnt vmcnt(0)
	v_cmp_neq_f64_e64 s[0:1], v[8:9], v[4:5]
	v_cndmask_b32_e64 v3, v13, v10, s[0:1]
	v_cndmask_b32_e64 v2, v12, v11, s[0:1]
	s_or_b64 s[0:1], s[0:1], vcc
	v_cndmask_b32_e64 v6, 0, 1, s[0:1]
	v_mov_b32_dpp v4, v2 quad_perm:[1,0,3,2] row_mask:0xf bank_mask:0xf bound_ctrl:1
	v_mov_b32_dpp v5, v3 quad_perm:[1,0,3,2] row_mask:0xf bank_mask:0xf bound_ctrl:1
	;; [unrolled: 1-line block ×3, first 2 shown]
	v_and_b32_e32 v8, 1, v7
	v_cmp_eq_u32_e32 vcc, 1, v8
	s_and_saveexec_b64 s[2:3], vcc
; %bb.2:
	v_cmp_lt_i64_e32 vcc, v[2:3], v[4:5]
	v_cndmask_b32_e64 v7, v7, 1, s[0:1]
	s_and_b64 vcc, s[0:1], vcc
	v_cndmask_b32_e32 v2, v4, v2, vcc
	v_and_b32_e32 v4, 1, v7
	v_cndmask_b32_e32 v3, v5, v3, vcc
	v_cmp_eq_u32_e32 vcc, 1, v4
	s_andn2_b64 s[0:1], s[0:1], exec
	s_and_b64 s[10:11], vcc, exec
	v_and_b32_e32 v6, 0xff, v7
	s_or_b64 s[0:1], s[0:1], s[10:11]
; %bb.3:
	s_or_b64 exec, exec, s[2:3]
	v_mov_b32_dpp v7, v6 quad_perm:[2,3,0,1] row_mask:0xf bank_mask:0xf bound_ctrl:1
	v_and_b32_e32 v8, 1, v7
	v_mov_b32_dpp v4, v2 quad_perm:[2,3,0,1] row_mask:0xf bank_mask:0xf bound_ctrl:1
	v_mov_b32_dpp v5, v3 quad_perm:[2,3,0,1] row_mask:0xf bank_mask:0xf bound_ctrl:1
	v_cmp_eq_u32_e32 vcc, 1, v8
	s_and_saveexec_b64 s[2:3], vcc
; %bb.4:
	v_cmp_lt_i64_e32 vcc, v[2:3], v[4:5]
	v_cndmask_b32_e64 v7, v7, 1, s[0:1]
	s_and_b64 vcc, s[0:1], vcc
	v_cndmask_b32_e32 v2, v4, v2, vcc
	v_and_b32_e32 v4, 1, v7
	v_cndmask_b32_e32 v3, v5, v3, vcc
	v_cmp_eq_u32_e32 vcc, 1, v4
	s_andn2_b64 s[0:1], s[0:1], exec
	s_and_b64 s[10:11], vcc, exec
	v_and_b32_e32 v6, 0xff, v7
	s_or_b64 s[0:1], s[0:1], s[10:11]
; %bb.5:
	s_or_b64 exec, exec, s[2:3]
	v_mov_b32_dpp v7, v6 row_ror:4 row_mask:0xf bank_mask:0xf bound_ctrl:1
	v_and_b32_e32 v8, 1, v7
	v_mov_b32_dpp v4, v2 row_ror:4 row_mask:0xf bank_mask:0xf bound_ctrl:1
	v_mov_b32_dpp v5, v3 row_ror:4 row_mask:0xf bank_mask:0xf bound_ctrl:1
	v_cmp_eq_u32_e32 vcc, 1, v8
	s_and_saveexec_b64 s[2:3], vcc
; %bb.6:
	v_cmp_lt_i64_e32 vcc, v[2:3], v[4:5]
	v_cndmask_b32_e64 v7, v7, 1, s[0:1]
	s_and_b64 vcc, s[0:1], vcc
	v_cndmask_b32_e32 v2, v4, v2, vcc
	v_and_b32_e32 v4, 1, v7
	v_cndmask_b32_e32 v3, v5, v3, vcc
	v_cmp_eq_u32_e32 vcc, 1, v4
	s_andn2_b64 s[0:1], s[0:1], exec
	s_and_b64 s[10:11], vcc, exec
	v_and_b32_e32 v6, 0xff, v7
	s_or_b64 s[0:1], s[0:1], s[10:11]
; %bb.7:
	s_or_b64 exec, exec, s[2:3]
	v_mov_b32_dpp v7, v6 row_ror:8 row_mask:0xf bank_mask:0xf bound_ctrl:1
	v_and_b32_e32 v8, 1, v7
	v_mov_b32_dpp v4, v2 row_ror:8 row_mask:0xf bank_mask:0xf bound_ctrl:1
	v_mov_b32_dpp v5, v3 row_ror:8 row_mask:0xf bank_mask:0xf bound_ctrl:1
	v_cmp_eq_u32_e32 vcc, 1, v8
	s_and_saveexec_b64 s[2:3], vcc
; %bb.8:
	v_cmp_lt_i64_e32 vcc, v[2:3], v[4:5]
	v_cndmask_b32_e64 v7, v7, 1, s[0:1]
	s_and_b64 vcc, s[0:1], vcc
	v_cndmask_b32_e32 v2, v4, v2, vcc
	v_and_b32_e32 v4, 1, v7
	v_cndmask_b32_e32 v3, v5, v3, vcc
	v_cmp_eq_u32_e32 vcc, 1, v4
	s_andn2_b64 s[0:1], s[0:1], exec
	s_and_b64 s[10:11], vcc, exec
	v_and_b32_e32 v6, 0xff, v7
	s_or_b64 s[0:1], s[0:1], s[10:11]
; %bb.9:
	s_or_b64 exec, exec, s[2:3]
	v_mov_b32_dpp v7, v6 row_bcast:15 row_mask:0xf bank_mask:0xf bound_ctrl:1
	v_and_b32_e32 v8, 1, v7
	v_mov_b32_dpp v4, v2 row_bcast:15 row_mask:0xf bank_mask:0xf bound_ctrl:1
	v_mov_b32_dpp v5, v3 row_bcast:15 row_mask:0xf bank_mask:0xf bound_ctrl:1
	v_cmp_eq_u32_e32 vcc, 1, v8
	s_and_saveexec_b64 s[2:3], vcc
; %bb.10:
	v_cmp_lt_i64_e32 vcc, v[2:3], v[4:5]
	v_cndmask_b32_e64 v7, v7, 1, s[0:1]
	s_and_b64 vcc, s[0:1], vcc
	v_cndmask_b32_e32 v2, v4, v2, vcc
	v_and_b32_e32 v4, 1, v7
	v_cndmask_b32_e32 v3, v5, v3, vcc
	v_cmp_eq_u32_e32 vcc, 1, v4
	s_andn2_b64 s[0:1], s[0:1], exec
	s_and_b64 s[10:11], vcc, exec
	v_and_b32_e32 v6, 0xff, v7
	s_or_b64 s[0:1], s[0:1], s[10:11]
; %bb.11:
	s_or_b64 exec, exec, s[2:3]
	v_mov_b32_dpp v7, v6 row_bcast:31 row_mask:0xf bank_mask:0xf bound_ctrl:1
	v_and_b32_e32 v8, 1, v7
	v_mov_b32_dpp v4, v2 row_bcast:31 row_mask:0xf bank_mask:0xf bound_ctrl:1
	v_mov_b32_dpp v5, v3 row_bcast:31 row_mask:0xf bank_mask:0xf bound_ctrl:1
	v_cmp_eq_u32_e32 vcc, 1, v8
	s_and_saveexec_b64 s[2:3], vcc
; %bb.12:
	v_cmp_lt_i64_e32 vcc, v[2:3], v[4:5]
	v_and_b32_e32 v6, 0xff, v7
	s_and_b64 vcc, s[0:1], vcc
	v_cndmask_b32_e32 v2, v4, v2, vcc
	v_cndmask_b32_e32 v3, v5, v3, vcc
	v_cndmask_b32_e64 v6, v6, 1, s[0:1]
; %bb.13:
	s_or_b64 exec, exec, s[2:3]
	v_mbcnt_lo_u32_b32 v4, -1, 0
	v_mbcnt_hi_u32_b32 v4, -1, v4
	v_bfrev_b32_e32 v5, 0.5
	v_lshl_or_b32 v5, v4, 2, v5
	ds_bpermute_b32 v6, v5, v6
	ds_bpermute_b32 v2, v5, v2
	;; [unrolled: 1-line block ×3, first 2 shown]
	v_cmp_eq_u32_e32 vcc, 0, v4
	s_and_saveexec_b64 s[0:1], vcc
	s_cbranch_execz .LBB39_15
; %bb.14:
	v_lshrrev_b32_e32 v5, 2, v0
	v_and_b32_e32 v5, 48, v5
	s_waitcnt lgkmcnt(2)
	ds_write_b8 v5, v6
	s_waitcnt lgkmcnt(1)
	ds_write_b64 v5, v[2:3] offset:8
.LBB39_15:
	s_or_b64 exec, exec, s[0:1]
	v_cmp_gt_u32_e32 vcc, 64, v0
	s_waitcnt lgkmcnt(0)
	s_barrier
	s_and_saveexec_b64 s[2:3], vcc
	s_cbranch_execz .LBB39_17
; %bb.16:
	v_and_b32_e32 v5, 3, v4
	v_lshlrev_b32_e32 v2, 4, v5
	ds_read_u8 v8, v2
	ds_read_b64 v[2:3], v2 offset:8
	v_cmp_ne_u32_e32 vcc, 3, v5
	v_addc_co_u32_e32 v6, vcc, 0, v4, vcc
	s_waitcnt lgkmcnt(1)
	v_and_b32_e32 v7, 0xff, v8
	v_lshlrev_b32_e32 v9, 2, v6
	ds_bpermute_b32 v10, v9, v7
	s_waitcnt lgkmcnt(1)
	ds_bpermute_b32 v6, v9, v2
	ds_bpermute_b32 v7, v9, v3
	v_and_b32_e32 v9, 1, v8
	s_waitcnt lgkmcnt(2)
	v_and_b32_e32 v11, 1, v10
	v_cmp_eq_u32_e64 s[0:1], 1, v11
	s_waitcnt lgkmcnt(0)
	v_cmp_lt_i64_e32 vcc, v[6:7], v[2:3]
	s_and_b64 vcc, s[0:1], vcc
	v_cndmask_b32_e64 v8, v8, 1, s[0:1]
	v_cndmask_b32_e32 v2, v2, v6, vcc
	v_cndmask_b32_e32 v3, v3, v7, vcc
	v_cmp_eq_u32_e32 vcc, 1, v9
	v_cndmask_b32_e32 v8, v10, v8, vcc
	v_cndmask_b32_e32 v3, v7, v3, vcc
	;; [unrolled: 1-line block ×3, first 2 shown]
	v_cmp_gt_u32_e32 vcc, 2, v5
	v_cndmask_b32_e64 v5, 0, 1, vcc
	v_lshlrev_b32_e32 v5, 1, v5
	v_and_b32_e32 v6, 0xff, v8
	v_add_lshl_u32 v5, v5, v4, 2
	ds_bpermute_b32 v6, v5, v6
	ds_bpermute_b32 v4, v5, v2
	;; [unrolled: 1-line block ×3, first 2 shown]
	v_and_b32_e32 v7, 1, v8
	s_waitcnt lgkmcnt(2)
	v_and_b32_e32 v9, 1, v6
	v_cmp_eq_u32_e64 s[0:1], 1, v9
	s_waitcnt lgkmcnt(0)
	v_cmp_lt_i64_e32 vcc, v[4:5], v[2:3]
	s_and_b64 vcc, s[0:1], vcc
	v_cndmask_b32_e64 v8, v8, 1, s[0:1]
	v_cndmask_b32_e32 v2, v2, v4, vcc
	v_cndmask_b32_e32 v3, v3, v5, vcc
	v_cmp_eq_u32_e32 vcc, 1, v7
	v_cndmask_b32_e32 v6, v6, v8, vcc
	v_cndmask_b32_e32 v3, v5, v3, vcc
	;; [unrolled: 1-line block ×3, first 2 shown]
	v_and_b32_e32 v6, 0xff, v6
.LBB39_17:
	s_or_b64 exec, exec, s[2:3]
	s_load_dword s10, s[4:5], 0x50
	s_load_dwordx2 s[2:3], s[4:5], 0x58
	s_branch .LBB39_46
.LBB39_18:
                                        ; implicit-def: $vgpr2_vgpr3
                                        ; implicit-def: $vgpr6
	s_load_dword s10, s[4:5], 0x50
	s_load_dwordx2 s[2:3], s[4:5], 0x58
	s_cbranch_execz .LBB39_46
; %bb.19:
	s_sub_i32 s11, s12, s24
	v_pk_mov_b32 v[4:5], 0, 0
	v_cmp_gt_u32_e32 vcc, s11, v0
	v_mov_b32_e32 v6, 0
	v_pk_mov_b32 v[2:3], v[4:5], v[4:5] op_sel:[0,1]
	v_mov_b32_e32 v7, 0
	s_and_saveexec_b64 s[0:1], vcc
	s_cbranch_execz .LBB39_21
; %bb.20:
	global_load_dwordx2 v[8:9], v1, s[20:21]
	global_load_dwordx2 v[10:11], v1, s[22:23]
	v_mov_b32_e32 v3, s9
	v_add_co_u32_e32 v2, vcc, s8, v0
	v_addc_co_u32_e32 v3, vcc, 0, v3, vcc
	s_waitcnt vmcnt(0)
	v_cmp_neq_f64_e32 vcc, v[8:9], v[10:11]
	v_cndmask_b32_e64 v7, 0, 1, vcc
.LBB39_21:
	s_or_b64 exec, exec, s[0:1]
	v_or_b32_e32 v8, 0x100, v0
	v_cmp_gt_u32_e32 vcc, s11, v8
	s_and_saveexec_b64 s[4:5], vcc
	s_cbranch_execz .LBB39_23
; %bb.22:
	global_load_dwordx2 v[10:11], v1, s[20:21] offset:2048
	global_load_dwordx2 v[12:13], v1, s[22:23] offset:2048
	v_mov_b32_e32 v1, s9
	v_add_co_u32_e64 v4, s[0:1], s8, v8
	v_addc_co_u32_e64 v5, s[0:1], 0, v1, s[0:1]
	s_waitcnt vmcnt(0)
	v_cmp_neq_f64_e64 s[0:1], v[10:11], v[12:13]
	v_cndmask_b32_e64 v6, 0, 1, s[0:1]
.LBB39_23:
	s_or_b64 exec, exec, s[4:5]
	s_and_saveexec_b64 s[4:5], vcc
	s_cbranch_execz .LBB39_25
; %bb.24:
	v_and_b32_e32 v8, 1, v6
	v_cmp_lt_i64_e32 vcc, v[4:5], v[2:3]
	v_cmp_eq_u32_e64 s[0:1], 1, v8
	v_and_b32_e32 v1, 1, v7
	s_and_b64 vcc, s[0:1], vcc
	v_cndmask_b32_e64 v7, v7, 1, s[0:1]
	v_cndmask_b32_e32 v2, v2, v4, vcc
	v_cndmask_b32_e32 v3, v3, v5, vcc
	v_cmp_eq_u32_e32 vcc, 1, v1
	v_cndmask_b32_e32 v7, v6, v7, vcc
	v_cndmask_b32_e32 v3, v5, v3, vcc
	;; [unrolled: 1-line block ×3, first 2 shown]
.LBB39_25:
	s_or_b64 exec, exec, s[4:5]
	v_mbcnt_lo_u32_b32 v1, -1, 0
	v_mbcnt_hi_u32_b32 v1, -1, v1
	v_and_b32_e32 v8, 63, v1
	v_cmp_ne_u32_e32 vcc, 63, v8
	v_addc_co_u32_e32 v4, vcc, 0, v1, vcc
	v_and_b32_e32 v6, 0xffff, v7
	v_lshlrev_b32_e32 v5, 2, v4
	ds_bpermute_b32 v10, v5, v6
	ds_bpermute_b32 v4, v5, v2
	;; [unrolled: 1-line block ×3, first 2 shown]
	s_min_u32 s8, s11, 0x100
	v_and_b32_e32 v9, 0xc0, v0
	v_sub_u32_e64 v9, s8, v9 clamp
	v_add_u32_e32 v11, 1, v8
	v_cmp_lt_u32_e32 vcc, v11, v9
	s_and_saveexec_b64 s[4:5], vcc
	s_cbranch_execz .LBB39_27
; %bb.26:
	s_waitcnt lgkmcnt(0)
	v_and_b32_e32 v11, 1, v10
	v_cmp_lt_i64_e32 vcc, v[4:5], v[2:3]
	v_cmp_eq_u32_e64 s[0:1], 1, v11
	v_and_b32_e32 v6, 1, v7
	s_and_b64 vcc, s[0:1], vcc
	v_cndmask_b32_e64 v7, v7, 1, s[0:1]
	v_cndmask_b32_e32 v2, v2, v4, vcc
	v_cndmask_b32_e32 v3, v3, v5, vcc
	v_cmp_eq_u32_e32 vcc, 1, v6
	v_cndmask_b32_e32 v7, v10, v7, vcc
	v_cndmask_b32_e32 v3, v5, v3, vcc
	;; [unrolled: 1-line block ×3, first 2 shown]
	v_and_b32_e32 v6, 0xff, v7
.LBB39_27:
	s_or_b64 exec, exec, s[4:5]
	v_cmp_gt_u32_e32 vcc, 62, v8
	s_waitcnt lgkmcnt(0)
	v_cndmask_b32_e64 v4, 0, 1, vcc
	v_lshlrev_b32_e32 v4, 1, v4
	v_add_lshl_u32 v5, v4, v1, 2
	ds_bpermute_b32 v10, v5, v6
	ds_bpermute_b32 v4, v5, v2
	ds_bpermute_b32 v5, v5, v3
	v_add_u32_e32 v11, 2, v8
	v_cmp_lt_u32_e32 vcc, v11, v9
	s_and_saveexec_b64 s[4:5], vcc
	s_cbranch_execz .LBB39_29
; %bb.28:
	s_waitcnt lgkmcnt(2)
	v_and_b32_e32 v11, 1, v10
	s_waitcnt lgkmcnt(0)
	v_cmp_lt_i64_e32 vcc, v[4:5], v[2:3]
	v_cmp_eq_u32_e64 s[0:1], 1, v11
	v_and_b32_e32 v6, 1, v7
	s_and_b64 vcc, s[0:1], vcc
	v_cndmask_b32_e64 v7, v7, 1, s[0:1]
	v_cndmask_b32_e32 v2, v2, v4, vcc
	v_cndmask_b32_e32 v3, v3, v5, vcc
	v_cmp_eq_u32_e32 vcc, 1, v6
	v_cndmask_b32_e32 v7, v10, v7, vcc
	v_cndmask_b32_e32 v3, v5, v3, vcc
	v_cndmask_b32_e32 v2, v4, v2, vcc
	v_and_b32_e32 v6, 0xff, v7
.LBB39_29:
	s_or_b64 exec, exec, s[4:5]
	v_cmp_gt_u32_e32 vcc, 60, v8
	s_waitcnt lgkmcnt(1)
	v_cndmask_b32_e64 v4, 0, 1, vcc
	v_lshlrev_b32_e32 v4, 2, v4
	s_waitcnt lgkmcnt(0)
	v_add_lshl_u32 v5, v4, v1, 2
	ds_bpermute_b32 v10, v5, v6
	ds_bpermute_b32 v4, v5, v2
	ds_bpermute_b32 v5, v5, v3
	v_add_u32_e32 v11, 4, v8
	v_cmp_lt_u32_e32 vcc, v11, v9
	s_and_saveexec_b64 s[4:5], vcc
	s_cbranch_execz .LBB39_31
; %bb.30:
	s_waitcnt lgkmcnt(2)
	v_and_b32_e32 v11, 1, v10
	s_waitcnt lgkmcnt(0)
	v_cmp_lt_i64_e32 vcc, v[4:5], v[2:3]
	v_cmp_eq_u32_e64 s[0:1], 1, v11
	v_and_b32_e32 v6, 1, v7
	s_and_b64 vcc, s[0:1], vcc
	v_cndmask_b32_e64 v7, v7, 1, s[0:1]
	v_cndmask_b32_e32 v2, v2, v4, vcc
	v_cndmask_b32_e32 v3, v3, v5, vcc
	v_cmp_eq_u32_e32 vcc, 1, v6
	v_cndmask_b32_e32 v7, v10, v7, vcc
	v_cndmask_b32_e32 v3, v5, v3, vcc
	v_cndmask_b32_e32 v2, v4, v2, vcc
	v_and_b32_e32 v6, 0xff, v7
.LBB39_31:
	s_or_b64 exec, exec, s[4:5]
	v_cmp_gt_u32_e32 vcc, 56, v8
	s_waitcnt lgkmcnt(1)
	v_cndmask_b32_e64 v4, 0, 1, vcc
	v_lshlrev_b32_e32 v4, 3, v4
	s_waitcnt lgkmcnt(0)
	;; [unrolled: 31-line block ×4, first 2 shown]
	v_add_lshl_u32 v5, v4, v1, 2
	ds_bpermute_b32 v10, v5, v6
	ds_bpermute_b32 v4, v5, v2
	ds_bpermute_b32 v5, v5, v3
	v_add_u32_e32 v8, 32, v8
	v_cmp_lt_u32_e32 vcc, v8, v9
	s_and_saveexec_b64 s[4:5], vcc
	s_cbranch_execz .LBB39_37
; %bb.36:
	s_waitcnt lgkmcnt(2)
	v_and_b32_e32 v8, 1, v10
	s_waitcnt lgkmcnt(0)
	v_cmp_lt_i64_e32 vcc, v[4:5], v[2:3]
	v_cmp_eq_u32_e64 s[0:1], 1, v8
	v_and_b32_e32 v6, 1, v7
	s_and_b64 vcc, s[0:1], vcc
	v_cndmask_b32_e64 v7, v7, 1, s[0:1]
	v_cndmask_b32_e32 v2, v2, v4, vcc
	v_cndmask_b32_e32 v3, v3, v5, vcc
	v_cmp_eq_u32_e32 vcc, 1, v6
	v_cndmask_b32_e32 v7, v10, v7, vcc
	v_cndmask_b32_e32 v3, v5, v3, vcc
	;; [unrolled: 1-line block ×3, first 2 shown]
	v_and_b32_e32 v6, 0xff, v7
.LBB39_37:
	s_or_b64 exec, exec, s[4:5]
	v_cmp_eq_u32_e32 vcc, 0, v1
	s_and_saveexec_b64 s[0:1], vcc
	s_cbranch_execz .LBB39_39
; %bb.38:
	s_waitcnt lgkmcnt(1)
	v_lshrrev_b32_e32 v4, 2, v0
	v_and_b32_e32 v4, 48, v4
	ds_write_b8 v4, v7 offset:64
	ds_write_b64 v4, v[2:3] offset:72
.LBB39_39:
	s_or_b64 exec, exec, s[0:1]
	v_cmp_gt_u32_e32 vcc, 4, v0
	s_waitcnt lgkmcnt(0)
	s_barrier
	s_and_saveexec_b64 s[4:5], vcc
	s_cbranch_execz .LBB39_45
; %bb.40:
	v_lshlrev_b32_e32 v2, 4, v1
	ds_read_u8 v7, v2 offset:64
	ds_read_b64 v[2:3], v2 offset:72
	v_and_b32_e32 v8, 3, v1
	v_cmp_ne_u32_e32 vcc, 3, v8
	v_addc_co_u32_e32 v4, vcc, 0, v1, vcc
	s_waitcnt lgkmcnt(1)
	v_and_b32_e32 v6, 0xff, v7
	v_lshlrev_b32_e32 v5, 2, v4
	ds_bpermute_b32 v9, v5, v6
	s_waitcnt lgkmcnt(1)
	ds_bpermute_b32 v4, v5, v2
	ds_bpermute_b32 v5, v5, v3
	s_add_i32 s8, s8, 63
	s_lshr_b32 s11, s8, 6
	v_add_u32_e32 v10, 1, v8
	v_cmp_gt_u32_e32 vcc, s11, v10
	s_and_saveexec_b64 s[8:9], vcc
	s_cbranch_execz .LBB39_42
; %bb.41:
	s_waitcnt lgkmcnt(2)
	v_and_b32_e32 v10, 1, v9
	s_waitcnt lgkmcnt(0)
	v_cmp_lt_i64_e32 vcc, v[4:5], v[2:3]
	v_cmp_eq_u32_e64 s[0:1], 1, v10
	v_and_b32_e32 v6, 1, v7
	s_and_b64 vcc, s[0:1], vcc
	v_cndmask_b32_e64 v7, v7, 1, s[0:1]
	v_cndmask_b32_e32 v2, v2, v4, vcc
	v_cndmask_b32_e32 v3, v3, v5, vcc
	v_cmp_eq_u32_e32 vcc, 1, v6
	v_cndmask_b32_e32 v7, v9, v7, vcc
	v_cndmask_b32_e32 v3, v5, v3, vcc
	;; [unrolled: 1-line block ×3, first 2 shown]
	v_and_b32_e32 v6, 0xff, v7
.LBB39_42:
	s_or_b64 exec, exec, s[8:9]
	v_cmp_gt_u32_e32 vcc, 2, v8
	s_waitcnt lgkmcnt(1)
	v_cndmask_b32_e64 v4, 0, 1, vcc
	v_lshlrev_b32_e32 v4, 1, v4
	s_waitcnt lgkmcnt(0)
	v_add_lshl_u32 v5, v4, v1, 2
	ds_bpermute_b32 v1, v5, v6
	ds_bpermute_b32 v4, v5, v2
	;; [unrolled: 1-line block ×3, first 2 shown]
	v_add_u32_e32 v8, 2, v8
	v_cmp_gt_u32_e32 vcc, s11, v8
	s_and_saveexec_b64 s[8:9], vcc
	s_cbranch_execz .LBB39_44
; %bb.43:
	s_waitcnt lgkmcnt(2)
	v_and_b32_e32 v8, 1, v1
	s_waitcnt lgkmcnt(0)
	v_cmp_lt_i64_e32 vcc, v[4:5], v[2:3]
	v_cmp_eq_u32_e64 s[0:1], 1, v8
	v_and_b32_e32 v6, 1, v7
	s_and_b64 vcc, s[0:1], vcc
	v_cndmask_b32_e64 v7, v7, 1, s[0:1]
	v_cndmask_b32_e32 v2, v2, v4, vcc
	v_cndmask_b32_e32 v3, v3, v5, vcc
	v_cmp_eq_u32_e32 vcc, 1, v6
	v_cndmask_b32_e32 v1, v1, v7, vcc
	v_cndmask_b32_e32 v3, v5, v3, vcc
	;; [unrolled: 1-line block ×3, first 2 shown]
	v_and_b32_e32 v6, 0xff, v1
.LBB39_44:
	s_or_b64 exec, exec, s[8:9]
.LBB39_45:
	s_or_b64 exec, exec, s[4:5]
.LBB39_46:
	v_cmp_eq_u32_e32 vcc, 0, v0
	s_and_saveexec_b64 s[0:1], vcc
	s_cbranch_execnz .LBB39_48
; %bb.47:
	s_endpgm
.LBB39_48:
	s_mul_i32 s0, s18, s17
	s_mul_hi_u32 s1, s18, s16
	s_add_i32 s0, s1, s0
	s_mul_i32 s1, s19, s16
	s_add_i32 s1, s0, s1
	s_mul_i32 s0, s18, s16
	s_lshl_b64 s[0:1], s[0:1], 4
	s_add_u32 s4, s14, s0
	s_addc_u32 s5, s15, s1
	s_cmp_eq_u64 s[12:13], 0
	s_waitcnt lgkmcnt(0)
	v_mov_b32_e32 v0, s3
	s_cselect_b64 vcc, -1, 0
	v_cndmask_b32_e32 v1, v3, v0, vcc
	v_mov_b32_e32 v0, s2
	s_lshl_b64 s[0:1], s[6:7], 4
	v_cndmask_b32_e32 v0, v2, v0, vcc
	v_mov_b32_e32 v2, s10
	s_add_u32 s0, s4, s0
	v_cndmask_b32_e32 v2, v6, v2, vcc
	s_addc_u32 s1, s5, s1
	v_mov_b32_e32 v3, 0
	global_store_byte v3, v2, s[0:1]
	global_store_dwordx2 v3, v[0:1], s[0:1] offset:8
	s_endpgm
	.section	.rodata,"a",@progbits
	.p2align	6, 0x0
	.amdhsa_kernel _ZN7rocprim17ROCPRIM_400000_NS6detail17trampoline_kernelINS0_14default_configENS1_22reduce_config_selectorIN6thrust23THRUST_200600_302600_NS5tupleIblNS6_9null_typeES8_S8_S8_S8_S8_S8_S8_EEEEZNS1_11reduce_implILb1ES3_NS6_12zip_iteratorINS7_INS6_11hip_rocprim26transform_input_iterator_tIbNSD_35transform_pair_of_input_iterators_tIbNS6_6detail15normal_iteratorINS6_10device_ptrIKdEEEESL_NS6_8equal_toIdEEEENSG_9not_fun_tINSD_8identityEEEEENSD_19counting_iterator_tIlEES8_S8_S8_S8_S8_S8_S8_S8_EEEEPS9_S9_NSD_9__find_if7functorIS9_EEEE10hipError_tPvRmT1_T2_T3_mT4_P12ihipStream_tbEUlT_E0_NS1_11comp_targetILNS1_3genE4ELNS1_11target_archE910ELNS1_3gpuE8ELNS1_3repE0EEENS1_30default_config_static_selectorELNS0_4arch9wavefront6targetE1EEEvS14_
		.amdhsa_group_segment_fixed_size 128
		.amdhsa_private_segment_fixed_size 0
		.amdhsa_kernarg_size 104
		.amdhsa_user_sgpr_count 6
		.amdhsa_user_sgpr_private_segment_buffer 1
		.amdhsa_user_sgpr_dispatch_ptr 0
		.amdhsa_user_sgpr_queue_ptr 0
		.amdhsa_user_sgpr_kernarg_segment_ptr 1
		.amdhsa_user_sgpr_dispatch_id 0
		.amdhsa_user_sgpr_flat_scratch_init 0
		.amdhsa_user_sgpr_kernarg_preload_length 0
		.amdhsa_user_sgpr_kernarg_preload_offset 0
		.amdhsa_user_sgpr_private_segment_size 0
		.amdhsa_uses_dynamic_stack 0
		.amdhsa_system_sgpr_private_segment_wavefront_offset 0
		.amdhsa_system_sgpr_workgroup_id_x 1
		.amdhsa_system_sgpr_workgroup_id_y 0
		.amdhsa_system_sgpr_workgroup_id_z 0
		.amdhsa_system_sgpr_workgroup_info 0
		.amdhsa_system_vgpr_workitem_id 0
		.amdhsa_next_free_vgpr 14
		.amdhsa_next_free_sgpr 28
		.amdhsa_accum_offset 16
		.amdhsa_reserve_vcc 1
		.amdhsa_reserve_flat_scratch 0
		.amdhsa_float_round_mode_32 0
		.amdhsa_float_round_mode_16_64 0
		.amdhsa_float_denorm_mode_32 3
		.amdhsa_float_denorm_mode_16_64 3
		.amdhsa_dx10_clamp 1
		.amdhsa_ieee_mode 1
		.amdhsa_fp16_overflow 0
		.amdhsa_tg_split 0
		.amdhsa_exception_fp_ieee_invalid_op 0
		.amdhsa_exception_fp_denorm_src 0
		.amdhsa_exception_fp_ieee_div_zero 0
		.amdhsa_exception_fp_ieee_overflow 0
		.amdhsa_exception_fp_ieee_underflow 0
		.amdhsa_exception_fp_ieee_inexact 0
		.amdhsa_exception_int_div_zero 0
	.end_amdhsa_kernel
	.section	.text._ZN7rocprim17ROCPRIM_400000_NS6detail17trampoline_kernelINS0_14default_configENS1_22reduce_config_selectorIN6thrust23THRUST_200600_302600_NS5tupleIblNS6_9null_typeES8_S8_S8_S8_S8_S8_S8_EEEEZNS1_11reduce_implILb1ES3_NS6_12zip_iteratorINS7_INS6_11hip_rocprim26transform_input_iterator_tIbNSD_35transform_pair_of_input_iterators_tIbNS6_6detail15normal_iteratorINS6_10device_ptrIKdEEEESL_NS6_8equal_toIdEEEENSG_9not_fun_tINSD_8identityEEEEENSD_19counting_iterator_tIlEES8_S8_S8_S8_S8_S8_S8_S8_EEEEPS9_S9_NSD_9__find_if7functorIS9_EEEE10hipError_tPvRmT1_T2_T3_mT4_P12ihipStream_tbEUlT_E0_NS1_11comp_targetILNS1_3genE4ELNS1_11target_archE910ELNS1_3gpuE8ELNS1_3repE0EEENS1_30default_config_static_selectorELNS0_4arch9wavefront6targetE1EEEvS14_,"axG",@progbits,_ZN7rocprim17ROCPRIM_400000_NS6detail17trampoline_kernelINS0_14default_configENS1_22reduce_config_selectorIN6thrust23THRUST_200600_302600_NS5tupleIblNS6_9null_typeES8_S8_S8_S8_S8_S8_S8_EEEEZNS1_11reduce_implILb1ES3_NS6_12zip_iteratorINS7_INS6_11hip_rocprim26transform_input_iterator_tIbNSD_35transform_pair_of_input_iterators_tIbNS6_6detail15normal_iteratorINS6_10device_ptrIKdEEEESL_NS6_8equal_toIdEEEENSG_9not_fun_tINSD_8identityEEEEENSD_19counting_iterator_tIlEES8_S8_S8_S8_S8_S8_S8_S8_EEEEPS9_S9_NSD_9__find_if7functorIS9_EEEE10hipError_tPvRmT1_T2_T3_mT4_P12ihipStream_tbEUlT_E0_NS1_11comp_targetILNS1_3genE4ELNS1_11target_archE910ELNS1_3gpuE8ELNS1_3repE0EEENS1_30default_config_static_selectorELNS0_4arch9wavefront6targetE1EEEvS14_,comdat
.Lfunc_end39:
	.size	_ZN7rocprim17ROCPRIM_400000_NS6detail17trampoline_kernelINS0_14default_configENS1_22reduce_config_selectorIN6thrust23THRUST_200600_302600_NS5tupleIblNS6_9null_typeES8_S8_S8_S8_S8_S8_S8_EEEEZNS1_11reduce_implILb1ES3_NS6_12zip_iteratorINS7_INS6_11hip_rocprim26transform_input_iterator_tIbNSD_35transform_pair_of_input_iterators_tIbNS6_6detail15normal_iteratorINS6_10device_ptrIKdEEEESL_NS6_8equal_toIdEEEENSG_9not_fun_tINSD_8identityEEEEENSD_19counting_iterator_tIlEES8_S8_S8_S8_S8_S8_S8_S8_EEEEPS9_S9_NSD_9__find_if7functorIS9_EEEE10hipError_tPvRmT1_T2_T3_mT4_P12ihipStream_tbEUlT_E0_NS1_11comp_targetILNS1_3genE4ELNS1_11target_archE910ELNS1_3gpuE8ELNS1_3repE0EEENS1_30default_config_static_selectorELNS0_4arch9wavefront6targetE1EEEvS14_, .Lfunc_end39-_ZN7rocprim17ROCPRIM_400000_NS6detail17trampoline_kernelINS0_14default_configENS1_22reduce_config_selectorIN6thrust23THRUST_200600_302600_NS5tupleIblNS6_9null_typeES8_S8_S8_S8_S8_S8_S8_EEEEZNS1_11reduce_implILb1ES3_NS6_12zip_iteratorINS7_INS6_11hip_rocprim26transform_input_iterator_tIbNSD_35transform_pair_of_input_iterators_tIbNS6_6detail15normal_iteratorINS6_10device_ptrIKdEEEESL_NS6_8equal_toIdEEEENSG_9not_fun_tINSD_8identityEEEEENSD_19counting_iterator_tIlEES8_S8_S8_S8_S8_S8_S8_S8_EEEEPS9_S9_NSD_9__find_if7functorIS9_EEEE10hipError_tPvRmT1_T2_T3_mT4_P12ihipStream_tbEUlT_E0_NS1_11comp_targetILNS1_3genE4ELNS1_11target_archE910ELNS1_3gpuE8ELNS1_3repE0EEENS1_30default_config_static_selectorELNS0_4arch9wavefront6targetE1EEEvS14_
                                        ; -- End function
	.section	.AMDGPU.csdata,"",@progbits
; Kernel info:
; codeLenInByte = 2844
; NumSgprs: 32
; NumVgprs: 14
; NumAgprs: 0
; TotalNumVgprs: 14
; ScratchSize: 0
; MemoryBound: 0
; FloatMode: 240
; IeeeMode: 1
; LDSByteSize: 128 bytes/workgroup (compile time only)
; SGPRBlocks: 3
; VGPRBlocks: 1
; NumSGPRsForWavesPerEU: 32
; NumVGPRsForWavesPerEU: 14
; AccumOffset: 16
; Occupancy: 8
; WaveLimiterHint : 0
; COMPUTE_PGM_RSRC2:SCRATCH_EN: 0
; COMPUTE_PGM_RSRC2:USER_SGPR: 6
; COMPUTE_PGM_RSRC2:TRAP_HANDLER: 0
; COMPUTE_PGM_RSRC2:TGID_X_EN: 1
; COMPUTE_PGM_RSRC2:TGID_Y_EN: 0
; COMPUTE_PGM_RSRC2:TGID_Z_EN: 0
; COMPUTE_PGM_RSRC2:TIDIG_COMP_CNT: 0
; COMPUTE_PGM_RSRC3_GFX90A:ACCUM_OFFSET: 3
; COMPUTE_PGM_RSRC3_GFX90A:TG_SPLIT: 0
	.section	.text._ZN7rocprim17ROCPRIM_400000_NS6detail17trampoline_kernelINS0_14default_configENS1_22reduce_config_selectorIN6thrust23THRUST_200600_302600_NS5tupleIblNS6_9null_typeES8_S8_S8_S8_S8_S8_S8_EEEEZNS1_11reduce_implILb1ES3_NS6_12zip_iteratorINS7_INS6_11hip_rocprim26transform_input_iterator_tIbNSD_35transform_pair_of_input_iterators_tIbNS6_6detail15normal_iteratorINS6_10device_ptrIKdEEEESL_NS6_8equal_toIdEEEENSG_9not_fun_tINSD_8identityEEEEENSD_19counting_iterator_tIlEES8_S8_S8_S8_S8_S8_S8_S8_EEEEPS9_S9_NSD_9__find_if7functorIS9_EEEE10hipError_tPvRmT1_T2_T3_mT4_P12ihipStream_tbEUlT_E0_NS1_11comp_targetILNS1_3genE3ELNS1_11target_archE908ELNS1_3gpuE7ELNS1_3repE0EEENS1_30default_config_static_selectorELNS0_4arch9wavefront6targetE1EEEvS14_,"axG",@progbits,_ZN7rocprim17ROCPRIM_400000_NS6detail17trampoline_kernelINS0_14default_configENS1_22reduce_config_selectorIN6thrust23THRUST_200600_302600_NS5tupleIblNS6_9null_typeES8_S8_S8_S8_S8_S8_S8_EEEEZNS1_11reduce_implILb1ES3_NS6_12zip_iteratorINS7_INS6_11hip_rocprim26transform_input_iterator_tIbNSD_35transform_pair_of_input_iterators_tIbNS6_6detail15normal_iteratorINS6_10device_ptrIKdEEEESL_NS6_8equal_toIdEEEENSG_9not_fun_tINSD_8identityEEEEENSD_19counting_iterator_tIlEES8_S8_S8_S8_S8_S8_S8_S8_EEEEPS9_S9_NSD_9__find_if7functorIS9_EEEE10hipError_tPvRmT1_T2_T3_mT4_P12ihipStream_tbEUlT_E0_NS1_11comp_targetILNS1_3genE3ELNS1_11target_archE908ELNS1_3gpuE7ELNS1_3repE0EEENS1_30default_config_static_selectorELNS0_4arch9wavefront6targetE1EEEvS14_,comdat
	.protected	_ZN7rocprim17ROCPRIM_400000_NS6detail17trampoline_kernelINS0_14default_configENS1_22reduce_config_selectorIN6thrust23THRUST_200600_302600_NS5tupleIblNS6_9null_typeES8_S8_S8_S8_S8_S8_S8_EEEEZNS1_11reduce_implILb1ES3_NS6_12zip_iteratorINS7_INS6_11hip_rocprim26transform_input_iterator_tIbNSD_35transform_pair_of_input_iterators_tIbNS6_6detail15normal_iteratorINS6_10device_ptrIKdEEEESL_NS6_8equal_toIdEEEENSG_9not_fun_tINSD_8identityEEEEENSD_19counting_iterator_tIlEES8_S8_S8_S8_S8_S8_S8_S8_EEEEPS9_S9_NSD_9__find_if7functorIS9_EEEE10hipError_tPvRmT1_T2_T3_mT4_P12ihipStream_tbEUlT_E0_NS1_11comp_targetILNS1_3genE3ELNS1_11target_archE908ELNS1_3gpuE7ELNS1_3repE0EEENS1_30default_config_static_selectorELNS0_4arch9wavefront6targetE1EEEvS14_ ; -- Begin function _ZN7rocprim17ROCPRIM_400000_NS6detail17trampoline_kernelINS0_14default_configENS1_22reduce_config_selectorIN6thrust23THRUST_200600_302600_NS5tupleIblNS6_9null_typeES8_S8_S8_S8_S8_S8_S8_EEEEZNS1_11reduce_implILb1ES3_NS6_12zip_iteratorINS7_INS6_11hip_rocprim26transform_input_iterator_tIbNSD_35transform_pair_of_input_iterators_tIbNS6_6detail15normal_iteratorINS6_10device_ptrIKdEEEESL_NS6_8equal_toIdEEEENSG_9not_fun_tINSD_8identityEEEEENSD_19counting_iterator_tIlEES8_S8_S8_S8_S8_S8_S8_S8_EEEEPS9_S9_NSD_9__find_if7functorIS9_EEEE10hipError_tPvRmT1_T2_T3_mT4_P12ihipStream_tbEUlT_E0_NS1_11comp_targetILNS1_3genE3ELNS1_11target_archE908ELNS1_3gpuE7ELNS1_3repE0EEENS1_30default_config_static_selectorELNS0_4arch9wavefront6targetE1EEEvS14_
	.globl	_ZN7rocprim17ROCPRIM_400000_NS6detail17trampoline_kernelINS0_14default_configENS1_22reduce_config_selectorIN6thrust23THRUST_200600_302600_NS5tupleIblNS6_9null_typeES8_S8_S8_S8_S8_S8_S8_EEEEZNS1_11reduce_implILb1ES3_NS6_12zip_iteratorINS7_INS6_11hip_rocprim26transform_input_iterator_tIbNSD_35transform_pair_of_input_iterators_tIbNS6_6detail15normal_iteratorINS6_10device_ptrIKdEEEESL_NS6_8equal_toIdEEEENSG_9not_fun_tINSD_8identityEEEEENSD_19counting_iterator_tIlEES8_S8_S8_S8_S8_S8_S8_S8_EEEEPS9_S9_NSD_9__find_if7functorIS9_EEEE10hipError_tPvRmT1_T2_T3_mT4_P12ihipStream_tbEUlT_E0_NS1_11comp_targetILNS1_3genE3ELNS1_11target_archE908ELNS1_3gpuE7ELNS1_3repE0EEENS1_30default_config_static_selectorELNS0_4arch9wavefront6targetE1EEEvS14_
	.p2align	8
	.type	_ZN7rocprim17ROCPRIM_400000_NS6detail17trampoline_kernelINS0_14default_configENS1_22reduce_config_selectorIN6thrust23THRUST_200600_302600_NS5tupleIblNS6_9null_typeES8_S8_S8_S8_S8_S8_S8_EEEEZNS1_11reduce_implILb1ES3_NS6_12zip_iteratorINS7_INS6_11hip_rocprim26transform_input_iterator_tIbNSD_35transform_pair_of_input_iterators_tIbNS6_6detail15normal_iteratorINS6_10device_ptrIKdEEEESL_NS6_8equal_toIdEEEENSG_9not_fun_tINSD_8identityEEEEENSD_19counting_iterator_tIlEES8_S8_S8_S8_S8_S8_S8_S8_EEEEPS9_S9_NSD_9__find_if7functorIS9_EEEE10hipError_tPvRmT1_T2_T3_mT4_P12ihipStream_tbEUlT_E0_NS1_11comp_targetILNS1_3genE3ELNS1_11target_archE908ELNS1_3gpuE7ELNS1_3repE0EEENS1_30default_config_static_selectorELNS0_4arch9wavefront6targetE1EEEvS14_,@function
_ZN7rocprim17ROCPRIM_400000_NS6detail17trampoline_kernelINS0_14default_configENS1_22reduce_config_selectorIN6thrust23THRUST_200600_302600_NS5tupleIblNS6_9null_typeES8_S8_S8_S8_S8_S8_S8_EEEEZNS1_11reduce_implILb1ES3_NS6_12zip_iteratorINS7_INS6_11hip_rocprim26transform_input_iterator_tIbNSD_35transform_pair_of_input_iterators_tIbNS6_6detail15normal_iteratorINS6_10device_ptrIKdEEEESL_NS6_8equal_toIdEEEENSG_9not_fun_tINSD_8identityEEEEENSD_19counting_iterator_tIlEES8_S8_S8_S8_S8_S8_S8_S8_EEEEPS9_S9_NSD_9__find_if7functorIS9_EEEE10hipError_tPvRmT1_T2_T3_mT4_P12ihipStream_tbEUlT_E0_NS1_11comp_targetILNS1_3genE3ELNS1_11target_archE908ELNS1_3gpuE7ELNS1_3repE0EEENS1_30default_config_static_selectorELNS0_4arch9wavefront6targetE1EEEvS14_: ; @_ZN7rocprim17ROCPRIM_400000_NS6detail17trampoline_kernelINS0_14default_configENS1_22reduce_config_selectorIN6thrust23THRUST_200600_302600_NS5tupleIblNS6_9null_typeES8_S8_S8_S8_S8_S8_S8_EEEEZNS1_11reduce_implILb1ES3_NS6_12zip_iteratorINS7_INS6_11hip_rocprim26transform_input_iterator_tIbNSD_35transform_pair_of_input_iterators_tIbNS6_6detail15normal_iteratorINS6_10device_ptrIKdEEEESL_NS6_8equal_toIdEEEENSG_9not_fun_tINSD_8identityEEEEENSD_19counting_iterator_tIlEES8_S8_S8_S8_S8_S8_S8_S8_EEEEPS9_S9_NSD_9__find_if7functorIS9_EEEE10hipError_tPvRmT1_T2_T3_mT4_P12ihipStream_tbEUlT_E0_NS1_11comp_targetILNS1_3genE3ELNS1_11target_archE908ELNS1_3gpuE7ELNS1_3repE0EEENS1_30default_config_static_selectorELNS0_4arch9wavefront6targetE1EEEvS14_
; %bb.0:
	.section	.rodata,"a",@progbits
	.p2align	6, 0x0
	.amdhsa_kernel _ZN7rocprim17ROCPRIM_400000_NS6detail17trampoline_kernelINS0_14default_configENS1_22reduce_config_selectorIN6thrust23THRUST_200600_302600_NS5tupleIblNS6_9null_typeES8_S8_S8_S8_S8_S8_S8_EEEEZNS1_11reduce_implILb1ES3_NS6_12zip_iteratorINS7_INS6_11hip_rocprim26transform_input_iterator_tIbNSD_35transform_pair_of_input_iterators_tIbNS6_6detail15normal_iteratorINS6_10device_ptrIKdEEEESL_NS6_8equal_toIdEEEENSG_9not_fun_tINSD_8identityEEEEENSD_19counting_iterator_tIlEES8_S8_S8_S8_S8_S8_S8_S8_EEEEPS9_S9_NSD_9__find_if7functorIS9_EEEE10hipError_tPvRmT1_T2_T3_mT4_P12ihipStream_tbEUlT_E0_NS1_11comp_targetILNS1_3genE3ELNS1_11target_archE908ELNS1_3gpuE7ELNS1_3repE0EEENS1_30default_config_static_selectorELNS0_4arch9wavefront6targetE1EEEvS14_
		.amdhsa_group_segment_fixed_size 0
		.amdhsa_private_segment_fixed_size 0
		.amdhsa_kernarg_size 104
		.amdhsa_user_sgpr_count 6
		.amdhsa_user_sgpr_private_segment_buffer 1
		.amdhsa_user_sgpr_dispatch_ptr 0
		.amdhsa_user_sgpr_queue_ptr 0
		.amdhsa_user_sgpr_kernarg_segment_ptr 1
		.amdhsa_user_sgpr_dispatch_id 0
		.amdhsa_user_sgpr_flat_scratch_init 0
		.amdhsa_user_sgpr_kernarg_preload_length 0
		.amdhsa_user_sgpr_kernarg_preload_offset 0
		.amdhsa_user_sgpr_private_segment_size 0
		.amdhsa_uses_dynamic_stack 0
		.amdhsa_system_sgpr_private_segment_wavefront_offset 0
		.amdhsa_system_sgpr_workgroup_id_x 1
		.amdhsa_system_sgpr_workgroup_id_y 0
		.amdhsa_system_sgpr_workgroup_id_z 0
		.amdhsa_system_sgpr_workgroup_info 0
		.amdhsa_system_vgpr_workitem_id 0
		.amdhsa_next_free_vgpr 1
		.amdhsa_next_free_sgpr 0
		.amdhsa_accum_offset 4
		.amdhsa_reserve_vcc 0
		.amdhsa_reserve_flat_scratch 0
		.amdhsa_float_round_mode_32 0
		.amdhsa_float_round_mode_16_64 0
		.amdhsa_float_denorm_mode_32 3
		.amdhsa_float_denorm_mode_16_64 3
		.amdhsa_dx10_clamp 1
		.amdhsa_ieee_mode 1
		.amdhsa_fp16_overflow 0
		.amdhsa_tg_split 0
		.amdhsa_exception_fp_ieee_invalid_op 0
		.amdhsa_exception_fp_denorm_src 0
		.amdhsa_exception_fp_ieee_div_zero 0
		.amdhsa_exception_fp_ieee_overflow 0
		.amdhsa_exception_fp_ieee_underflow 0
		.amdhsa_exception_fp_ieee_inexact 0
		.amdhsa_exception_int_div_zero 0
	.end_amdhsa_kernel
	.section	.text._ZN7rocprim17ROCPRIM_400000_NS6detail17trampoline_kernelINS0_14default_configENS1_22reduce_config_selectorIN6thrust23THRUST_200600_302600_NS5tupleIblNS6_9null_typeES8_S8_S8_S8_S8_S8_S8_EEEEZNS1_11reduce_implILb1ES3_NS6_12zip_iteratorINS7_INS6_11hip_rocprim26transform_input_iterator_tIbNSD_35transform_pair_of_input_iterators_tIbNS6_6detail15normal_iteratorINS6_10device_ptrIKdEEEESL_NS6_8equal_toIdEEEENSG_9not_fun_tINSD_8identityEEEEENSD_19counting_iterator_tIlEES8_S8_S8_S8_S8_S8_S8_S8_EEEEPS9_S9_NSD_9__find_if7functorIS9_EEEE10hipError_tPvRmT1_T2_T3_mT4_P12ihipStream_tbEUlT_E0_NS1_11comp_targetILNS1_3genE3ELNS1_11target_archE908ELNS1_3gpuE7ELNS1_3repE0EEENS1_30default_config_static_selectorELNS0_4arch9wavefront6targetE1EEEvS14_,"axG",@progbits,_ZN7rocprim17ROCPRIM_400000_NS6detail17trampoline_kernelINS0_14default_configENS1_22reduce_config_selectorIN6thrust23THRUST_200600_302600_NS5tupleIblNS6_9null_typeES8_S8_S8_S8_S8_S8_S8_EEEEZNS1_11reduce_implILb1ES3_NS6_12zip_iteratorINS7_INS6_11hip_rocprim26transform_input_iterator_tIbNSD_35transform_pair_of_input_iterators_tIbNS6_6detail15normal_iteratorINS6_10device_ptrIKdEEEESL_NS6_8equal_toIdEEEENSG_9not_fun_tINSD_8identityEEEEENSD_19counting_iterator_tIlEES8_S8_S8_S8_S8_S8_S8_S8_EEEEPS9_S9_NSD_9__find_if7functorIS9_EEEE10hipError_tPvRmT1_T2_T3_mT4_P12ihipStream_tbEUlT_E0_NS1_11comp_targetILNS1_3genE3ELNS1_11target_archE908ELNS1_3gpuE7ELNS1_3repE0EEENS1_30default_config_static_selectorELNS0_4arch9wavefront6targetE1EEEvS14_,comdat
.Lfunc_end40:
	.size	_ZN7rocprim17ROCPRIM_400000_NS6detail17trampoline_kernelINS0_14default_configENS1_22reduce_config_selectorIN6thrust23THRUST_200600_302600_NS5tupleIblNS6_9null_typeES8_S8_S8_S8_S8_S8_S8_EEEEZNS1_11reduce_implILb1ES3_NS6_12zip_iteratorINS7_INS6_11hip_rocprim26transform_input_iterator_tIbNSD_35transform_pair_of_input_iterators_tIbNS6_6detail15normal_iteratorINS6_10device_ptrIKdEEEESL_NS6_8equal_toIdEEEENSG_9not_fun_tINSD_8identityEEEEENSD_19counting_iterator_tIlEES8_S8_S8_S8_S8_S8_S8_S8_EEEEPS9_S9_NSD_9__find_if7functorIS9_EEEE10hipError_tPvRmT1_T2_T3_mT4_P12ihipStream_tbEUlT_E0_NS1_11comp_targetILNS1_3genE3ELNS1_11target_archE908ELNS1_3gpuE7ELNS1_3repE0EEENS1_30default_config_static_selectorELNS0_4arch9wavefront6targetE1EEEvS14_, .Lfunc_end40-_ZN7rocprim17ROCPRIM_400000_NS6detail17trampoline_kernelINS0_14default_configENS1_22reduce_config_selectorIN6thrust23THRUST_200600_302600_NS5tupleIblNS6_9null_typeES8_S8_S8_S8_S8_S8_S8_EEEEZNS1_11reduce_implILb1ES3_NS6_12zip_iteratorINS7_INS6_11hip_rocprim26transform_input_iterator_tIbNSD_35transform_pair_of_input_iterators_tIbNS6_6detail15normal_iteratorINS6_10device_ptrIKdEEEESL_NS6_8equal_toIdEEEENSG_9not_fun_tINSD_8identityEEEEENSD_19counting_iterator_tIlEES8_S8_S8_S8_S8_S8_S8_S8_EEEEPS9_S9_NSD_9__find_if7functorIS9_EEEE10hipError_tPvRmT1_T2_T3_mT4_P12ihipStream_tbEUlT_E0_NS1_11comp_targetILNS1_3genE3ELNS1_11target_archE908ELNS1_3gpuE7ELNS1_3repE0EEENS1_30default_config_static_selectorELNS0_4arch9wavefront6targetE1EEEvS14_
                                        ; -- End function
	.section	.AMDGPU.csdata,"",@progbits
; Kernel info:
; codeLenInByte = 0
; NumSgprs: 4
; NumVgprs: 0
; NumAgprs: 0
; TotalNumVgprs: 0
; ScratchSize: 0
; MemoryBound: 0
; FloatMode: 240
; IeeeMode: 1
; LDSByteSize: 0 bytes/workgroup (compile time only)
; SGPRBlocks: 0
; VGPRBlocks: 0
; NumSGPRsForWavesPerEU: 4
; NumVGPRsForWavesPerEU: 1
; AccumOffset: 4
; Occupancy: 8
; WaveLimiterHint : 0
; COMPUTE_PGM_RSRC2:SCRATCH_EN: 0
; COMPUTE_PGM_RSRC2:USER_SGPR: 6
; COMPUTE_PGM_RSRC2:TRAP_HANDLER: 0
; COMPUTE_PGM_RSRC2:TGID_X_EN: 1
; COMPUTE_PGM_RSRC2:TGID_Y_EN: 0
; COMPUTE_PGM_RSRC2:TGID_Z_EN: 0
; COMPUTE_PGM_RSRC2:TIDIG_COMP_CNT: 0
; COMPUTE_PGM_RSRC3_GFX90A:ACCUM_OFFSET: 0
; COMPUTE_PGM_RSRC3_GFX90A:TG_SPLIT: 0
	.section	.text._ZN7rocprim17ROCPRIM_400000_NS6detail17trampoline_kernelINS0_14default_configENS1_22reduce_config_selectorIN6thrust23THRUST_200600_302600_NS5tupleIblNS6_9null_typeES8_S8_S8_S8_S8_S8_S8_EEEEZNS1_11reduce_implILb1ES3_NS6_12zip_iteratorINS7_INS6_11hip_rocprim26transform_input_iterator_tIbNSD_35transform_pair_of_input_iterators_tIbNS6_6detail15normal_iteratorINS6_10device_ptrIKdEEEESL_NS6_8equal_toIdEEEENSG_9not_fun_tINSD_8identityEEEEENSD_19counting_iterator_tIlEES8_S8_S8_S8_S8_S8_S8_S8_EEEEPS9_S9_NSD_9__find_if7functorIS9_EEEE10hipError_tPvRmT1_T2_T3_mT4_P12ihipStream_tbEUlT_E0_NS1_11comp_targetILNS1_3genE2ELNS1_11target_archE906ELNS1_3gpuE6ELNS1_3repE0EEENS1_30default_config_static_selectorELNS0_4arch9wavefront6targetE1EEEvS14_,"axG",@progbits,_ZN7rocprim17ROCPRIM_400000_NS6detail17trampoline_kernelINS0_14default_configENS1_22reduce_config_selectorIN6thrust23THRUST_200600_302600_NS5tupleIblNS6_9null_typeES8_S8_S8_S8_S8_S8_S8_EEEEZNS1_11reduce_implILb1ES3_NS6_12zip_iteratorINS7_INS6_11hip_rocprim26transform_input_iterator_tIbNSD_35transform_pair_of_input_iterators_tIbNS6_6detail15normal_iteratorINS6_10device_ptrIKdEEEESL_NS6_8equal_toIdEEEENSG_9not_fun_tINSD_8identityEEEEENSD_19counting_iterator_tIlEES8_S8_S8_S8_S8_S8_S8_S8_EEEEPS9_S9_NSD_9__find_if7functorIS9_EEEE10hipError_tPvRmT1_T2_T3_mT4_P12ihipStream_tbEUlT_E0_NS1_11comp_targetILNS1_3genE2ELNS1_11target_archE906ELNS1_3gpuE6ELNS1_3repE0EEENS1_30default_config_static_selectorELNS0_4arch9wavefront6targetE1EEEvS14_,comdat
	.protected	_ZN7rocprim17ROCPRIM_400000_NS6detail17trampoline_kernelINS0_14default_configENS1_22reduce_config_selectorIN6thrust23THRUST_200600_302600_NS5tupleIblNS6_9null_typeES8_S8_S8_S8_S8_S8_S8_EEEEZNS1_11reduce_implILb1ES3_NS6_12zip_iteratorINS7_INS6_11hip_rocprim26transform_input_iterator_tIbNSD_35transform_pair_of_input_iterators_tIbNS6_6detail15normal_iteratorINS6_10device_ptrIKdEEEESL_NS6_8equal_toIdEEEENSG_9not_fun_tINSD_8identityEEEEENSD_19counting_iterator_tIlEES8_S8_S8_S8_S8_S8_S8_S8_EEEEPS9_S9_NSD_9__find_if7functorIS9_EEEE10hipError_tPvRmT1_T2_T3_mT4_P12ihipStream_tbEUlT_E0_NS1_11comp_targetILNS1_3genE2ELNS1_11target_archE906ELNS1_3gpuE6ELNS1_3repE0EEENS1_30default_config_static_selectorELNS0_4arch9wavefront6targetE1EEEvS14_ ; -- Begin function _ZN7rocprim17ROCPRIM_400000_NS6detail17trampoline_kernelINS0_14default_configENS1_22reduce_config_selectorIN6thrust23THRUST_200600_302600_NS5tupleIblNS6_9null_typeES8_S8_S8_S8_S8_S8_S8_EEEEZNS1_11reduce_implILb1ES3_NS6_12zip_iteratorINS7_INS6_11hip_rocprim26transform_input_iterator_tIbNSD_35transform_pair_of_input_iterators_tIbNS6_6detail15normal_iteratorINS6_10device_ptrIKdEEEESL_NS6_8equal_toIdEEEENSG_9not_fun_tINSD_8identityEEEEENSD_19counting_iterator_tIlEES8_S8_S8_S8_S8_S8_S8_S8_EEEEPS9_S9_NSD_9__find_if7functorIS9_EEEE10hipError_tPvRmT1_T2_T3_mT4_P12ihipStream_tbEUlT_E0_NS1_11comp_targetILNS1_3genE2ELNS1_11target_archE906ELNS1_3gpuE6ELNS1_3repE0EEENS1_30default_config_static_selectorELNS0_4arch9wavefront6targetE1EEEvS14_
	.globl	_ZN7rocprim17ROCPRIM_400000_NS6detail17trampoline_kernelINS0_14default_configENS1_22reduce_config_selectorIN6thrust23THRUST_200600_302600_NS5tupleIblNS6_9null_typeES8_S8_S8_S8_S8_S8_S8_EEEEZNS1_11reduce_implILb1ES3_NS6_12zip_iteratorINS7_INS6_11hip_rocprim26transform_input_iterator_tIbNSD_35transform_pair_of_input_iterators_tIbNS6_6detail15normal_iteratorINS6_10device_ptrIKdEEEESL_NS6_8equal_toIdEEEENSG_9not_fun_tINSD_8identityEEEEENSD_19counting_iterator_tIlEES8_S8_S8_S8_S8_S8_S8_S8_EEEEPS9_S9_NSD_9__find_if7functorIS9_EEEE10hipError_tPvRmT1_T2_T3_mT4_P12ihipStream_tbEUlT_E0_NS1_11comp_targetILNS1_3genE2ELNS1_11target_archE906ELNS1_3gpuE6ELNS1_3repE0EEENS1_30default_config_static_selectorELNS0_4arch9wavefront6targetE1EEEvS14_
	.p2align	8
	.type	_ZN7rocprim17ROCPRIM_400000_NS6detail17trampoline_kernelINS0_14default_configENS1_22reduce_config_selectorIN6thrust23THRUST_200600_302600_NS5tupleIblNS6_9null_typeES8_S8_S8_S8_S8_S8_S8_EEEEZNS1_11reduce_implILb1ES3_NS6_12zip_iteratorINS7_INS6_11hip_rocprim26transform_input_iterator_tIbNSD_35transform_pair_of_input_iterators_tIbNS6_6detail15normal_iteratorINS6_10device_ptrIKdEEEESL_NS6_8equal_toIdEEEENSG_9not_fun_tINSD_8identityEEEEENSD_19counting_iterator_tIlEES8_S8_S8_S8_S8_S8_S8_S8_EEEEPS9_S9_NSD_9__find_if7functorIS9_EEEE10hipError_tPvRmT1_T2_T3_mT4_P12ihipStream_tbEUlT_E0_NS1_11comp_targetILNS1_3genE2ELNS1_11target_archE906ELNS1_3gpuE6ELNS1_3repE0EEENS1_30default_config_static_selectorELNS0_4arch9wavefront6targetE1EEEvS14_,@function
_ZN7rocprim17ROCPRIM_400000_NS6detail17trampoline_kernelINS0_14default_configENS1_22reduce_config_selectorIN6thrust23THRUST_200600_302600_NS5tupleIblNS6_9null_typeES8_S8_S8_S8_S8_S8_S8_EEEEZNS1_11reduce_implILb1ES3_NS6_12zip_iteratorINS7_INS6_11hip_rocprim26transform_input_iterator_tIbNSD_35transform_pair_of_input_iterators_tIbNS6_6detail15normal_iteratorINS6_10device_ptrIKdEEEESL_NS6_8equal_toIdEEEENSG_9not_fun_tINSD_8identityEEEEENSD_19counting_iterator_tIlEES8_S8_S8_S8_S8_S8_S8_S8_EEEEPS9_S9_NSD_9__find_if7functorIS9_EEEE10hipError_tPvRmT1_T2_T3_mT4_P12ihipStream_tbEUlT_E0_NS1_11comp_targetILNS1_3genE2ELNS1_11target_archE906ELNS1_3gpuE6ELNS1_3repE0EEENS1_30default_config_static_selectorELNS0_4arch9wavefront6targetE1EEEvS14_: ; @_ZN7rocprim17ROCPRIM_400000_NS6detail17trampoline_kernelINS0_14default_configENS1_22reduce_config_selectorIN6thrust23THRUST_200600_302600_NS5tupleIblNS6_9null_typeES8_S8_S8_S8_S8_S8_S8_EEEEZNS1_11reduce_implILb1ES3_NS6_12zip_iteratorINS7_INS6_11hip_rocprim26transform_input_iterator_tIbNSD_35transform_pair_of_input_iterators_tIbNS6_6detail15normal_iteratorINS6_10device_ptrIKdEEEESL_NS6_8equal_toIdEEEENSG_9not_fun_tINSD_8identityEEEEENSD_19counting_iterator_tIlEES8_S8_S8_S8_S8_S8_S8_S8_EEEEPS9_S9_NSD_9__find_if7functorIS9_EEEE10hipError_tPvRmT1_T2_T3_mT4_P12ihipStream_tbEUlT_E0_NS1_11comp_targetILNS1_3genE2ELNS1_11target_archE906ELNS1_3gpuE6ELNS1_3repE0EEENS1_30default_config_static_selectorELNS0_4arch9wavefront6targetE1EEEvS14_
; %bb.0:
	.section	.rodata,"a",@progbits
	.p2align	6, 0x0
	.amdhsa_kernel _ZN7rocprim17ROCPRIM_400000_NS6detail17trampoline_kernelINS0_14default_configENS1_22reduce_config_selectorIN6thrust23THRUST_200600_302600_NS5tupleIblNS6_9null_typeES8_S8_S8_S8_S8_S8_S8_EEEEZNS1_11reduce_implILb1ES3_NS6_12zip_iteratorINS7_INS6_11hip_rocprim26transform_input_iterator_tIbNSD_35transform_pair_of_input_iterators_tIbNS6_6detail15normal_iteratorINS6_10device_ptrIKdEEEESL_NS6_8equal_toIdEEEENSG_9not_fun_tINSD_8identityEEEEENSD_19counting_iterator_tIlEES8_S8_S8_S8_S8_S8_S8_S8_EEEEPS9_S9_NSD_9__find_if7functorIS9_EEEE10hipError_tPvRmT1_T2_T3_mT4_P12ihipStream_tbEUlT_E0_NS1_11comp_targetILNS1_3genE2ELNS1_11target_archE906ELNS1_3gpuE6ELNS1_3repE0EEENS1_30default_config_static_selectorELNS0_4arch9wavefront6targetE1EEEvS14_
		.amdhsa_group_segment_fixed_size 0
		.amdhsa_private_segment_fixed_size 0
		.amdhsa_kernarg_size 104
		.amdhsa_user_sgpr_count 6
		.amdhsa_user_sgpr_private_segment_buffer 1
		.amdhsa_user_sgpr_dispatch_ptr 0
		.amdhsa_user_sgpr_queue_ptr 0
		.amdhsa_user_sgpr_kernarg_segment_ptr 1
		.amdhsa_user_sgpr_dispatch_id 0
		.amdhsa_user_sgpr_flat_scratch_init 0
		.amdhsa_user_sgpr_kernarg_preload_length 0
		.amdhsa_user_sgpr_kernarg_preload_offset 0
		.amdhsa_user_sgpr_private_segment_size 0
		.amdhsa_uses_dynamic_stack 0
		.amdhsa_system_sgpr_private_segment_wavefront_offset 0
		.amdhsa_system_sgpr_workgroup_id_x 1
		.amdhsa_system_sgpr_workgroup_id_y 0
		.amdhsa_system_sgpr_workgroup_id_z 0
		.amdhsa_system_sgpr_workgroup_info 0
		.amdhsa_system_vgpr_workitem_id 0
		.amdhsa_next_free_vgpr 1
		.amdhsa_next_free_sgpr 0
		.amdhsa_accum_offset 4
		.amdhsa_reserve_vcc 0
		.amdhsa_reserve_flat_scratch 0
		.amdhsa_float_round_mode_32 0
		.amdhsa_float_round_mode_16_64 0
		.amdhsa_float_denorm_mode_32 3
		.amdhsa_float_denorm_mode_16_64 3
		.amdhsa_dx10_clamp 1
		.amdhsa_ieee_mode 1
		.amdhsa_fp16_overflow 0
		.amdhsa_tg_split 0
		.amdhsa_exception_fp_ieee_invalid_op 0
		.amdhsa_exception_fp_denorm_src 0
		.amdhsa_exception_fp_ieee_div_zero 0
		.amdhsa_exception_fp_ieee_overflow 0
		.amdhsa_exception_fp_ieee_underflow 0
		.amdhsa_exception_fp_ieee_inexact 0
		.amdhsa_exception_int_div_zero 0
	.end_amdhsa_kernel
	.section	.text._ZN7rocprim17ROCPRIM_400000_NS6detail17trampoline_kernelINS0_14default_configENS1_22reduce_config_selectorIN6thrust23THRUST_200600_302600_NS5tupleIblNS6_9null_typeES8_S8_S8_S8_S8_S8_S8_EEEEZNS1_11reduce_implILb1ES3_NS6_12zip_iteratorINS7_INS6_11hip_rocprim26transform_input_iterator_tIbNSD_35transform_pair_of_input_iterators_tIbNS6_6detail15normal_iteratorINS6_10device_ptrIKdEEEESL_NS6_8equal_toIdEEEENSG_9not_fun_tINSD_8identityEEEEENSD_19counting_iterator_tIlEES8_S8_S8_S8_S8_S8_S8_S8_EEEEPS9_S9_NSD_9__find_if7functorIS9_EEEE10hipError_tPvRmT1_T2_T3_mT4_P12ihipStream_tbEUlT_E0_NS1_11comp_targetILNS1_3genE2ELNS1_11target_archE906ELNS1_3gpuE6ELNS1_3repE0EEENS1_30default_config_static_selectorELNS0_4arch9wavefront6targetE1EEEvS14_,"axG",@progbits,_ZN7rocprim17ROCPRIM_400000_NS6detail17trampoline_kernelINS0_14default_configENS1_22reduce_config_selectorIN6thrust23THRUST_200600_302600_NS5tupleIblNS6_9null_typeES8_S8_S8_S8_S8_S8_S8_EEEEZNS1_11reduce_implILb1ES3_NS6_12zip_iteratorINS7_INS6_11hip_rocprim26transform_input_iterator_tIbNSD_35transform_pair_of_input_iterators_tIbNS6_6detail15normal_iteratorINS6_10device_ptrIKdEEEESL_NS6_8equal_toIdEEEENSG_9not_fun_tINSD_8identityEEEEENSD_19counting_iterator_tIlEES8_S8_S8_S8_S8_S8_S8_S8_EEEEPS9_S9_NSD_9__find_if7functorIS9_EEEE10hipError_tPvRmT1_T2_T3_mT4_P12ihipStream_tbEUlT_E0_NS1_11comp_targetILNS1_3genE2ELNS1_11target_archE906ELNS1_3gpuE6ELNS1_3repE0EEENS1_30default_config_static_selectorELNS0_4arch9wavefront6targetE1EEEvS14_,comdat
.Lfunc_end41:
	.size	_ZN7rocprim17ROCPRIM_400000_NS6detail17trampoline_kernelINS0_14default_configENS1_22reduce_config_selectorIN6thrust23THRUST_200600_302600_NS5tupleIblNS6_9null_typeES8_S8_S8_S8_S8_S8_S8_EEEEZNS1_11reduce_implILb1ES3_NS6_12zip_iteratorINS7_INS6_11hip_rocprim26transform_input_iterator_tIbNSD_35transform_pair_of_input_iterators_tIbNS6_6detail15normal_iteratorINS6_10device_ptrIKdEEEESL_NS6_8equal_toIdEEEENSG_9not_fun_tINSD_8identityEEEEENSD_19counting_iterator_tIlEES8_S8_S8_S8_S8_S8_S8_S8_EEEEPS9_S9_NSD_9__find_if7functorIS9_EEEE10hipError_tPvRmT1_T2_T3_mT4_P12ihipStream_tbEUlT_E0_NS1_11comp_targetILNS1_3genE2ELNS1_11target_archE906ELNS1_3gpuE6ELNS1_3repE0EEENS1_30default_config_static_selectorELNS0_4arch9wavefront6targetE1EEEvS14_, .Lfunc_end41-_ZN7rocprim17ROCPRIM_400000_NS6detail17trampoline_kernelINS0_14default_configENS1_22reduce_config_selectorIN6thrust23THRUST_200600_302600_NS5tupleIblNS6_9null_typeES8_S8_S8_S8_S8_S8_S8_EEEEZNS1_11reduce_implILb1ES3_NS6_12zip_iteratorINS7_INS6_11hip_rocprim26transform_input_iterator_tIbNSD_35transform_pair_of_input_iterators_tIbNS6_6detail15normal_iteratorINS6_10device_ptrIKdEEEESL_NS6_8equal_toIdEEEENSG_9not_fun_tINSD_8identityEEEEENSD_19counting_iterator_tIlEES8_S8_S8_S8_S8_S8_S8_S8_EEEEPS9_S9_NSD_9__find_if7functorIS9_EEEE10hipError_tPvRmT1_T2_T3_mT4_P12ihipStream_tbEUlT_E0_NS1_11comp_targetILNS1_3genE2ELNS1_11target_archE906ELNS1_3gpuE6ELNS1_3repE0EEENS1_30default_config_static_selectorELNS0_4arch9wavefront6targetE1EEEvS14_
                                        ; -- End function
	.section	.AMDGPU.csdata,"",@progbits
; Kernel info:
; codeLenInByte = 0
; NumSgprs: 4
; NumVgprs: 0
; NumAgprs: 0
; TotalNumVgprs: 0
; ScratchSize: 0
; MemoryBound: 0
; FloatMode: 240
; IeeeMode: 1
; LDSByteSize: 0 bytes/workgroup (compile time only)
; SGPRBlocks: 0
; VGPRBlocks: 0
; NumSGPRsForWavesPerEU: 4
; NumVGPRsForWavesPerEU: 1
; AccumOffset: 4
; Occupancy: 8
; WaveLimiterHint : 0
; COMPUTE_PGM_RSRC2:SCRATCH_EN: 0
; COMPUTE_PGM_RSRC2:USER_SGPR: 6
; COMPUTE_PGM_RSRC2:TRAP_HANDLER: 0
; COMPUTE_PGM_RSRC2:TGID_X_EN: 1
; COMPUTE_PGM_RSRC2:TGID_Y_EN: 0
; COMPUTE_PGM_RSRC2:TGID_Z_EN: 0
; COMPUTE_PGM_RSRC2:TIDIG_COMP_CNT: 0
; COMPUTE_PGM_RSRC3_GFX90A:ACCUM_OFFSET: 0
; COMPUTE_PGM_RSRC3_GFX90A:TG_SPLIT: 0
	.section	.text._ZN7rocprim17ROCPRIM_400000_NS6detail17trampoline_kernelINS0_14default_configENS1_22reduce_config_selectorIN6thrust23THRUST_200600_302600_NS5tupleIblNS6_9null_typeES8_S8_S8_S8_S8_S8_S8_EEEEZNS1_11reduce_implILb1ES3_NS6_12zip_iteratorINS7_INS6_11hip_rocprim26transform_input_iterator_tIbNSD_35transform_pair_of_input_iterators_tIbNS6_6detail15normal_iteratorINS6_10device_ptrIKdEEEESL_NS6_8equal_toIdEEEENSG_9not_fun_tINSD_8identityEEEEENSD_19counting_iterator_tIlEES8_S8_S8_S8_S8_S8_S8_S8_EEEEPS9_S9_NSD_9__find_if7functorIS9_EEEE10hipError_tPvRmT1_T2_T3_mT4_P12ihipStream_tbEUlT_E0_NS1_11comp_targetILNS1_3genE10ELNS1_11target_archE1201ELNS1_3gpuE5ELNS1_3repE0EEENS1_30default_config_static_selectorELNS0_4arch9wavefront6targetE1EEEvS14_,"axG",@progbits,_ZN7rocprim17ROCPRIM_400000_NS6detail17trampoline_kernelINS0_14default_configENS1_22reduce_config_selectorIN6thrust23THRUST_200600_302600_NS5tupleIblNS6_9null_typeES8_S8_S8_S8_S8_S8_S8_EEEEZNS1_11reduce_implILb1ES3_NS6_12zip_iteratorINS7_INS6_11hip_rocprim26transform_input_iterator_tIbNSD_35transform_pair_of_input_iterators_tIbNS6_6detail15normal_iteratorINS6_10device_ptrIKdEEEESL_NS6_8equal_toIdEEEENSG_9not_fun_tINSD_8identityEEEEENSD_19counting_iterator_tIlEES8_S8_S8_S8_S8_S8_S8_S8_EEEEPS9_S9_NSD_9__find_if7functorIS9_EEEE10hipError_tPvRmT1_T2_T3_mT4_P12ihipStream_tbEUlT_E0_NS1_11comp_targetILNS1_3genE10ELNS1_11target_archE1201ELNS1_3gpuE5ELNS1_3repE0EEENS1_30default_config_static_selectorELNS0_4arch9wavefront6targetE1EEEvS14_,comdat
	.protected	_ZN7rocprim17ROCPRIM_400000_NS6detail17trampoline_kernelINS0_14default_configENS1_22reduce_config_selectorIN6thrust23THRUST_200600_302600_NS5tupleIblNS6_9null_typeES8_S8_S8_S8_S8_S8_S8_EEEEZNS1_11reduce_implILb1ES3_NS6_12zip_iteratorINS7_INS6_11hip_rocprim26transform_input_iterator_tIbNSD_35transform_pair_of_input_iterators_tIbNS6_6detail15normal_iteratorINS6_10device_ptrIKdEEEESL_NS6_8equal_toIdEEEENSG_9not_fun_tINSD_8identityEEEEENSD_19counting_iterator_tIlEES8_S8_S8_S8_S8_S8_S8_S8_EEEEPS9_S9_NSD_9__find_if7functorIS9_EEEE10hipError_tPvRmT1_T2_T3_mT4_P12ihipStream_tbEUlT_E0_NS1_11comp_targetILNS1_3genE10ELNS1_11target_archE1201ELNS1_3gpuE5ELNS1_3repE0EEENS1_30default_config_static_selectorELNS0_4arch9wavefront6targetE1EEEvS14_ ; -- Begin function _ZN7rocprim17ROCPRIM_400000_NS6detail17trampoline_kernelINS0_14default_configENS1_22reduce_config_selectorIN6thrust23THRUST_200600_302600_NS5tupleIblNS6_9null_typeES8_S8_S8_S8_S8_S8_S8_EEEEZNS1_11reduce_implILb1ES3_NS6_12zip_iteratorINS7_INS6_11hip_rocprim26transform_input_iterator_tIbNSD_35transform_pair_of_input_iterators_tIbNS6_6detail15normal_iteratorINS6_10device_ptrIKdEEEESL_NS6_8equal_toIdEEEENSG_9not_fun_tINSD_8identityEEEEENSD_19counting_iterator_tIlEES8_S8_S8_S8_S8_S8_S8_S8_EEEEPS9_S9_NSD_9__find_if7functorIS9_EEEE10hipError_tPvRmT1_T2_T3_mT4_P12ihipStream_tbEUlT_E0_NS1_11comp_targetILNS1_3genE10ELNS1_11target_archE1201ELNS1_3gpuE5ELNS1_3repE0EEENS1_30default_config_static_selectorELNS0_4arch9wavefront6targetE1EEEvS14_
	.globl	_ZN7rocprim17ROCPRIM_400000_NS6detail17trampoline_kernelINS0_14default_configENS1_22reduce_config_selectorIN6thrust23THRUST_200600_302600_NS5tupleIblNS6_9null_typeES8_S8_S8_S8_S8_S8_S8_EEEEZNS1_11reduce_implILb1ES3_NS6_12zip_iteratorINS7_INS6_11hip_rocprim26transform_input_iterator_tIbNSD_35transform_pair_of_input_iterators_tIbNS6_6detail15normal_iteratorINS6_10device_ptrIKdEEEESL_NS6_8equal_toIdEEEENSG_9not_fun_tINSD_8identityEEEEENSD_19counting_iterator_tIlEES8_S8_S8_S8_S8_S8_S8_S8_EEEEPS9_S9_NSD_9__find_if7functorIS9_EEEE10hipError_tPvRmT1_T2_T3_mT4_P12ihipStream_tbEUlT_E0_NS1_11comp_targetILNS1_3genE10ELNS1_11target_archE1201ELNS1_3gpuE5ELNS1_3repE0EEENS1_30default_config_static_selectorELNS0_4arch9wavefront6targetE1EEEvS14_
	.p2align	8
	.type	_ZN7rocprim17ROCPRIM_400000_NS6detail17trampoline_kernelINS0_14default_configENS1_22reduce_config_selectorIN6thrust23THRUST_200600_302600_NS5tupleIblNS6_9null_typeES8_S8_S8_S8_S8_S8_S8_EEEEZNS1_11reduce_implILb1ES3_NS6_12zip_iteratorINS7_INS6_11hip_rocprim26transform_input_iterator_tIbNSD_35transform_pair_of_input_iterators_tIbNS6_6detail15normal_iteratorINS6_10device_ptrIKdEEEESL_NS6_8equal_toIdEEEENSG_9not_fun_tINSD_8identityEEEEENSD_19counting_iterator_tIlEES8_S8_S8_S8_S8_S8_S8_S8_EEEEPS9_S9_NSD_9__find_if7functorIS9_EEEE10hipError_tPvRmT1_T2_T3_mT4_P12ihipStream_tbEUlT_E0_NS1_11comp_targetILNS1_3genE10ELNS1_11target_archE1201ELNS1_3gpuE5ELNS1_3repE0EEENS1_30default_config_static_selectorELNS0_4arch9wavefront6targetE1EEEvS14_,@function
_ZN7rocprim17ROCPRIM_400000_NS6detail17trampoline_kernelINS0_14default_configENS1_22reduce_config_selectorIN6thrust23THRUST_200600_302600_NS5tupleIblNS6_9null_typeES8_S8_S8_S8_S8_S8_S8_EEEEZNS1_11reduce_implILb1ES3_NS6_12zip_iteratorINS7_INS6_11hip_rocprim26transform_input_iterator_tIbNSD_35transform_pair_of_input_iterators_tIbNS6_6detail15normal_iteratorINS6_10device_ptrIKdEEEESL_NS6_8equal_toIdEEEENSG_9not_fun_tINSD_8identityEEEEENSD_19counting_iterator_tIlEES8_S8_S8_S8_S8_S8_S8_S8_EEEEPS9_S9_NSD_9__find_if7functorIS9_EEEE10hipError_tPvRmT1_T2_T3_mT4_P12ihipStream_tbEUlT_E0_NS1_11comp_targetILNS1_3genE10ELNS1_11target_archE1201ELNS1_3gpuE5ELNS1_3repE0EEENS1_30default_config_static_selectorELNS0_4arch9wavefront6targetE1EEEvS14_: ; @_ZN7rocprim17ROCPRIM_400000_NS6detail17trampoline_kernelINS0_14default_configENS1_22reduce_config_selectorIN6thrust23THRUST_200600_302600_NS5tupleIblNS6_9null_typeES8_S8_S8_S8_S8_S8_S8_EEEEZNS1_11reduce_implILb1ES3_NS6_12zip_iteratorINS7_INS6_11hip_rocprim26transform_input_iterator_tIbNSD_35transform_pair_of_input_iterators_tIbNS6_6detail15normal_iteratorINS6_10device_ptrIKdEEEESL_NS6_8equal_toIdEEEENSG_9not_fun_tINSD_8identityEEEEENSD_19counting_iterator_tIlEES8_S8_S8_S8_S8_S8_S8_S8_EEEEPS9_S9_NSD_9__find_if7functorIS9_EEEE10hipError_tPvRmT1_T2_T3_mT4_P12ihipStream_tbEUlT_E0_NS1_11comp_targetILNS1_3genE10ELNS1_11target_archE1201ELNS1_3gpuE5ELNS1_3repE0EEENS1_30default_config_static_selectorELNS0_4arch9wavefront6targetE1EEEvS14_
; %bb.0:
	.section	.rodata,"a",@progbits
	.p2align	6, 0x0
	.amdhsa_kernel _ZN7rocprim17ROCPRIM_400000_NS6detail17trampoline_kernelINS0_14default_configENS1_22reduce_config_selectorIN6thrust23THRUST_200600_302600_NS5tupleIblNS6_9null_typeES8_S8_S8_S8_S8_S8_S8_EEEEZNS1_11reduce_implILb1ES3_NS6_12zip_iteratorINS7_INS6_11hip_rocprim26transform_input_iterator_tIbNSD_35transform_pair_of_input_iterators_tIbNS6_6detail15normal_iteratorINS6_10device_ptrIKdEEEESL_NS6_8equal_toIdEEEENSG_9not_fun_tINSD_8identityEEEEENSD_19counting_iterator_tIlEES8_S8_S8_S8_S8_S8_S8_S8_EEEEPS9_S9_NSD_9__find_if7functorIS9_EEEE10hipError_tPvRmT1_T2_T3_mT4_P12ihipStream_tbEUlT_E0_NS1_11comp_targetILNS1_3genE10ELNS1_11target_archE1201ELNS1_3gpuE5ELNS1_3repE0EEENS1_30default_config_static_selectorELNS0_4arch9wavefront6targetE1EEEvS14_
		.amdhsa_group_segment_fixed_size 0
		.amdhsa_private_segment_fixed_size 0
		.amdhsa_kernarg_size 104
		.amdhsa_user_sgpr_count 6
		.amdhsa_user_sgpr_private_segment_buffer 1
		.amdhsa_user_sgpr_dispatch_ptr 0
		.amdhsa_user_sgpr_queue_ptr 0
		.amdhsa_user_sgpr_kernarg_segment_ptr 1
		.amdhsa_user_sgpr_dispatch_id 0
		.amdhsa_user_sgpr_flat_scratch_init 0
		.amdhsa_user_sgpr_kernarg_preload_length 0
		.amdhsa_user_sgpr_kernarg_preload_offset 0
		.amdhsa_user_sgpr_private_segment_size 0
		.amdhsa_uses_dynamic_stack 0
		.amdhsa_system_sgpr_private_segment_wavefront_offset 0
		.amdhsa_system_sgpr_workgroup_id_x 1
		.amdhsa_system_sgpr_workgroup_id_y 0
		.amdhsa_system_sgpr_workgroup_id_z 0
		.amdhsa_system_sgpr_workgroup_info 0
		.amdhsa_system_vgpr_workitem_id 0
		.amdhsa_next_free_vgpr 1
		.amdhsa_next_free_sgpr 0
		.amdhsa_accum_offset 4
		.amdhsa_reserve_vcc 0
		.amdhsa_reserve_flat_scratch 0
		.amdhsa_float_round_mode_32 0
		.amdhsa_float_round_mode_16_64 0
		.amdhsa_float_denorm_mode_32 3
		.amdhsa_float_denorm_mode_16_64 3
		.amdhsa_dx10_clamp 1
		.amdhsa_ieee_mode 1
		.amdhsa_fp16_overflow 0
		.amdhsa_tg_split 0
		.amdhsa_exception_fp_ieee_invalid_op 0
		.amdhsa_exception_fp_denorm_src 0
		.amdhsa_exception_fp_ieee_div_zero 0
		.amdhsa_exception_fp_ieee_overflow 0
		.amdhsa_exception_fp_ieee_underflow 0
		.amdhsa_exception_fp_ieee_inexact 0
		.amdhsa_exception_int_div_zero 0
	.end_amdhsa_kernel
	.section	.text._ZN7rocprim17ROCPRIM_400000_NS6detail17trampoline_kernelINS0_14default_configENS1_22reduce_config_selectorIN6thrust23THRUST_200600_302600_NS5tupleIblNS6_9null_typeES8_S8_S8_S8_S8_S8_S8_EEEEZNS1_11reduce_implILb1ES3_NS6_12zip_iteratorINS7_INS6_11hip_rocprim26transform_input_iterator_tIbNSD_35transform_pair_of_input_iterators_tIbNS6_6detail15normal_iteratorINS6_10device_ptrIKdEEEESL_NS6_8equal_toIdEEEENSG_9not_fun_tINSD_8identityEEEEENSD_19counting_iterator_tIlEES8_S8_S8_S8_S8_S8_S8_S8_EEEEPS9_S9_NSD_9__find_if7functorIS9_EEEE10hipError_tPvRmT1_T2_T3_mT4_P12ihipStream_tbEUlT_E0_NS1_11comp_targetILNS1_3genE10ELNS1_11target_archE1201ELNS1_3gpuE5ELNS1_3repE0EEENS1_30default_config_static_selectorELNS0_4arch9wavefront6targetE1EEEvS14_,"axG",@progbits,_ZN7rocprim17ROCPRIM_400000_NS6detail17trampoline_kernelINS0_14default_configENS1_22reduce_config_selectorIN6thrust23THRUST_200600_302600_NS5tupleIblNS6_9null_typeES8_S8_S8_S8_S8_S8_S8_EEEEZNS1_11reduce_implILb1ES3_NS6_12zip_iteratorINS7_INS6_11hip_rocprim26transform_input_iterator_tIbNSD_35transform_pair_of_input_iterators_tIbNS6_6detail15normal_iteratorINS6_10device_ptrIKdEEEESL_NS6_8equal_toIdEEEENSG_9not_fun_tINSD_8identityEEEEENSD_19counting_iterator_tIlEES8_S8_S8_S8_S8_S8_S8_S8_EEEEPS9_S9_NSD_9__find_if7functorIS9_EEEE10hipError_tPvRmT1_T2_T3_mT4_P12ihipStream_tbEUlT_E0_NS1_11comp_targetILNS1_3genE10ELNS1_11target_archE1201ELNS1_3gpuE5ELNS1_3repE0EEENS1_30default_config_static_selectorELNS0_4arch9wavefront6targetE1EEEvS14_,comdat
.Lfunc_end42:
	.size	_ZN7rocprim17ROCPRIM_400000_NS6detail17trampoline_kernelINS0_14default_configENS1_22reduce_config_selectorIN6thrust23THRUST_200600_302600_NS5tupleIblNS6_9null_typeES8_S8_S8_S8_S8_S8_S8_EEEEZNS1_11reduce_implILb1ES3_NS6_12zip_iteratorINS7_INS6_11hip_rocprim26transform_input_iterator_tIbNSD_35transform_pair_of_input_iterators_tIbNS6_6detail15normal_iteratorINS6_10device_ptrIKdEEEESL_NS6_8equal_toIdEEEENSG_9not_fun_tINSD_8identityEEEEENSD_19counting_iterator_tIlEES8_S8_S8_S8_S8_S8_S8_S8_EEEEPS9_S9_NSD_9__find_if7functorIS9_EEEE10hipError_tPvRmT1_T2_T3_mT4_P12ihipStream_tbEUlT_E0_NS1_11comp_targetILNS1_3genE10ELNS1_11target_archE1201ELNS1_3gpuE5ELNS1_3repE0EEENS1_30default_config_static_selectorELNS0_4arch9wavefront6targetE1EEEvS14_, .Lfunc_end42-_ZN7rocprim17ROCPRIM_400000_NS6detail17trampoline_kernelINS0_14default_configENS1_22reduce_config_selectorIN6thrust23THRUST_200600_302600_NS5tupleIblNS6_9null_typeES8_S8_S8_S8_S8_S8_S8_EEEEZNS1_11reduce_implILb1ES3_NS6_12zip_iteratorINS7_INS6_11hip_rocprim26transform_input_iterator_tIbNSD_35transform_pair_of_input_iterators_tIbNS6_6detail15normal_iteratorINS6_10device_ptrIKdEEEESL_NS6_8equal_toIdEEEENSG_9not_fun_tINSD_8identityEEEEENSD_19counting_iterator_tIlEES8_S8_S8_S8_S8_S8_S8_S8_EEEEPS9_S9_NSD_9__find_if7functorIS9_EEEE10hipError_tPvRmT1_T2_T3_mT4_P12ihipStream_tbEUlT_E0_NS1_11comp_targetILNS1_3genE10ELNS1_11target_archE1201ELNS1_3gpuE5ELNS1_3repE0EEENS1_30default_config_static_selectorELNS0_4arch9wavefront6targetE1EEEvS14_
                                        ; -- End function
	.section	.AMDGPU.csdata,"",@progbits
; Kernel info:
; codeLenInByte = 0
; NumSgprs: 4
; NumVgprs: 0
; NumAgprs: 0
; TotalNumVgprs: 0
; ScratchSize: 0
; MemoryBound: 0
; FloatMode: 240
; IeeeMode: 1
; LDSByteSize: 0 bytes/workgroup (compile time only)
; SGPRBlocks: 0
; VGPRBlocks: 0
; NumSGPRsForWavesPerEU: 4
; NumVGPRsForWavesPerEU: 1
; AccumOffset: 4
; Occupancy: 8
; WaveLimiterHint : 0
; COMPUTE_PGM_RSRC2:SCRATCH_EN: 0
; COMPUTE_PGM_RSRC2:USER_SGPR: 6
; COMPUTE_PGM_RSRC2:TRAP_HANDLER: 0
; COMPUTE_PGM_RSRC2:TGID_X_EN: 1
; COMPUTE_PGM_RSRC2:TGID_Y_EN: 0
; COMPUTE_PGM_RSRC2:TGID_Z_EN: 0
; COMPUTE_PGM_RSRC2:TIDIG_COMP_CNT: 0
; COMPUTE_PGM_RSRC3_GFX90A:ACCUM_OFFSET: 0
; COMPUTE_PGM_RSRC3_GFX90A:TG_SPLIT: 0
	.section	.text._ZN7rocprim17ROCPRIM_400000_NS6detail17trampoline_kernelINS0_14default_configENS1_22reduce_config_selectorIN6thrust23THRUST_200600_302600_NS5tupleIblNS6_9null_typeES8_S8_S8_S8_S8_S8_S8_EEEEZNS1_11reduce_implILb1ES3_NS6_12zip_iteratorINS7_INS6_11hip_rocprim26transform_input_iterator_tIbNSD_35transform_pair_of_input_iterators_tIbNS6_6detail15normal_iteratorINS6_10device_ptrIKdEEEESL_NS6_8equal_toIdEEEENSG_9not_fun_tINSD_8identityEEEEENSD_19counting_iterator_tIlEES8_S8_S8_S8_S8_S8_S8_S8_EEEEPS9_S9_NSD_9__find_if7functorIS9_EEEE10hipError_tPvRmT1_T2_T3_mT4_P12ihipStream_tbEUlT_E0_NS1_11comp_targetILNS1_3genE10ELNS1_11target_archE1200ELNS1_3gpuE4ELNS1_3repE0EEENS1_30default_config_static_selectorELNS0_4arch9wavefront6targetE1EEEvS14_,"axG",@progbits,_ZN7rocprim17ROCPRIM_400000_NS6detail17trampoline_kernelINS0_14default_configENS1_22reduce_config_selectorIN6thrust23THRUST_200600_302600_NS5tupleIblNS6_9null_typeES8_S8_S8_S8_S8_S8_S8_EEEEZNS1_11reduce_implILb1ES3_NS6_12zip_iteratorINS7_INS6_11hip_rocprim26transform_input_iterator_tIbNSD_35transform_pair_of_input_iterators_tIbNS6_6detail15normal_iteratorINS6_10device_ptrIKdEEEESL_NS6_8equal_toIdEEEENSG_9not_fun_tINSD_8identityEEEEENSD_19counting_iterator_tIlEES8_S8_S8_S8_S8_S8_S8_S8_EEEEPS9_S9_NSD_9__find_if7functorIS9_EEEE10hipError_tPvRmT1_T2_T3_mT4_P12ihipStream_tbEUlT_E0_NS1_11comp_targetILNS1_3genE10ELNS1_11target_archE1200ELNS1_3gpuE4ELNS1_3repE0EEENS1_30default_config_static_selectorELNS0_4arch9wavefront6targetE1EEEvS14_,comdat
	.protected	_ZN7rocprim17ROCPRIM_400000_NS6detail17trampoline_kernelINS0_14default_configENS1_22reduce_config_selectorIN6thrust23THRUST_200600_302600_NS5tupleIblNS6_9null_typeES8_S8_S8_S8_S8_S8_S8_EEEEZNS1_11reduce_implILb1ES3_NS6_12zip_iteratorINS7_INS6_11hip_rocprim26transform_input_iterator_tIbNSD_35transform_pair_of_input_iterators_tIbNS6_6detail15normal_iteratorINS6_10device_ptrIKdEEEESL_NS6_8equal_toIdEEEENSG_9not_fun_tINSD_8identityEEEEENSD_19counting_iterator_tIlEES8_S8_S8_S8_S8_S8_S8_S8_EEEEPS9_S9_NSD_9__find_if7functorIS9_EEEE10hipError_tPvRmT1_T2_T3_mT4_P12ihipStream_tbEUlT_E0_NS1_11comp_targetILNS1_3genE10ELNS1_11target_archE1200ELNS1_3gpuE4ELNS1_3repE0EEENS1_30default_config_static_selectorELNS0_4arch9wavefront6targetE1EEEvS14_ ; -- Begin function _ZN7rocprim17ROCPRIM_400000_NS6detail17trampoline_kernelINS0_14default_configENS1_22reduce_config_selectorIN6thrust23THRUST_200600_302600_NS5tupleIblNS6_9null_typeES8_S8_S8_S8_S8_S8_S8_EEEEZNS1_11reduce_implILb1ES3_NS6_12zip_iteratorINS7_INS6_11hip_rocprim26transform_input_iterator_tIbNSD_35transform_pair_of_input_iterators_tIbNS6_6detail15normal_iteratorINS6_10device_ptrIKdEEEESL_NS6_8equal_toIdEEEENSG_9not_fun_tINSD_8identityEEEEENSD_19counting_iterator_tIlEES8_S8_S8_S8_S8_S8_S8_S8_EEEEPS9_S9_NSD_9__find_if7functorIS9_EEEE10hipError_tPvRmT1_T2_T3_mT4_P12ihipStream_tbEUlT_E0_NS1_11comp_targetILNS1_3genE10ELNS1_11target_archE1200ELNS1_3gpuE4ELNS1_3repE0EEENS1_30default_config_static_selectorELNS0_4arch9wavefront6targetE1EEEvS14_
	.globl	_ZN7rocprim17ROCPRIM_400000_NS6detail17trampoline_kernelINS0_14default_configENS1_22reduce_config_selectorIN6thrust23THRUST_200600_302600_NS5tupleIblNS6_9null_typeES8_S8_S8_S8_S8_S8_S8_EEEEZNS1_11reduce_implILb1ES3_NS6_12zip_iteratorINS7_INS6_11hip_rocprim26transform_input_iterator_tIbNSD_35transform_pair_of_input_iterators_tIbNS6_6detail15normal_iteratorINS6_10device_ptrIKdEEEESL_NS6_8equal_toIdEEEENSG_9not_fun_tINSD_8identityEEEEENSD_19counting_iterator_tIlEES8_S8_S8_S8_S8_S8_S8_S8_EEEEPS9_S9_NSD_9__find_if7functorIS9_EEEE10hipError_tPvRmT1_T2_T3_mT4_P12ihipStream_tbEUlT_E0_NS1_11comp_targetILNS1_3genE10ELNS1_11target_archE1200ELNS1_3gpuE4ELNS1_3repE0EEENS1_30default_config_static_selectorELNS0_4arch9wavefront6targetE1EEEvS14_
	.p2align	8
	.type	_ZN7rocprim17ROCPRIM_400000_NS6detail17trampoline_kernelINS0_14default_configENS1_22reduce_config_selectorIN6thrust23THRUST_200600_302600_NS5tupleIblNS6_9null_typeES8_S8_S8_S8_S8_S8_S8_EEEEZNS1_11reduce_implILb1ES3_NS6_12zip_iteratorINS7_INS6_11hip_rocprim26transform_input_iterator_tIbNSD_35transform_pair_of_input_iterators_tIbNS6_6detail15normal_iteratorINS6_10device_ptrIKdEEEESL_NS6_8equal_toIdEEEENSG_9not_fun_tINSD_8identityEEEEENSD_19counting_iterator_tIlEES8_S8_S8_S8_S8_S8_S8_S8_EEEEPS9_S9_NSD_9__find_if7functorIS9_EEEE10hipError_tPvRmT1_T2_T3_mT4_P12ihipStream_tbEUlT_E0_NS1_11comp_targetILNS1_3genE10ELNS1_11target_archE1200ELNS1_3gpuE4ELNS1_3repE0EEENS1_30default_config_static_selectorELNS0_4arch9wavefront6targetE1EEEvS14_,@function
_ZN7rocprim17ROCPRIM_400000_NS6detail17trampoline_kernelINS0_14default_configENS1_22reduce_config_selectorIN6thrust23THRUST_200600_302600_NS5tupleIblNS6_9null_typeES8_S8_S8_S8_S8_S8_S8_EEEEZNS1_11reduce_implILb1ES3_NS6_12zip_iteratorINS7_INS6_11hip_rocprim26transform_input_iterator_tIbNSD_35transform_pair_of_input_iterators_tIbNS6_6detail15normal_iteratorINS6_10device_ptrIKdEEEESL_NS6_8equal_toIdEEEENSG_9not_fun_tINSD_8identityEEEEENSD_19counting_iterator_tIlEES8_S8_S8_S8_S8_S8_S8_S8_EEEEPS9_S9_NSD_9__find_if7functorIS9_EEEE10hipError_tPvRmT1_T2_T3_mT4_P12ihipStream_tbEUlT_E0_NS1_11comp_targetILNS1_3genE10ELNS1_11target_archE1200ELNS1_3gpuE4ELNS1_3repE0EEENS1_30default_config_static_selectorELNS0_4arch9wavefront6targetE1EEEvS14_: ; @_ZN7rocprim17ROCPRIM_400000_NS6detail17trampoline_kernelINS0_14default_configENS1_22reduce_config_selectorIN6thrust23THRUST_200600_302600_NS5tupleIblNS6_9null_typeES8_S8_S8_S8_S8_S8_S8_EEEEZNS1_11reduce_implILb1ES3_NS6_12zip_iteratorINS7_INS6_11hip_rocprim26transform_input_iterator_tIbNSD_35transform_pair_of_input_iterators_tIbNS6_6detail15normal_iteratorINS6_10device_ptrIKdEEEESL_NS6_8equal_toIdEEEENSG_9not_fun_tINSD_8identityEEEEENSD_19counting_iterator_tIlEES8_S8_S8_S8_S8_S8_S8_S8_EEEEPS9_S9_NSD_9__find_if7functorIS9_EEEE10hipError_tPvRmT1_T2_T3_mT4_P12ihipStream_tbEUlT_E0_NS1_11comp_targetILNS1_3genE10ELNS1_11target_archE1200ELNS1_3gpuE4ELNS1_3repE0EEENS1_30default_config_static_selectorELNS0_4arch9wavefront6targetE1EEEvS14_
; %bb.0:
	.section	.rodata,"a",@progbits
	.p2align	6, 0x0
	.amdhsa_kernel _ZN7rocprim17ROCPRIM_400000_NS6detail17trampoline_kernelINS0_14default_configENS1_22reduce_config_selectorIN6thrust23THRUST_200600_302600_NS5tupleIblNS6_9null_typeES8_S8_S8_S8_S8_S8_S8_EEEEZNS1_11reduce_implILb1ES3_NS6_12zip_iteratorINS7_INS6_11hip_rocprim26transform_input_iterator_tIbNSD_35transform_pair_of_input_iterators_tIbNS6_6detail15normal_iteratorINS6_10device_ptrIKdEEEESL_NS6_8equal_toIdEEEENSG_9not_fun_tINSD_8identityEEEEENSD_19counting_iterator_tIlEES8_S8_S8_S8_S8_S8_S8_S8_EEEEPS9_S9_NSD_9__find_if7functorIS9_EEEE10hipError_tPvRmT1_T2_T3_mT4_P12ihipStream_tbEUlT_E0_NS1_11comp_targetILNS1_3genE10ELNS1_11target_archE1200ELNS1_3gpuE4ELNS1_3repE0EEENS1_30default_config_static_selectorELNS0_4arch9wavefront6targetE1EEEvS14_
		.amdhsa_group_segment_fixed_size 0
		.amdhsa_private_segment_fixed_size 0
		.amdhsa_kernarg_size 104
		.amdhsa_user_sgpr_count 6
		.amdhsa_user_sgpr_private_segment_buffer 1
		.amdhsa_user_sgpr_dispatch_ptr 0
		.amdhsa_user_sgpr_queue_ptr 0
		.amdhsa_user_sgpr_kernarg_segment_ptr 1
		.amdhsa_user_sgpr_dispatch_id 0
		.amdhsa_user_sgpr_flat_scratch_init 0
		.amdhsa_user_sgpr_kernarg_preload_length 0
		.amdhsa_user_sgpr_kernarg_preload_offset 0
		.amdhsa_user_sgpr_private_segment_size 0
		.amdhsa_uses_dynamic_stack 0
		.amdhsa_system_sgpr_private_segment_wavefront_offset 0
		.amdhsa_system_sgpr_workgroup_id_x 1
		.amdhsa_system_sgpr_workgroup_id_y 0
		.amdhsa_system_sgpr_workgroup_id_z 0
		.amdhsa_system_sgpr_workgroup_info 0
		.amdhsa_system_vgpr_workitem_id 0
		.amdhsa_next_free_vgpr 1
		.amdhsa_next_free_sgpr 0
		.amdhsa_accum_offset 4
		.amdhsa_reserve_vcc 0
		.amdhsa_reserve_flat_scratch 0
		.amdhsa_float_round_mode_32 0
		.amdhsa_float_round_mode_16_64 0
		.amdhsa_float_denorm_mode_32 3
		.amdhsa_float_denorm_mode_16_64 3
		.amdhsa_dx10_clamp 1
		.amdhsa_ieee_mode 1
		.amdhsa_fp16_overflow 0
		.amdhsa_tg_split 0
		.amdhsa_exception_fp_ieee_invalid_op 0
		.amdhsa_exception_fp_denorm_src 0
		.amdhsa_exception_fp_ieee_div_zero 0
		.amdhsa_exception_fp_ieee_overflow 0
		.amdhsa_exception_fp_ieee_underflow 0
		.amdhsa_exception_fp_ieee_inexact 0
		.amdhsa_exception_int_div_zero 0
	.end_amdhsa_kernel
	.section	.text._ZN7rocprim17ROCPRIM_400000_NS6detail17trampoline_kernelINS0_14default_configENS1_22reduce_config_selectorIN6thrust23THRUST_200600_302600_NS5tupleIblNS6_9null_typeES8_S8_S8_S8_S8_S8_S8_EEEEZNS1_11reduce_implILb1ES3_NS6_12zip_iteratorINS7_INS6_11hip_rocprim26transform_input_iterator_tIbNSD_35transform_pair_of_input_iterators_tIbNS6_6detail15normal_iteratorINS6_10device_ptrIKdEEEESL_NS6_8equal_toIdEEEENSG_9not_fun_tINSD_8identityEEEEENSD_19counting_iterator_tIlEES8_S8_S8_S8_S8_S8_S8_S8_EEEEPS9_S9_NSD_9__find_if7functorIS9_EEEE10hipError_tPvRmT1_T2_T3_mT4_P12ihipStream_tbEUlT_E0_NS1_11comp_targetILNS1_3genE10ELNS1_11target_archE1200ELNS1_3gpuE4ELNS1_3repE0EEENS1_30default_config_static_selectorELNS0_4arch9wavefront6targetE1EEEvS14_,"axG",@progbits,_ZN7rocprim17ROCPRIM_400000_NS6detail17trampoline_kernelINS0_14default_configENS1_22reduce_config_selectorIN6thrust23THRUST_200600_302600_NS5tupleIblNS6_9null_typeES8_S8_S8_S8_S8_S8_S8_EEEEZNS1_11reduce_implILb1ES3_NS6_12zip_iteratorINS7_INS6_11hip_rocprim26transform_input_iterator_tIbNSD_35transform_pair_of_input_iterators_tIbNS6_6detail15normal_iteratorINS6_10device_ptrIKdEEEESL_NS6_8equal_toIdEEEENSG_9not_fun_tINSD_8identityEEEEENSD_19counting_iterator_tIlEES8_S8_S8_S8_S8_S8_S8_S8_EEEEPS9_S9_NSD_9__find_if7functorIS9_EEEE10hipError_tPvRmT1_T2_T3_mT4_P12ihipStream_tbEUlT_E0_NS1_11comp_targetILNS1_3genE10ELNS1_11target_archE1200ELNS1_3gpuE4ELNS1_3repE0EEENS1_30default_config_static_selectorELNS0_4arch9wavefront6targetE1EEEvS14_,comdat
.Lfunc_end43:
	.size	_ZN7rocprim17ROCPRIM_400000_NS6detail17trampoline_kernelINS0_14default_configENS1_22reduce_config_selectorIN6thrust23THRUST_200600_302600_NS5tupleIblNS6_9null_typeES8_S8_S8_S8_S8_S8_S8_EEEEZNS1_11reduce_implILb1ES3_NS6_12zip_iteratorINS7_INS6_11hip_rocprim26transform_input_iterator_tIbNSD_35transform_pair_of_input_iterators_tIbNS6_6detail15normal_iteratorINS6_10device_ptrIKdEEEESL_NS6_8equal_toIdEEEENSG_9not_fun_tINSD_8identityEEEEENSD_19counting_iterator_tIlEES8_S8_S8_S8_S8_S8_S8_S8_EEEEPS9_S9_NSD_9__find_if7functorIS9_EEEE10hipError_tPvRmT1_T2_T3_mT4_P12ihipStream_tbEUlT_E0_NS1_11comp_targetILNS1_3genE10ELNS1_11target_archE1200ELNS1_3gpuE4ELNS1_3repE0EEENS1_30default_config_static_selectorELNS0_4arch9wavefront6targetE1EEEvS14_, .Lfunc_end43-_ZN7rocprim17ROCPRIM_400000_NS6detail17trampoline_kernelINS0_14default_configENS1_22reduce_config_selectorIN6thrust23THRUST_200600_302600_NS5tupleIblNS6_9null_typeES8_S8_S8_S8_S8_S8_S8_EEEEZNS1_11reduce_implILb1ES3_NS6_12zip_iteratorINS7_INS6_11hip_rocprim26transform_input_iterator_tIbNSD_35transform_pair_of_input_iterators_tIbNS6_6detail15normal_iteratorINS6_10device_ptrIKdEEEESL_NS6_8equal_toIdEEEENSG_9not_fun_tINSD_8identityEEEEENSD_19counting_iterator_tIlEES8_S8_S8_S8_S8_S8_S8_S8_EEEEPS9_S9_NSD_9__find_if7functorIS9_EEEE10hipError_tPvRmT1_T2_T3_mT4_P12ihipStream_tbEUlT_E0_NS1_11comp_targetILNS1_3genE10ELNS1_11target_archE1200ELNS1_3gpuE4ELNS1_3repE0EEENS1_30default_config_static_selectorELNS0_4arch9wavefront6targetE1EEEvS14_
                                        ; -- End function
	.section	.AMDGPU.csdata,"",@progbits
; Kernel info:
; codeLenInByte = 0
; NumSgprs: 4
; NumVgprs: 0
; NumAgprs: 0
; TotalNumVgprs: 0
; ScratchSize: 0
; MemoryBound: 0
; FloatMode: 240
; IeeeMode: 1
; LDSByteSize: 0 bytes/workgroup (compile time only)
; SGPRBlocks: 0
; VGPRBlocks: 0
; NumSGPRsForWavesPerEU: 4
; NumVGPRsForWavesPerEU: 1
; AccumOffset: 4
; Occupancy: 8
; WaveLimiterHint : 0
; COMPUTE_PGM_RSRC2:SCRATCH_EN: 0
; COMPUTE_PGM_RSRC2:USER_SGPR: 6
; COMPUTE_PGM_RSRC2:TRAP_HANDLER: 0
; COMPUTE_PGM_RSRC2:TGID_X_EN: 1
; COMPUTE_PGM_RSRC2:TGID_Y_EN: 0
; COMPUTE_PGM_RSRC2:TGID_Z_EN: 0
; COMPUTE_PGM_RSRC2:TIDIG_COMP_CNT: 0
; COMPUTE_PGM_RSRC3_GFX90A:ACCUM_OFFSET: 0
; COMPUTE_PGM_RSRC3_GFX90A:TG_SPLIT: 0
	.section	.text._ZN7rocprim17ROCPRIM_400000_NS6detail17trampoline_kernelINS0_14default_configENS1_22reduce_config_selectorIN6thrust23THRUST_200600_302600_NS5tupleIblNS6_9null_typeES8_S8_S8_S8_S8_S8_S8_EEEEZNS1_11reduce_implILb1ES3_NS6_12zip_iteratorINS7_INS6_11hip_rocprim26transform_input_iterator_tIbNSD_35transform_pair_of_input_iterators_tIbNS6_6detail15normal_iteratorINS6_10device_ptrIKdEEEESL_NS6_8equal_toIdEEEENSG_9not_fun_tINSD_8identityEEEEENSD_19counting_iterator_tIlEES8_S8_S8_S8_S8_S8_S8_S8_EEEEPS9_S9_NSD_9__find_if7functorIS9_EEEE10hipError_tPvRmT1_T2_T3_mT4_P12ihipStream_tbEUlT_E0_NS1_11comp_targetILNS1_3genE9ELNS1_11target_archE1100ELNS1_3gpuE3ELNS1_3repE0EEENS1_30default_config_static_selectorELNS0_4arch9wavefront6targetE1EEEvS14_,"axG",@progbits,_ZN7rocprim17ROCPRIM_400000_NS6detail17trampoline_kernelINS0_14default_configENS1_22reduce_config_selectorIN6thrust23THRUST_200600_302600_NS5tupleIblNS6_9null_typeES8_S8_S8_S8_S8_S8_S8_EEEEZNS1_11reduce_implILb1ES3_NS6_12zip_iteratorINS7_INS6_11hip_rocprim26transform_input_iterator_tIbNSD_35transform_pair_of_input_iterators_tIbNS6_6detail15normal_iteratorINS6_10device_ptrIKdEEEESL_NS6_8equal_toIdEEEENSG_9not_fun_tINSD_8identityEEEEENSD_19counting_iterator_tIlEES8_S8_S8_S8_S8_S8_S8_S8_EEEEPS9_S9_NSD_9__find_if7functorIS9_EEEE10hipError_tPvRmT1_T2_T3_mT4_P12ihipStream_tbEUlT_E0_NS1_11comp_targetILNS1_3genE9ELNS1_11target_archE1100ELNS1_3gpuE3ELNS1_3repE0EEENS1_30default_config_static_selectorELNS0_4arch9wavefront6targetE1EEEvS14_,comdat
	.protected	_ZN7rocprim17ROCPRIM_400000_NS6detail17trampoline_kernelINS0_14default_configENS1_22reduce_config_selectorIN6thrust23THRUST_200600_302600_NS5tupleIblNS6_9null_typeES8_S8_S8_S8_S8_S8_S8_EEEEZNS1_11reduce_implILb1ES3_NS6_12zip_iteratorINS7_INS6_11hip_rocprim26transform_input_iterator_tIbNSD_35transform_pair_of_input_iterators_tIbNS6_6detail15normal_iteratorINS6_10device_ptrIKdEEEESL_NS6_8equal_toIdEEEENSG_9not_fun_tINSD_8identityEEEEENSD_19counting_iterator_tIlEES8_S8_S8_S8_S8_S8_S8_S8_EEEEPS9_S9_NSD_9__find_if7functorIS9_EEEE10hipError_tPvRmT1_T2_T3_mT4_P12ihipStream_tbEUlT_E0_NS1_11comp_targetILNS1_3genE9ELNS1_11target_archE1100ELNS1_3gpuE3ELNS1_3repE0EEENS1_30default_config_static_selectorELNS0_4arch9wavefront6targetE1EEEvS14_ ; -- Begin function _ZN7rocprim17ROCPRIM_400000_NS6detail17trampoline_kernelINS0_14default_configENS1_22reduce_config_selectorIN6thrust23THRUST_200600_302600_NS5tupleIblNS6_9null_typeES8_S8_S8_S8_S8_S8_S8_EEEEZNS1_11reduce_implILb1ES3_NS6_12zip_iteratorINS7_INS6_11hip_rocprim26transform_input_iterator_tIbNSD_35transform_pair_of_input_iterators_tIbNS6_6detail15normal_iteratorINS6_10device_ptrIKdEEEESL_NS6_8equal_toIdEEEENSG_9not_fun_tINSD_8identityEEEEENSD_19counting_iterator_tIlEES8_S8_S8_S8_S8_S8_S8_S8_EEEEPS9_S9_NSD_9__find_if7functorIS9_EEEE10hipError_tPvRmT1_T2_T3_mT4_P12ihipStream_tbEUlT_E0_NS1_11comp_targetILNS1_3genE9ELNS1_11target_archE1100ELNS1_3gpuE3ELNS1_3repE0EEENS1_30default_config_static_selectorELNS0_4arch9wavefront6targetE1EEEvS14_
	.globl	_ZN7rocprim17ROCPRIM_400000_NS6detail17trampoline_kernelINS0_14default_configENS1_22reduce_config_selectorIN6thrust23THRUST_200600_302600_NS5tupleIblNS6_9null_typeES8_S8_S8_S8_S8_S8_S8_EEEEZNS1_11reduce_implILb1ES3_NS6_12zip_iteratorINS7_INS6_11hip_rocprim26transform_input_iterator_tIbNSD_35transform_pair_of_input_iterators_tIbNS6_6detail15normal_iteratorINS6_10device_ptrIKdEEEESL_NS6_8equal_toIdEEEENSG_9not_fun_tINSD_8identityEEEEENSD_19counting_iterator_tIlEES8_S8_S8_S8_S8_S8_S8_S8_EEEEPS9_S9_NSD_9__find_if7functorIS9_EEEE10hipError_tPvRmT1_T2_T3_mT4_P12ihipStream_tbEUlT_E0_NS1_11comp_targetILNS1_3genE9ELNS1_11target_archE1100ELNS1_3gpuE3ELNS1_3repE0EEENS1_30default_config_static_selectorELNS0_4arch9wavefront6targetE1EEEvS14_
	.p2align	8
	.type	_ZN7rocprim17ROCPRIM_400000_NS6detail17trampoline_kernelINS0_14default_configENS1_22reduce_config_selectorIN6thrust23THRUST_200600_302600_NS5tupleIblNS6_9null_typeES8_S8_S8_S8_S8_S8_S8_EEEEZNS1_11reduce_implILb1ES3_NS6_12zip_iteratorINS7_INS6_11hip_rocprim26transform_input_iterator_tIbNSD_35transform_pair_of_input_iterators_tIbNS6_6detail15normal_iteratorINS6_10device_ptrIKdEEEESL_NS6_8equal_toIdEEEENSG_9not_fun_tINSD_8identityEEEEENSD_19counting_iterator_tIlEES8_S8_S8_S8_S8_S8_S8_S8_EEEEPS9_S9_NSD_9__find_if7functorIS9_EEEE10hipError_tPvRmT1_T2_T3_mT4_P12ihipStream_tbEUlT_E0_NS1_11comp_targetILNS1_3genE9ELNS1_11target_archE1100ELNS1_3gpuE3ELNS1_3repE0EEENS1_30default_config_static_selectorELNS0_4arch9wavefront6targetE1EEEvS14_,@function
_ZN7rocprim17ROCPRIM_400000_NS6detail17trampoline_kernelINS0_14default_configENS1_22reduce_config_selectorIN6thrust23THRUST_200600_302600_NS5tupleIblNS6_9null_typeES8_S8_S8_S8_S8_S8_S8_EEEEZNS1_11reduce_implILb1ES3_NS6_12zip_iteratorINS7_INS6_11hip_rocprim26transform_input_iterator_tIbNSD_35transform_pair_of_input_iterators_tIbNS6_6detail15normal_iteratorINS6_10device_ptrIKdEEEESL_NS6_8equal_toIdEEEENSG_9not_fun_tINSD_8identityEEEEENSD_19counting_iterator_tIlEES8_S8_S8_S8_S8_S8_S8_S8_EEEEPS9_S9_NSD_9__find_if7functorIS9_EEEE10hipError_tPvRmT1_T2_T3_mT4_P12ihipStream_tbEUlT_E0_NS1_11comp_targetILNS1_3genE9ELNS1_11target_archE1100ELNS1_3gpuE3ELNS1_3repE0EEENS1_30default_config_static_selectorELNS0_4arch9wavefront6targetE1EEEvS14_: ; @_ZN7rocprim17ROCPRIM_400000_NS6detail17trampoline_kernelINS0_14default_configENS1_22reduce_config_selectorIN6thrust23THRUST_200600_302600_NS5tupleIblNS6_9null_typeES8_S8_S8_S8_S8_S8_S8_EEEEZNS1_11reduce_implILb1ES3_NS6_12zip_iteratorINS7_INS6_11hip_rocprim26transform_input_iterator_tIbNSD_35transform_pair_of_input_iterators_tIbNS6_6detail15normal_iteratorINS6_10device_ptrIKdEEEESL_NS6_8equal_toIdEEEENSG_9not_fun_tINSD_8identityEEEEENSD_19counting_iterator_tIlEES8_S8_S8_S8_S8_S8_S8_S8_EEEEPS9_S9_NSD_9__find_if7functorIS9_EEEE10hipError_tPvRmT1_T2_T3_mT4_P12ihipStream_tbEUlT_E0_NS1_11comp_targetILNS1_3genE9ELNS1_11target_archE1100ELNS1_3gpuE3ELNS1_3repE0EEENS1_30default_config_static_selectorELNS0_4arch9wavefront6targetE1EEEvS14_
; %bb.0:
	.section	.rodata,"a",@progbits
	.p2align	6, 0x0
	.amdhsa_kernel _ZN7rocprim17ROCPRIM_400000_NS6detail17trampoline_kernelINS0_14default_configENS1_22reduce_config_selectorIN6thrust23THRUST_200600_302600_NS5tupleIblNS6_9null_typeES8_S8_S8_S8_S8_S8_S8_EEEEZNS1_11reduce_implILb1ES3_NS6_12zip_iteratorINS7_INS6_11hip_rocprim26transform_input_iterator_tIbNSD_35transform_pair_of_input_iterators_tIbNS6_6detail15normal_iteratorINS6_10device_ptrIKdEEEESL_NS6_8equal_toIdEEEENSG_9not_fun_tINSD_8identityEEEEENSD_19counting_iterator_tIlEES8_S8_S8_S8_S8_S8_S8_S8_EEEEPS9_S9_NSD_9__find_if7functorIS9_EEEE10hipError_tPvRmT1_T2_T3_mT4_P12ihipStream_tbEUlT_E0_NS1_11comp_targetILNS1_3genE9ELNS1_11target_archE1100ELNS1_3gpuE3ELNS1_3repE0EEENS1_30default_config_static_selectorELNS0_4arch9wavefront6targetE1EEEvS14_
		.amdhsa_group_segment_fixed_size 0
		.amdhsa_private_segment_fixed_size 0
		.amdhsa_kernarg_size 104
		.amdhsa_user_sgpr_count 6
		.amdhsa_user_sgpr_private_segment_buffer 1
		.amdhsa_user_sgpr_dispatch_ptr 0
		.amdhsa_user_sgpr_queue_ptr 0
		.amdhsa_user_sgpr_kernarg_segment_ptr 1
		.amdhsa_user_sgpr_dispatch_id 0
		.amdhsa_user_sgpr_flat_scratch_init 0
		.amdhsa_user_sgpr_kernarg_preload_length 0
		.amdhsa_user_sgpr_kernarg_preload_offset 0
		.amdhsa_user_sgpr_private_segment_size 0
		.amdhsa_uses_dynamic_stack 0
		.amdhsa_system_sgpr_private_segment_wavefront_offset 0
		.amdhsa_system_sgpr_workgroup_id_x 1
		.amdhsa_system_sgpr_workgroup_id_y 0
		.amdhsa_system_sgpr_workgroup_id_z 0
		.amdhsa_system_sgpr_workgroup_info 0
		.amdhsa_system_vgpr_workitem_id 0
		.amdhsa_next_free_vgpr 1
		.amdhsa_next_free_sgpr 0
		.amdhsa_accum_offset 4
		.amdhsa_reserve_vcc 0
		.amdhsa_reserve_flat_scratch 0
		.amdhsa_float_round_mode_32 0
		.amdhsa_float_round_mode_16_64 0
		.amdhsa_float_denorm_mode_32 3
		.amdhsa_float_denorm_mode_16_64 3
		.amdhsa_dx10_clamp 1
		.amdhsa_ieee_mode 1
		.amdhsa_fp16_overflow 0
		.amdhsa_tg_split 0
		.amdhsa_exception_fp_ieee_invalid_op 0
		.amdhsa_exception_fp_denorm_src 0
		.amdhsa_exception_fp_ieee_div_zero 0
		.amdhsa_exception_fp_ieee_overflow 0
		.amdhsa_exception_fp_ieee_underflow 0
		.amdhsa_exception_fp_ieee_inexact 0
		.amdhsa_exception_int_div_zero 0
	.end_amdhsa_kernel
	.section	.text._ZN7rocprim17ROCPRIM_400000_NS6detail17trampoline_kernelINS0_14default_configENS1_22reduce_config_selectorIN6thrust23THRUST_200600_302600_NS5tupleIblNS6_9null_typeES8_S8_S8_S8_S8_S8_S8_EEEEZNS1_11reduce_implILb1ES3_NS6_12zip_iteratorINS7_INS6_11hip_rocprim26transform_input_iterator_tIbNSD_35transform_pair_of_input_iterators_tIbNS6_6detail15normal_iteratorINS6_10device_ptrIKdEEEESL_NS6_8equal_toIdEEEENSG_9not_fun_tINSD_8identityEEEEENSD_19counting_iterator_tIlEES8_S8_S8_S8_S8_S8_S8_S8_EEEEPS9_S9_NSD_9__find_if7functorIS9_EEEE10hipError_tPvRmT1_T2_T3_mT4_P12ihipStream_tbEUlT_E0_NS1_11comp_targetILNS1_3genE9ELNS1_11target_archE1100ELNS1_3gpuE3ELNS1_3repE0EEENS1_30default_config_static_selectorELNS0_4arch9wavefront6targetE1EEEvS14_,"axG",@progbits,_ZN7rocprim17ROCPRIM_400000_NS6detail17trampoline_kernelINS0_14default_configENS1_22reduce_config_selectorIN6thrust23THRUST_200600_302600_NS5tupleIblNS6_9null_typeES8_S8_S8_S8_S8_S8_S8_EEEEZNS1_11reduce_implILb1ES3_NS6_12zip_iteratorINS7_INS6_11hip_rocprim26transform_input_iterator_tIbNSD_35transform_pair_of_input_iterators_tIbNS6_6detail15normal_iteratorINS6_10device_ptrIKdEEEESL_NS6_8equal_toIdEEEENSG_9not_fun_tINSD_8identityEEEEENSD_19counting_iterator_tIlEES8_S8_S8_S8_S8_S8_S8_S8_EEEEPS9_S9_NSD_9__find_if7functorIS9_EEEE10hipError_tPvRmT1_T2_T3_mT4_P12ihipStream_tbEUlT_E0_NS1_11comp_targetILNS1_3genE9ELNS1_11target_archE1100ELNS1_3gpuE3ELNS1_3repE0EEENS1_30default_config_static_selectorELNS0_4arch9wavefront6targetE1EEEvS14_,comdat
.Lfunc_end44:
	.size	_ZN7rocprim17ROCPRIM_400000_NS6detail17trampoline_kernelINS0_14default_configENS1_22reduce_config_selectorIN6thrust23THRUST_200600_302600_NS5tupleIblNS6_9null_typeES8_S8_S8_S8_S8_S8_S8_EEEEZNS1_11reduce_implILb1ES3_NS6_12zip_iteratorINS7_INS6_11hip_rocprim26transform_input_iterator_tIbNSD_35transform_pair_of_input_iterators_tIbNS6_6detail15normal_iteratorINS6_10device_ptrIKdEEEESL_NS6_8equal_toIdEEEENSG_9not_fun_tINSD_8identityEEEEENSD_19counting_iterator_tIlEES8_S8_S8_S8_S8_S8_S8_S8_EEEEPS9_S9_NSD_9__find_if7functorIS9_EEEE10hipError_tPvRmT1_T2_T3_mT4_P12ihipStream_tbEUlT_E0_NS1_11comp_targetILNS1_3genE9ELNS1_11target_archE1100ELNS1_3gpuE3ELNS1_3repE0EEENS1_30default_config_static_selectorELNS0_4arch9wavefront6targetE1EEEvS14_, .Lfunc_end44-_ZN7rocprim17ROCPRIM_400000_NS6detail17trampoline_kernelINS0_14default_configENS1_22reduce_config_selectorIN6thrust23THRUST_200600_302600_NS5tupleIblNS6_9null_typeES8_S8_S8_S8_S8_S8_S8_EEEEZNS1_11reduce_implILb1ES3_NS6_12zip_iteratorINS7_INS6_11hip_rocprim26transform_input_iterator_tIbNSD_35transform_pair_of_input_iterators_tIbNS6_6detail15normal_iteratorINS6_10device_ptrIKdEEEESL_NS6_8equal_toIdEEEENSG_9not_fun_tINSD_8identityEEEEENSD_19counting_iterator_tIlEES8_S8_S8_S8_S8_S8_S8_S8_EEEEPS9_S9_NSD_9__find_if7functorIS9_EEEE10hipError_tPvRmT1_T2_T3_mT4_P12ihipStream_tbEUlT_E0_NS1_11comp_targetILNS1_3genE9ELNS1_11target_archE1100ELNS1_3gpuE3ELNS1_3repE0EEENS1_30default_config_static_selectorELNS0_4arch9wavefront6targetE1EEEvS14_
                                        ; -- End function
	.section	.AMDGPU.csdata,"",@progbits
; Kernel info:
; codeLenInByte = 0
; NumSgprs: 4
; NumVgprs: 0
; NumAgprs: 0
; TotalNumVgprs: 0
; ScratchSize: 0
; MemoryBound: 0
; FloatMode: 240
; IeeeMode: 1
; LDSByteSize: 0 bytes/workgroup (compile time only)
; SGPRBlocks: 0
; VGPRBlocks: 0
; NumSGPRsForWavesPerEU: 4
; NumVGPRsForWavesPerEU: 1
; AccumOffset: 4
; Occupancy: 8
; WaveLimiterHint : 0
; COMPUTE_PGM_RSRC2:SCRATCH_EN: 0
; COMPUTE_PGM_RSRC2:USER_SGPR: 6
; COMPUTE_PGM_RSRC2:TRAP_HANDLER: 0
; COMPUTE_PGM_RSRC2:TGID_X_EN: 1
; COMPUTE_PGM_RSRC2:TGID_Y_EN: 0
; COMPUTE_PGM_RSRC2:TGID_Z_EN: 0
; COMPUTE_PGM_RSRC2:TIDIG_COMP_CNT: 0
; COMPUTE_PGM_RSRC3_GFX90A:ACCUM_OFFSET: 0
; COMPUTE_PGM_RSRC3_GFX90A:TG_SPLIT: 0
	.section	.text._ZN7rocprim17ROCPRIM_400000_NS6detail17trampoline_kernelINS0_14default_configENS1_22reduce_config_selectorIN6thrust23THRUST_200600_302600_NS5tupleIblNS6_9null_typeES8_S8_S8_S8_S8_S8_S8_EEEEZNS1_11reduce_implILb1ES3_NS6_12zip_iteratorINS7_INS6_11hip_rocprim26transform_input_iterator_tIbNSD_35transform_pair_of_input_iterators_tIbNS6_6detail15normal_iteratorINS6_10device_ptrIKdEEEESL_NS6_8equal_toIdEEEENSG_9not_fun_tINSD_8identityEEEEENSD_19counting_iterator_tIlEES8_S8_S8_S8_S8_S8_S8_S8_EEEEPS9_S9_NSD_9__find_if7functorIS9_EEEE10hipError_tPvRmT1_T2_T3_mT4_P12ihipStream_tbEUlT_E0_NS1_11comp_targetILNS1_3genE8ELNS1_11target_archE1030ELNS1_3gpuE2ELNS1_3repE0EEENS1_30default_config_static_selectorELNS0_4arch9wavefront6targetE1EEEvS14_,"axG",@progbits,_ZN7rocprim17ROCPRIM_400000_NS6detail17trampoline_kernelINS0_14default_configENS1_22reduce_config_selectorIN6thrust23THRUST_200600_302600_NS5tupleIblNS6_9null_typeES8_S8_S8_S8_S8_S8_S8_EEEEZNS1_11reduce_implILb1ES3_NS6_12zip_iteratorINS7_INS6_11hip_rocprim26transform_input_iterator_tIbNSD_35transform_pair_of_input_iterators_tIbNS6_6detail15normal_iteratorINS6_10device_ptrIKdEEEESL_NS6_8equal_toIdEEEENSG_9not_fun_tINSD_8identityEEEEENSD_19counting_iterator_tIlEES8_S8_S8_S8_S8_S8_S8_S8_EEEEPS9_S9_NSD_9__find_if7functorIS9_EEEE10hipError_tPvRmT1_T2_T3_mT4_P12ihipStream_tbEUlT_E0_NS1_11comp_targetILNS1_3genE8ELNS1_11target_archE1030ELNS1_3gpuE2ELNS1_3repE0EEENS1_30default_config_static_selectorELNS0_4arch9wavefront6targetE1EEEvS14_,comdat
	.protected	_ZN7rocprim17ROCPRIM_400000_NS6detail17trampoline_kernelINS0_14default_configENS1_22reduce_config_selectorIN6thrust23THRUST_200600_302600_NS5tupleIblNS6_9null_typeES8_S8_S8_S8_S8_S8_S8_EEEEZNS1_11reduce_implILb1ES3_NS6_12zip_iteratorINS7_INS6_11hip_rocprim26transform_input_iterator_tIbNSD_35transform_pair_of_input_iterators_tIbNS6_6detail15normal_iteratorINS6_10device_ptrIKdEEEESL_NS6_8equal_toIdEEEENSG_9not_fun_tINSD_8identityEEEEENSD_19counting_iterator_tIlEES8_S8_S8_S8_S8_S8_S8_S8_EEEEPS9_S9_NSD_9__find_if7functorIS9_EEEE10hipError_tPvRmT1_T2_T3_mT4_P12ihipStream_tbEUlT_E0_NS1_11comp_targetILNS1_3genE8ELNS1_11target_archE1030ELNS1_3gpuE2ELNS1_3repE0EEENS1_30default_config_static_selectorELNS0_4arch9wavefront6targetE1EEEvS14_ ; -- Begin function _ZN7rocprim17ROCPRIM_400000_NS6detail17trampoline_kernelINS0_14default_configENS1_22reduce_config_selectorIN6thrust23THRUST_200600_302600_NS5tupleIblNS6_9null_typeES8_S8_S8_S8_S8_S8_S8_EEEEZNS1_11reduce_implILb1ES3_NS6_12zip_iteratorINS7_INS6_11hip_rocprim26transform_input_iterator_tIbNSD_35transform_pair_of_input_iterators_tIbNS6_6detail15normal_iteratorINS6_10device_ptrIKdEEEESL_NS6_8equal_toIdEEEENSG_9not_fun_tINSD_8identityEEEEENSD_19counting_iterator_tIlEES8_S8_S8_S8_S8_S8_S8_S8_EEEEPS9_S9_NSD_9__find_if7functorIS9_EEEE10hipError_tPvRmT1_T2_T3_mT4_P12ihipStream_tbEUlT_E0_NS1_11comp_targetILNS1_3genE8ELNS1_11target_archE1030ELNS1_3gpuE2ELNS1_3repE0EEENS1_30default_config_static_selectorELNS0_4arch9wavefront6targetE1EEEvS14_
	.globl	_ZN7rocprim17ROCPRIM_400000_NS6detail17trampoline_kernelINS0_14default_configENS1_22reduce_config_selectorIN6thrust23THRUST_200600_302600_NS5tupleIblNS6_9null_typeES8_S8_S8_S8_S8_S8_S8_EEEEZNS1_11reduce_implILb1ES3_NS6_12zip_iteratorINS7_INS6_11hip_rocprim26transform_input_iterator_tIbNSD_35transform_pair_of_input_iterators_tIbNS6_6detail15normal_iteratorINS6_10device_ptrIKdEEEESL_NS6_8equal_toIdEEEENSG_9not_fun_tINSD_8identityEEEEENSD_19counting_iterator_tIlEES8_S8_S8_S8_S8_S8_S8_S8_EEEEPS9_S9_NSD_9__find_if7functorIS9_EEEE10hipError_tPvRmT1_T2_T3_mT4_P12ihipStream_tbEUlT_E0_NS1_11comp_targetILNS1_3genE8ELNS1_11target_archE1030ELNS1_3gpuE2ELNS1_3repE0EEENS1_30default_config_static_selectorELNS0_4arch9wavefront6targetE1EEEvS14_
	.p2align	8
	.type	_ZN7rocprim17ROCPRIM_400000_NS6detail17trampoline_kernelINS0_14default_configENS1_22reduce_config_selectorIN6thrust23THRUST_200600_302600_NS5tupleIblNS6_9null_typeES8_S8_S8_S8_S8_S8_S8_EEEEZNS1_11reduce_implILb1ES3_NS6_12zip_iteratorINS7_INS6_11hip_rocprim26transform_input_iterator_tIbNSD_35transform_pair_of_input_iterators_tIbNS6_6detail15normal_iteratorINS6_10device_ptrIKdEEEESL_NS6_8equal_toIdEEEENSG_9not_fun_tINSD_8identityEEEEENSD_19counting_iterator_tIlEES8_S8_S8_S8_S8_S8_S8_S8_EEEEPS9_S9_NSD_9__find_if7functorIS9_EEEE10hipError_tPvRmT1_T2_T3_mT4_P12ihipStream_tbEUlT_E0_NS1_11comp_targetILNS1_3genE8ELNS1_11target_archE1030ELNS1_3gpuE2ELNS1_3repE0EEENS1_30default_config_static_selectorELNS0_4arch9wavefront6targetE1EEEvS14_,@function
_ZN7rocprim17ROCPRIM_400000_NS6detail17trampoline_kernelINS0_14default_configENS1_22reduce_config_selectorIN6thrust23THRUST_200600_302600_NS5tupleIblNS6_9null_typeES8_S8_S8_S8_S8_S8_S8_EEEEZNS1_11reduce_implILb1ES3_NS6_12zip_iteratorINS7_INS6_11hip_rocprim26transform_input_iterator_tIbNSD_35transform_pair_of_input_iterators_tIbNS6_6detail15normal_iteratorINS6_10device_ptrIKdEEEESL_NS6_8equal_toIdEEEENSG_9not_fun_tINSD_8identityEEEEENSD_19counting_iterator_tIlEES8_S8_S8_S8_S8_S8_S8_S8_EEEEPS9_S9_NSD_9__find_if7functorIS9_EEEE10hipError_tPvRmT1_T2_T3_mT4_P12ihipStream_tbEUlT_E0_NS1_11comp_targetILNS1_3genE8ELNS1_11target_archE1030ELNS1_3gpuE2ELNS1_3repE0EEENS1_30default_config_static_selectorELNS0_4arch9wavefront6targetE1EEEvS14_: ; @_ZN7rocprim17ROCPRIM_400000_NS6detail17trampoline_kernelINS0_14default_configENS1_22reduce_config_selectorIN6thrust23THRUST_200600_302600_NS5tupleIblNS6_9null_typeES8_S8_S8_S8_S8_S8_S8_EEEEZNS1_11reduce_implILb1ES3_NS6_12zip_iteratorINS7_INS6_11hip_rocprim26transform_input_iterator_tIbNSD_35transform_pair_of_input_iterators_tIbNS6_6detail15normal_iteratorINS6_10device_ptrIKdEEEESL_NS6_8equal_toIdEEEENSG_9not_fun_tINSD_8identityEEEEENSD_19counting_iterator_tIlEES8_S8_S8_S8_S8_S8_S8_S8_EEEEPS9_S9_NSD_9__find_if7functorIS9_EEEE10hipError_tPvRmT1_T2_T3_mT4_P12ihipStream_tbEUlT_E0_NS1_11comp_targetILNS1_3genE8ELNS1_11target_archE1030ELNS1_3gpuE2ELNS1_3repE0EEENS1_30default_config_static_selectorELNS0_4arch9wavefront6targetE1EEEvS14_
; %bb.0:
	.section	.rodata,"a",@progbits
	.p2align	6, 0x0
	.amdhsa_kernel _ZN7rocprim17ROCPRIM_400000_NS6detail17trampoline_kernelINS0_14default_configENS1_22reduce_config_selectorIN6thrust23THRUST_200600_302600_NS5tupleIblNS6_9null_typeES8_S8_S8_S8_S8_S8_S8_EEEEZNS1_11reduce_implILb1ES3_NS6_12zip_iteratorINS7_INS6_11hip_rocprim26transform_input_iterator_tIbNSD_35transform_pair_of_input_iterators_tIbNS6_6detail15normal_iteratorINS6_10device_ptrIKdEEEESL_NS6_8equal_toIdEEEENSG_9not_fun_tINSD_8identityEEEEENSD_19counting_iterator_tIlEES8_S8_S8_S8_S8_S8_S8_S8_EEEEPS9_S9_NSD_9__find_if7functorIS9_EEEE10hipError_tPvRmT1_T2_T3_mT4_P12ihipStream_tbEUlT_E0_NS1_11comp_targetILNS1_3genE8ELNS1_11target_archE1030ELNS1_3gpuE2ELNS1_3repE0EEENS1_30default_config_static_selectorELNS0_4arch9wavefront6targetE1EEEvS14_
		.amdhsa_group_segment_fixed_size 0
		.amdhsa_private_segment_fixed_size 0
		.amdhsa_kernarg_size 104
		.amdhsa_user_sgpr_count 6
		.amdhsa_user_sgpr_private_segment_buffer 1
		.amdhsa_user_sgpr_dispatch_ptr 0
		.amdhsa_user_sgpr_queue_ptr 0
		.amdhsa_user_sgpr_kernarg_segment_ptr 1
		.amdhsa_user_sgpr_dispatch_id 0
		.amdhsa_user_sgpr_flat_scratch_init 0
		.amdhsa_user_sgpr_kernarg_preload_length 0
		.amdhsa_user_sgpr_kernarg_preload_offset 0
		.amdhsa_user_sgpr_private_segment_size 0
		.amdhsa_uses_dynamic_stack 0
		.amdhsa_system_sgpr_private_segment_wavefront_offset 0
		.amdhsa_system_sgpr_workgroup_id_x 1
		.amdhsa_system_sgpr_workgroup_id_y 0
		.amdhsa_system_sgpr_workgroup_id_z 0
		.amdhsa_system_sgpr_workgroup_info 0
		.amdhsa_system_vgpr_workitem_id 0
		.amdhsa_next_free_vgpr 1
		.amdhsa_next_free_sgpr 0
		.amdhsa_accum_offset 4
		.amdhsa_reserve_vcc 0
		.amdhsa_reserve_flat_scratch 0
		.amdhsa_float_round_mode_32 0
		.amdhsa_float_round_mode_16_64 0
		.amdhsa_float_denorm_mode_32 3
		.amdhsa_float_denorm_mode_16_64 3
		.amdhsa_dx10_clamp 1
		.amdhsa_ieee_mode 1
		.amdhsa_fp16_overflow 0
		.amdhsa_tg_split 0
		.amdhsa_exception_fp_ieee_invalid_op 0
		.amdhsa_exception_fp_denorm_src 0
		.amdhsa_exception_fp_ieee_div_zero 0
		.amdhsa_exception_fp_ieee_overflow 0
		.amdhsa_exception_fp_ieee_underflow 0
		.amdhsa_exception_fp_ieee_inexact 0
		.amdhsa_exception_int_div_zero 0
	.end_amdhsa_kernel
	.section	.text._ZN7rocprim17ROCPRIM_400000_NS6detail17trampoline_kernelINS0_14default_configENS1_22reduce_config_selectorIN6thrust23THRUST_200600_302600_NS5tupleIblNS6_9null_typeES8_S8_S8_S8_S8_S8_S8_EEEEZNS1_11reduce_implILb1ES3_NS6_12zip_iteratorINS7_INS6_11hip_rocprim26transform_input_iterator_tIbNSD_35transform_pair_of_input_iterators_tIbNS6_6detail15normal_iteratorINS6_10device_ptrIKdEEEESL_NS6_8equal_toIdEEEENSG_9not_fun_tINSD_8identityEEEEENSD_19counting_iterator_tIlEES8_S8_S8_S8_S8_S8_S8_S8_EEEEPS9_S9_NSD_9__find_if7functorIS9_EEEE10hipError_tPvRmT1_T2_T3_mT4_P12ihipStream_tbEUlT_E0_NS1_11comp_targetILNS1_3genE8ELNS1_11target_archE1030ELNS1_3gpuE2ELNS1_3repE0EEENS1_30default_config_static_selectorELNS0_4arch9wavefront6targetE1EEEvS14_,"axG",@progbits,_ZN7rocprim17ROCPRIM_400000_NS6detail17trampoline_kernelINS0_14default_configENS1_22reduce_config_selectorIN6thrust23THRUST_200600_302600_NS5tupleIblNS6_9null_typeES8_S8_S8_S8_S8_S8_S8_EEEEZNS1_11reduce_implILb1ES3_NS6_12zip_iteratorINS7_INS6_11hip_rocprim26transform_input_iterator_tIbNSD_35transform_pair_of_input_iterators_tIbNS6_6detail15normal_iteratorINS6_10device_ptrIKdEEEESL_NS6_8equal_toIdEEEENSG_9not_fun_tINSD_8identityEEEEENSD_19counting_iterator_tIlEES8_S8_S8_S8_S8_S8_S8_S8_EEEEPS9_S9_NSD_9__find_if7functorIS9_EEEE10hipError_tPvRmT1_T2_T3_mT4_P12ihipStream_tbEUlT_E0_NS1_11comp_targetILNS1_3genE8ELNS1_11target_archE1030ELNS1_3gpuE2ELNS1_3repE0EEENS1_30default_config_static_selectorELNS0_4arch9wavefront6targetE1EEEvS14_,comdat
.Lfunc_end45:
	.size	_ZN7rocprim17ROCPRIM_400000_NS6detail17trampoline_kernelINS0_14default_configENS1_22reduce_config_selectorIN6thrust23THRUST_200600_302600_NS5tupleIblNS6_9null_typeES8_S8_S8_S8_S8_S8_S8_EEEEZNS1_11reduce_implILb1ES3_NS6_12zip_iteratorINS7_INS6_11hip_rocprim26transform_input_iterator_tIbNSD_35transform_pair_of_input_iterators_tIbNS6_6detail15normal_iteratorINS6_10device_ptrIKdEEEESL_NS6_8equal_toIdEEEENSG_9not_fun_tINSD_8identityEEEEENSD_19counting_iterator_tIlEES8_S8_S8_S8_S8_S8_S8_S8_EEEEPS9_S9_NSD_9__find_if7functorIS9_EEEE10hipError_tPvRmT1_T2_T3_mT4_P12ihipStream_tbEUlT_E0_NS1_11comp_targetILNS1_3genE8ELNS1_11target_archE1030ELNS1_3gpuE2ELNS1_3repE0EEENS1_30default_config_static_selectorELNS0_4arch9wavefront6targetE1EEEvS14_, .Lfunc_end45-_ZN7rocprim17ROCPRIM_400000_NS6detail17trampoline_kernelINS0_14default_configENS1_22reduce_config_selectorIN6thrust23THRUST_200600_302600_NS5tupleIblNS6_9null_typeES8_S8_S8_S8_S8_S8_S8_EEEEZNS1_11reduce_implILb1ES3_NS6_12zip_iteratorINS7_INS6_11hip_rocprim26transform_input_iterator_tIbNSD_35transform_pair_of_input_iterators_tIbNS6_6detail15normal_iteratorINS6_10device_ptrIKdEEEESL_NS6_8equal_toIdEEEENSG_9not_fun_tINSD_8identityEEEEENSD_19counting_iterator_tIlEES8_S8_S8_S8_S8_S8_S8_S8_EEEEPS9_S9_NSD_9__find_if7functorIS9_EEEE10hipError_tPvRmT1_T2_T3_mT4_P12ihipStream_tbEUlT_E0_NS1_11comp_targetILNS1_3genE8ELNS1_11target_archE1030ELNS1_3gpuE2ELNS1_3repE0EEENS1_30default_config_static_selectorELNS0_4arch9wavefront6targetE1EEEvS14_
                                        ; -- End function
	.section	.AMDGPU.csdata,"",@progbits
; Kernel info:
; codeLenInByte = 0
; NumSgprs: 4
; NumVgprs: 0
; NumAgprs: 0
; TotalNumVgprs: 0
; ScratchSize: 0
; MemoryBound: 0
; FloatMode: 240
; IeeeMode: 1
; LDSByteSize: 0 bytes/workgroup (compile time only)
; SGPRBlocks: 0
; VGPRBlocks: 0
; NumSGPRsForWavesPerEU: 4
; NumVGPRsForWavesPerEU: 1
; AccumOffset: 4
; Occupancy: 8
; WaveLimiterHint : 0
; COMPUTE_PGM_RSRC2:SCRATCH_EN: 0
; COMPUTE_PGM_RSRC2:USER_SGPR: 6
; COMPUTE_PGM_RSRC2:TRAP_HANDLER: 0
; COMPUTE_PGM_RSRC2:TGID_X_EN: 1
; COMPUTE_PGM_RSRC2:TGID_Y_EN: 0
; COMPUTE_PGM_RSRC2:TGID_Z_EN: 0
; COMPUTE_PGM_RSRC2:TIDIG_COMP_CNT: 0
; COMPUTE_PGM_RSRC3_GFX90A:ACCUM_OFFSET: 0
; COMPUTE_PGM_RSRC3_GFX90A:TG_SPLIT: 0
	.section	.text._ZN7rocprim17ROCPRIM_400000_NS6detail17trampoline_kernelINS0_14default_configENS1_22reduce_config_selectorIN6thrust23THRUST_200600_302600_NS5tupleIblNS6_9null_typeES8_S8_S8_S8_S8_S8_S8_EEEEZNS1_11reduce_implILb1ES3_NS6_12zip_iteratorINS7_INS6_11hip_rocprim26transform_input_iterator_tIbNSD_35transform_pair_of_input_iterators_tIbNS6_6detail15normal_iteratorINS6_10device_ptrIKdEEEESL_NS6_8equal_toIdEEEENSG_9not_fun_tINSD_8identityEEEEENSD_19counting_iterator_tIlEES8_S8_S8_S8_S8_S8_S8_S8_EEEEPS9_S9_NSD_9__find_if7functorIS9_EEEE10hipError_tPvRmT1_T2_T3_mT4_P12ihipStream_tbEUlT_E1_NS1_11comp_targetILNS1_3genE0ELNS1_11target_archE4294967295ELNS1_3gpuE0ELNS1_3repE0EEENS1_30default_config_static_selectorELNS0_4arch9wavefront6targetE1EEEvS14_,"axG",@progbits,_ZN7rocprim17ROCPRIM_400000_NS6detail17trampoline_kernelINS0_14default_configENS1_22reduce_config_selectorIN6thrust23THRUST_200600_302600_NS5tupleIblNS6_9null_typeES8_S8_S8_S8_S8_S8_S8_EEEEZNS1_11reduce_implILb1ES3_NS6_12zip_iteratorINS7_INS6_11hip_rocprim26transform_input_iterator_tIbNSD_35transform_pair_of_input_iterators_tIbNS6_6detail15normal_iteratorINS6_10device_ptrIKdEEEESL_NS6_8equal_toIdEEEENSG_9not_fun_tINSD_8identityEEEEENSD_19counting_iterator_tIlEES8_S8_S8_S8_S8_S8_S8_S8_EEEEPS9_S9_NSD_9__find_if7functorIS9_EEEE10hipError_tPvRmT1_T2_T3_mT4_P12ihipStream_tbEUlT_E1_NS1_11comp_targetILNS1_3genE0ELNS1_11target_archE4294967295ELNS1_3gpuE0ELNS1_3repE0EEENS1_30default_config_static_selectorELNS0_4arch9wavefront6targetE1EEEvS14_,comdat
	.protected	_ZN7rocprim17ROCPRIM_400000_NS6detail17trampoline_kernelINS0_14default_configENS1_22reduce_config_selectorIN6thrust23THRUST_200600_302600_NS5tupleIblNS6_9null_typeES8_S8_S8_S8_S8_S8_S8_EEEEZNS1_11reduce_implILb1ES3_NS6_12zip_iteratorINS7_INS6_11hip_rocprim26transform_input_iterator_tIbNSD_35transform_pair_of_input_iterators_tIbNS6_6detail15normal_iteratorINS6_10device_ptrIKdEEEESL_NS6_8equal_toIdEEEENSG_9not_fun_tINSD_8identityEEEEENSD_19counting_iterator_tIlEES8_S8_S8_S8_S8_S8_S8_S8_EEEEPS9_S9_NSD_9__find_if7functorIS9_EEEE10hipError_tPvRmT1_T2_T3_mT4_P12ihipStream_tbEUlT_E1_NS1_11comp_targetILNS1_3genE0ELNS1_11target_archE4294967295ELNS1_3gpuE0ELNS1_3repE0EEENS1_30default_config_static_selectorELNS0_4arch9wavefront6targetE1EEEvS14_ ; -- Begin function _ZN7rocprim17ROCPRIM_400000_NS6detail17trampoline_kernelINS0_14default_configENS1_22reduce_config_selectorIN6thrust23THRUST_200600_302600_NS5tupleIblNS6_9null_typeES8_S8_S8_S8_S8_S8_S8_EEEEZNS1_11reduce_implILb1ES3_NS6_12zip_iteratorINS7_INS6_11hip_rocprim26transform_input_iterator_tIbNSD_35transform_pair_of_input_iterators_tIbNS6_6detail15normal_iteratorINS6_10device_ptrIKdEEEESL_NS6_8equal_toIdEEEENSG_9not_fun_tINSD_8identityEEEEENSD_19counting_iterator_tIlEES8_S8_S8_S8_S8_S8_S8_S8_EEEEPS9_S9_NSD_9__find_if7functorIS9_EEEE10hipError_tPvRmT1_T2_T3_mT4_P12ihipStream_tbEUlT_E1_NS1_11comp_targetILNS1_3genE0ELNS1_11target_archE4294967295ELNS1_3gpuE0ELNS1_3repE0EEENS1_30default_config_static_selectorELNS0_4arch9wavefront6targetE1EEEvS14_
	.globl	_ZN7rocprim17ROCPRIM_400000_NS6detail17trampoline_kernelINS0_14default_configENS1_22reduce_config_selectorIN6thrust23THRUST_200600_302600_NS5tupleIblNS6_9null_typeES8_S8_S8_S8_S8_S8_S8_EEEEZNS1_11reduce_implILb1ES3_NS6_12zip_iteratorINS7_INS6_11hip_rocprim26transform_input_iterator_tIbNSD_35transform_pair_of_input_iterators_tIbNS6_6detail15normal_iteratorINS6_10device_ptrIKdEEEESL_NS6_8equal_toIdEEEENSG_9not_fun_tINSD_8identityEEEEENSD_19counting_iterator_tIlEES8_S8_S8_S8_S8_S8_S8_S8_EEEEPS9_S9_NSD_9__find_if7functorIS9_EEEE10hipError_tPvRmT1_T2_T3_mT4_P12ihipStream_tbEUlT_E1_NS1_11comp_targetILNS1_3genE0ELNS1_11target_archE4294967295ELNS1_3gpuE0ELNS1_3repE0EEENS1_30default_config_static_selectorELNS0_4arch9wavefront6targetE1EEEvS14_
	.p2align	8
	.type	_ZN7rocprim17ROCPRIM_400000_NS6detail17trampoline_kernelINS0_14default_configENS1_22reduce_config_selectorIN6thrust23THRUST_200600_302600_NS5tupleIblNS6_9null_typeES8_S8_S8_S8_S8_S8_S8_EEEEZNS1_11reduce_implILb1ES3_NS6_12zip_iteratorINS7_INS6_11hip_rocprim26transform_input_iterator_tIbNSD_35transform_pair_of_input_iterators_tIbNS6_6detail15normal_iteratorINS6_10device_ptrIKdEEEESL_NS6_8equal_toIdEEEENSG_9not_fun_tINSD_8identityEEEEENSD_19counting_iterator_tIlEES8_S8_S8_S8_S8_S8_S8_S8_EEEEPS9_S9_NSD_9__find_if7functorIS9_EEEE10hipError_tPvRmT1_T2_T3_mT4_P12ihipStream_tbEUlT_E1_NS1_11comp_targetILNS1_3genE0ELNS1_11target_archE4294967295ELNS1_3gpuE0ELNS1_3repE0EEENS1_30default_config_static_selectorELNS0_4arch9wavefront6targetE1EEEvS14_,@function
_ZN7rocprim17ROCPRIM_400000_NS6detail17trampoline_kernelINS0_14default_configENS1_22reduce_config_selectorIN6thrust23THRUST_200600_302600_NS5tupleIblNS6_9null_typeES8_S8_S8_S8_S8_S8_S8_EEEEZNS1_11reduce_implILb1ES3_NS6_12zip_iteratorINS7_INS6_11hip_rocprim26transform_input_iterator_tIbNSD_35transform_pair_of_input_iterators_tIbNS6_6detail15normal_iteratorINS6_10device_ptrIKdEEEESL_NS6_8equal_toIdEEEENSG_9not_fun_tINSD_8identityEEEEENSD_19counting_iterator_tIlEES8_S8_S8_S8_S8_S8_S8_S8_EEEEPS9_S9_NSD_9__find_if7functorIS9_EEEE10hipError_tPvRmT1_T2_T3_mT4_P12ihipStream_tbEUlT_E1_NS1_11comp_targetILNS1_3genE0ELNS1_11target_archE4294967295ELNS1_3gpuE0ELNS1_3repE0EEENS1_30default_config_static_selectorELNS0_4arch9wavefront6targetE1EEEvS14_: ; @_ZN7rocprim17ROCPRIM_400000_NS6detail17trampoline_kernelINS0_14default_configENS1_22reduce_config_selectorIN6thrust23THRUST_200600_302600_NS5tupleIblNS6_9null_typeES8_S8_S8_S8_S8_S8_S8_EEEEZNS1_11reduce_implILb1ES3_NS6_12zip_iteratorINS7_INS6_11hip_rocprim26transform_input_iterator_tIbNSD_35transform_pair_of_input_iterators_tIbNS6_6detail15normal_iteratorINS6_10device_ptrIKdEEEESL_NS6_8equal_toIdEEEENSG_9not_fun_tINSD_8identityEEEEENSD_19counting_iterator_tIlEES8_S8_S8_S8_S8_S8_S8_S8_EEEEPS9_S9_NSD_9__find_if7functorIS9_EEEE10hipError_tPvRmT1_T2_T3_mT4_P12ihipStream_tbEUlT_E1_NS1_11comp_targetILNS1_3genE0ELNS1_11target_archE4294967295ELNS1_3gpuE0ELNS1_3repE0EEENS1_30default_config_static_selectorELNS0_4arch9wavefront6targetE1EEEvS14_
; %bb.0:
	.section	.rodata,"a",@progbits
	.p2align	6, 0x0
	.amdhsa_kernel _ZN7rocprim17ROCPRIM_400000_NS6detail17trampoline_kernelINS0_14default_configENS1_22reduce_config_selectorIN6thrust23THRUST_200600_302600_NS5tupleIblNS6_9null_typeES8_S8_S8_S8_S8_S8_S8_EEEEZNS1_11reduce_implILb1ES3_NS6_12zip_iteratorINS7_INS6_11hip_rocprim26transform_input_iterator_tIbNSD_35transform_pair_of_input_iterators_tIbNS6_6detail15normal_iteratorINS6_10device_ptrIKdEEEESL_NS6_8equal_toIdEEEENSG_9not_fun_tINSD_8identityEEEEENSD_19counting_iterator_tIlEES8_S8_S8_S8_S8_S8_S8_S8_EEEEPS9_S9_NSD_9__find_if7functorIS9_EEEE10hipError_tPvRmT1_T2_T3_mT4_P12ihipStream_tbEUlT_E1_NS1_11comp_targetILNS1_3genE0ELNS1_11target_archE4294967295ELNS1_3gpuE0ELNS1_3repE0EEENS1_30default_config_static_selectorELNS0_4arch9wavefront6targetE1EEEvS14_
		.amdhsa_group_segment_fixed_size 0
		.amdhsa_private_segment_fixed_size 0
		.amdhsa_kernarg_size 88
		.amdhsa_user_sgpr_count 6
		.amdhsa_user_sgpr_private_segment_buffer 1
		.amdhsa_user_sgpr_dispatch_ptr 0
		.amdhsa_user_sgpr_queue_ptr 0
		.amdhsa_user_sgpr_kernarg_segment_ptr 1
		.amdhsa_user_sgpr_dispatch_id 0
		.amdhsa_user_sgpr_flat_scratch_init 0
		.amdhsa_user_sgpr_kernarg_preload_length 0
		.amdhsa_user_sgpr_kernarg_preload_offset 0
		.amdhsa_user_sgpr_private_segment_size 0
		.amdhsa_uses_dynamic_stack 0
		.amdhsa_system_sgpr_private_segment_wavefront_offset 0
		.amdhsa_system_sgpr_workgroup_id_x 1
		.amdhsa_system_sgpr_workgroup_id_y 0
		.amdhsa_system_sgpr_workgroup_id_z 0
		.amdhsa_system_sgpr_workgroup_info 0
		.amdhsa_system_vgpr_workitem_id 0
		.amdhsa_next_free_vgpr 1
		.amdhsa_next_free_sgpr 0
		.amdhsa_accum_offset 4
		.amdhsa_reserve_vcc 0
		.amdhsa_reserve_flat_scratch 0
		.amdhsa_float_round_mode_32 0
		.amdhsa_float_round_mode_16_64 0
		.amdhsa_float_denorm_mode_32 3
		.amdhsa_float_denorm_mode_16_64 3
		.amdhsa_dx10_clamp 1
		.amdhsa_ieee_mode 1
		.amdhsa_fp16_overflow 0
		.amdhsa_tg_split 0
		.amdhsa_exception_fp_ieee_invalid_op 0
		.amdhsa_exception_fp_denorm_src 0
		.amdhsa_exception_fp_ieee_div_zero 0
		.amdhsa_exception_fp_ieee_overflow 0
		.amdhsa_exception_fp_ieee_underflow 0
		.amdhsa_exception_fp_ieee_inexact 0
		.amdhsa_exception_int_div_zero 0
	.end_amdhsa_kernel
	.section	.text._ZN7rocprim17ROCPRIM_400000_NS6detail17trampoline_kernelINS0_14default_configENS1_22reduce_config_selectorIN6thrust23THRUST_200600_302600_NS5tupleIblNS6_9null_typeES8_S8_S8_S8_S8_S8_S8_EEEEZNS1_11reduce_implILb1ES3_NS6_12zip_iteratorINS7_INS6_11hip_rocprim26transform_input_iterator_tIbNSD_35transform_pair_of_input_iterators_tIbNS6_6detail15normal_iteratorINS6_10device_ptrIKdEEEESL_NS6_8equal_toIdEEEENSG_9not_fun_tINSD_8identityEEEEENSD_19counting_iterator_tIlEES8_S8_S8_S8_S8_S8_S8_S8_EEEEPS9_S9_NSD_9__find_if7functorIS9_EEEE10hipError_tPvRmT1_T2_T3_mT4_P12ihipStream_tbEUlT_E1_NS1_11comp_targetILNS1_3genE0ELNS1_11target_archE4294967295ELNS1_3gpuE0ELNS1_3repE0EEENS1_30default_config_static_selectorELNS0_4arch9wavefront6targetE1EEEvS14_,"axG",@progbits,_ZN7rocprim17ROCPRIM_400000_NS6detail17trampoline_kernelINS0_14default_configENS1_22reduce_config_selectorIN6thrust23THRUST_200600_302600_NS5tupleIblNS6_9null_typeES8_S8_S8_S8_S8_S8_S8_EEEEZNS1_11reduce_implILb1ES3_NS6_12zip_iteratorINS7_INS6_11hip_rocprim26transform_input_iterator_tIbNSD_35transform_pair_of_input_iterators_tIbNS6_6detail15normal_iteratorINS6_10device_ptrIKdEEEESL_NS6_8equal_toIdEEEENSG_9not_fun_tINSD_8identityEEEEENSD_19counting_iterator_tIlEES8_S8_S8_S8_S8_S8_S8_S8_EEEEPS9_S9_NSD_9__find_if7functorIS9_EEEE10hipError_tPvRmT1_T2_T3_mT4_P12ihipStream_tbEUlT_E1_NS1_11comp_targetILNS1_3genE0ELNS1_11target_archE4294967295ELNS1_3gpuE0ELNS1_3repE0EEENS1_30default_config_static_selectorELNS0_4arch9wavefront6targetE1EEEvS14_,comdat
.Lfunc_end46:
	.size	_ZN7rocprim17ROCPRIM_400000_NS6detail17trampoline_kernelINS0_14default_configENS1_22reduce_config_selectorIN6thrust23THRUST_200600_302600_NS5tupleIblNS6_9null_typeES8_S8_S8_S8_S8_S8_S8_EEEEZNS1_11reduce_implILb1ES3_NS6_12zip_iteratorINS7_INS6_11hip_rocprim26transform_input_iterator_tIbNSD_35transform_pair_of_input_iterators_tIbNS6_6detail15normal_iteratorINS6_10device_ptrIKdEEEESL_NS6_8equal_toIdEEEENSG_9not_fun_tINSD_8identityEEEEENSD_19counting_iterator_tIlEES8_S8_S8_S8_S8_S8_S8_S8_EEEEPS9_S9_NSD_9__find_if7functorIS9_EEEE10hipError_tPvRmT1_T2_T3_mT4_P12ihipStream_tbEUlT_E1_NS1_11comp_targetILNS1_3genE0ELNS1_11target_archE4294967295ELNS1_3gpuE0ELNS1_3repE0EEENS1_30default_config_static_selectorELNS0_4arch9wavefront6targetE1EEEvS14_, .Lfunc_end46-_ZN7rocprim17ROCPRIM_400000_NS6detail17trampoline_kernelINS0_14default_configENS1_22reduce_config_selectorIN6thrust23THRUST_200600_302600_NS5tupleIblNS6_9null_typeES8_S8_S8_S8_S8_S8_S8_EEEEZNS1_11reduce_implILb1ES3_NS6_12zip_iteratorINS7_INS6_11hip_rocprim26transform_input_iterator_tIbNSD_35transform_pair_of_input_iterators_tIbNS6_6detail15normal_iteratorINS6_10device_ptrIKdEEEESL_NS6_8equal_toIdEEEENSG_9not_fun_tINSD_8identityEEEEENSD_19counting_iterator_tIlEES8_S8_S8_S8_S8_S8_S8_S8_EEEEPS9_S9_NSD_9__find_if7functorIS9_EEEE10hipError_tPvRmT1_T2_T3_mT4_P12ihipStream_tbEUlT_E1_NS1_11comp_targetILNS1_3genE0ELNS1_11target_archE4294967295ELNS1_3gpuE0ELNS1_3repE0EEENS1_30default_config_static_selectorELNS0_4arch9wavefront6targetE1EEEvS14_
                                        ; -- End function
	.section	.AMDGPU.csdata,"",@progbits
; Kernel info:
; codeLenInByte = 0
; NumSgprs: 4
; NumVgprs: 0
; NumAgprs: 0
; TotalNumVgprs: 0
; ScratchSize: 0
; MemoryBound: 0
; FloatMode: 240
; IeeeMode: 1
; LDSByteSize: 0 bytes/workgroup (compile time only)
; SGPRBlocks: 0
; VGPRBlocks: 0
; NumSGPRsForWavesPerEU: 4
; NumVGPRsForWavesPerEU: 1
; AccumOffset: 4
; Occupancy: 8
; WaveLimiterHint : 0
; COMPUTE_PGM_RSRC2:SCRATCH_EN: 0
; COMPUTE_PGM_RSRC2:USER_SGPR: 6
; COMPUTE_PGM_RSRC2:TRAP_HANDLER: 0
; COMPUTE_PGM_RSRC2:TGID_X_EN: 1
; COMPUTE_PGM_RSRC2:TGID_Y_EN: 0
; COMPUTE_PGM_RSRC2:TGID_Z_EN: 0
; COMPUTE_PGM_RSRC2:TIDIG_COMP_CNT: 0
; COMPUTE_PGM_RSRC3_GFX90A:ACCUM_OFFSET: 0
; COMPUTE_PGM_RSRC3_GFX90A:TG_SPLIT: 0
	.section	.text._ZN7rocprim17ROCPRIM_400000_NS6detail17trampoline_kernelINS0_14default_configENS1_22reduce_config_selectorIN6thrust23THRUST_200600_302600_NS5tupleIblNS6_9null_typeES8_S8_S8_S8_S8_S8_S8_EEEEZNS1_11reduce_implILb1ES3_NS6_12zip_iteratorINS7_INS6_11hip_rocprim26transform_input_iterator_tIbNSD_35transform_pair_of_input_iterators_tIbNS6_6detail15normal_iteratorINS6_10device_ptrIKdEEEESL_NS6_8equal_toIdEEEENSG_9not_fun_tINSD_8identityEEEEENSD_19counting_iterator_tIlEES8_S8_S8_S8_S8_S8_S8_S8_EEEEPS9_S9_NSD_9__find_if7functorIS9_EEEE10hipError_tPvRmT1_T2_T3_mT4_P12ihipStream_tbEUlT_E1_NS1_11comp_targetILNS1_3genE5ELNS1_11target_archE942ELNS1_3gpuE9ELNS1_3repE0EEENS1_30default_config_static_selectorELNS0_4arch9wavefront6targetE1EEEvS14_,"axG",@progbits,_ZN7rocprim17ROCPRIM_400000_NS6detail17trampoline_kernelINS0_14default_configENS1_22reduce_config_selectorIN6thrust23THRUST_200600_302600_NS5tupleIblNS6_9null_typeES8_S8_S8_S8_S8_S8_S8_EEEEZNS1_11reduce_implILb1ES3_NS6_12zip_iteratorINS7_INS6_11hip_rocprim26transform_input_iterator_tIbNSD_35transform_pair_of_input_iterators_tIbNS6_6detail15normal_iteratorINS6_10device_ptrIKdEEEESL_NS6_8equal_toIdEEEENSG_9not_fun_tINSD_8identityEEEEENSD_19counting_iterator_tIlEES8_S8_S8_S8_S8_S8_S8_S8_EEEEPS9_S9_NSD_9__find_if7functorIS9_EEEE10hipError_tPvRmT1_T2_T3_mT4_P12ihipStream_tbEUlT_E1_NS1_11comp_targetILNS1_3genE5ELNS1_11target_archE942ELNS1_3gpuE9ELNS1_3repE0EEENS1_30default_config_static_selectorELNS0_4arch9wavefront6targetE1EEEvS14_,comdat
	.protected	_ZN7rocprim17ROCPRIM_400000_NS6detail17trampoline_kernelINS0_14default_configENS1_22reduce_config_selectorIN6thrust23THRUST_200600_302600_NS5tupleIblNS6_9null_typeES8_S8_S8_S8_S8_S8_S8_EEEEZNS1_11reduce_implILb1ES3_NS6_12zip_iteratorINS7_INS6_11hip_rocprim26transform_input_iterator_tIbNSD_35transform_pair_of_input_iterators_tIbNS6_6detail15normal_iteratorINS6_10device_ptrIKdEEEESL_NS6_8equal_toIdEEEENSG_9not_fun_tINSD_8identityEEEEENSD_19counting_iterator_tIlEES8_S8_S8_S8_S8_S8_S8_S8_EEEEPS9_S9_NSD_9__find_if7functorIS9_EEEE10hipError_tPvRmT1_T2_T3_mT4_P12ihipStream_tbEUlT_E1_NS1_11comp_targetILNS1_3genE5ELNS1_11target_archE942ELNS1_3gpuE9ELNS1_3repE0EEENS1_30default_config_static_selectorELNS0_4arch9wavefront6targetE1EEEvS14_ ; -- Begin function _ZN7rocprim17ROCPRIM_400000_NS6detail17trampoline_kernelINS0_14default_configENS1_22reduce_config_selectorIN6thrust23THRUST_200600_302600_NS5tupleIblNS6_9null_typeES8_S8_S8_S8_S8_S8_S8_EEEEZNS1_11reduce_implILb1ES3_NS6_12zip_iteratorINS7_INS6_11hip_rocprim26transform_input_iterator_tIbNSD_35transform_pair_of_input_iterators_tIbNS6_6detail15normal_iteratorINS6_10device_ptrIKdEEEESL_NS6_8equal_toIdEEEENSG_9not_fun_tINSD_8identityEEEEENSD_19counting_iterator_tIlEES8_S8_S8_S8_S8_S8_S8_S8_EEEEPS9_S9_NSD_9__find_if7functorIS9_EEEE10hipError_tPvRmT1_T2_T3_mT4_P12ihipStream_tbEUlT_E1_NS1_11comp_targetILNS1_3genE5ELNS1_11target_archE942ELNS1_3gpuE9ELNS1_3repE0EEENS1_30default_config_static_selectorELNS0_4arch9wavefront6targetE1EEEvS14_
	.globl	_ZN7rocprim17ROCPRIM_400000_NS6detail17trampoline_kernelINS0_14default_configENS1_22reduce_config_selectorIN6thrust23THRUST_200600_302600_NS5tupleIblNS6_9null_typeES8_S8_S8_S8_S8_S8_S8_EEEEZNS1_11reduce_implILb1ES3_NS6_12zip_iteratorINS7_INS6_11hip_rocprim26transform_input_iterator_tIbNSD_35transform_pair_of_input_iterators_tIbNS6_6detail15normal_iteratorINS6_10device_ptrIKdEEEESL_NS6_8equal_toIdEEEENSG_9not_fun_tINSD_8identityEEEEENSD_19counting_iterator_tIlEES8_S8_S8_S8_S8_S8_S8_S8_EEEEPS9_S9_NSD_9__find_if7functorIS9_EEEE10hipError_tPvRmT1_T2_T3_mT4_P12ihipStream_tbEUlT_E1_NS1_11comp_targetILNS1_3genE5ELNS1_11target_archE942ELNS1_3gpuE9ELNS1_3repE0EEENS1_30default_config_static_selectorELNS0_4arch9wavefront6targetE1EEEvS14_
	.p2align	8
	.type	_ZN7rocprim17ROCPRIM_400000_NS6detail17trampoline_kernelINS0_14default_configENS1_22reduce_config_selectorIN6thrust23THRUST_200600_302600_NS5tupleIblNS6_9null_typeES8_S8_S8_S8_S8_S8_S8_EEEEZNS1_11reduce_implILb1ES3_NS6_12zip_iteratorINS7_INS6_11hip_rocprim26transform_input_iterator_tIbNSD_35transform_pair_of_input_iterators_tIbNS6_6detail15normal_iteratorINS6_10device_ptrIKdEEEESL_NS6_8equal_toIdEEEENSG_9not_fun_tINSD_8identityEEEEENSD_19counting_iterator_tIlEES8_S8_S8_S8_S8_S8_S8_S8_EEEEPS9_S9_NSD_9__find_if7functorIS9_EEEE10hipError_tPvRmT1_T2_T3_mT4_P12ihipStream_tbEUlT_E1_NS1_11comp_targetILNS1_3genE5ELNS1_11target_archE942ELNS1_3gpuE9ELNS1_3repE0EEENS1_30default_config_static_selectorELNS0_4arch9wavefront6targetE1EEEvS14_,@function
_ZN7rocprim17ROCPRIM_400000_NS6detail17trampoline_kernelINS0_14default_configENS1_22reduce_config_selectorIN6thrust23THRUST_200600_302600_NS5tupleIblNS6_9null_typeES8_S8_S8_S8_S8_S8_S8_EEEEZNS1_11reduce_implILb1ES3_NS6_12zip_iteratorINS7_INS6_11hip_rocprim26transform_input_iterator_tIbNSD_35transform_pair_of_input_iterators_tIbNS6_6detail15normal_iteratorINS6_10device_ptrIKdEEEESL_NS6_8equal_toIdEEEENSG_9not_fun_tINSD_8identityEEEEENSD_19counting_iterator_tIlEES8_S8_S8_S8_S8_S8_S8_S8_EEEEPS9_S9_NSD_9__find_if7functorIS9_EEEE10hipError_tPvRmT1_T2_T3_mT4_P12ihipStream_tbEUlT_E1_NS1_11comp_targetILNS1_3genE5ELNS1_11target_archE942ELNS1_3gpuE9ELNS1_3repE0EEENS1_30default_config_static_selectorELNS0_4arch9wavefront6targetE1EEEvS14_: ; @_ZN7rocprim17ROCPRIM_400000_NS6detail17trampoline_kernelINS0_14default_configENS1_22reduce_config_selectorIN6thrust23THRUST_200600_302600_NS5tupleIblNS6_9null_typeES8_S8_S8_S8_S8_S8_S8_EEEEZNS1_11reduce_implILb1ES3_NS6_12zip_iteratorINS7_INS6_11hip_rocprim26transform_input_iterator_tIbNSD_35transform_pair_of_input_iterators_tIbNS6_6detail15normal_iteratorINS6_10device_ptrIKdEEEESL_NS6_8equal_toIdEEEENSG_9not_fun_tINSD_8identityEEEEENSD_19counting_iterator_tIlEES8_S8_S8_S8_S8_S8_S8_S8_EEEEPS9_S9_NSD_9__find_if7functorIS9_EEEE10hipError_tPvRmT1_T2_T3_mT4_P12ihipStream_tbEUlT_E1_NS1_11comp_targetILNS1_3genE5ELNS1_11target_archE942ELNS1_3gpuE9ELNS1_3repE0EEENS1_30default_config_static_selectorELNS0_4arch9wavefront6targetE1EEEvS14_
; %bb.0:
	.section	.rodata,"a",@progbits
	.p2align	6, 0x0
	.amdhsa_kernel _ZN7rocprim17ROCPRIM_400000_NS6detail17trampoline_kernelINS0_14default_configENS1_22reduce_config_selectorIN6thrust23THRUST_200600_302600_NS5tupleIblNS6_9null_typeES8_S8_S8_S8_S8_S8_S8_EEEEZNS1_11reduce_implILb1ES3_NS6_12zip_iteratorINS7_INS6_11hip_rocprim26transform_input_iterator_tIbNSD_35transform_pair_of_input_iterators_tIbNS6_6detail15normal_iteratorINS6_10device_ptrIKdEEEESL_NS6_8equal_toIdEEEENSG_9not_fun_tINSD_8identityEEEEENSD_19counting_iterator_tIlEES8_S8_S8_S8_S8_S8_S8_S8_EEEEPS9_S9_NSD_9__find_if7functorIS9_EEEE10hipError_tPvRmT1_T2_T3_mT4_P12ihipStream_tbEUlT_E1_NS1_11comp_targetILNS1_3genE5ELNS1_11target_archE942ELNS1_3gpuE9ELNS1_3repE0EEENS1_30default_config_static_selectorELNS0_4arch9wavefront6targetE1EEEvS14_
		.amdhsa_group_segment_fixed_size 0
		.amdhsa_private_segment_fixed_size 0
		.amdhsa_kernarg_size 88
		.amdhsa_user_sgpr_count 6
		.amdhsa_user_sgpr_private_segment_buffer 1
		.amdhsa_user_sgpr_dispatch_ptr 0
		.amdhsa_user_sgpr_queue_ptr 0
		.amdhsa_user_sgpr_kernarg_segment_ptr 1
		.amdhsa_user_sgpr_dispatch_id 0
		.amdhsa_user_sgpr_flat_scratch_init 0
		.amdhsa_user_sgpr_kernarg_preload_length 0
		.amdhsa_user_sgpr_kernarg_preload_offset 0
		.amdhsa_user_sgpr_private_segment_size 0
		.amdhsa_uses_dynamic_stack 0
		.amdhsa_system_sgpr_private_segment_wavefront_offset 0
		.amdhsa_system_sgpr_workgroup_id_x 1
		.amdhsa_system_sgpr_workgroup_id_y 0
		.amdhsa_system_sgpr_workgroup_id_z 0
		.amdhsa_system_sgpr_workgroup_info 0
		.amdhsa_system_vgpr_workitem_id 0
		.amdhsa_next_free_vgpr 1
		.amdhsa_next_free_sgpr 0
		.amdhsa_accum_offset 4
		.amdhsa_reserve_vcc 0
		.amdhsa_reserve_flat_scratch 0
		.amdhsa_float_round_mode_32 0
		.amdhsa_float_round_mode_16_64 0
		.amdhsa_float_denorm_mode_32 3
		.amdhsa_float_denorm_mode_16_64 3
		.amdhsa_dx10_clamp 1
		.amdhsa_ieee_mode 1
		.amdhsa_fp16_overflow 0
		.amdhsa_tg_split 0
		.amdhsa_exception_fp_ieee_invalid_op 0
		.amdhsa_exception_fp_denorm_src 0
		.amdhsa_exception_fp_ieee_div_zero 0
		.amdhsa_exception_fp_ieee_overflow 0
		.amdhsa_exception_fp_ieee_underflow 0
		.amdhsa_exception_fp_ieee_inexact 0
		.amdhsa_exception_int_div_zero 0
	.end_amdhsa_kernel
	.section	.text._ZN7rocprim17ROCPRIM_400000_NS6detail17trampoline_kernelINS0_14default_configENS1_22reduce_config_selectorIN6thrust23THRUST_200600_302600_NS5tupleIblNS6_9null_typeES8_S8_S8_S8_S8_S8_S8_EEEEZNS1_11reduce_implILb1ES3_NS6_12zip_iteratorINS7_INS6_11hip_rocprim26transform_input_iterator_tIbNSD_35transform_pair_of_input_iterators_tIbNS6_6detail15normal_iteratorINS6_10device_ptrIKdEEEESL_NS6_8equal_toIdEEEENSG_9not_fun_tINSD_8identityEEEEENSD_19counting_iterator_tIlEES8_S8_S8_S8_S8_S8_S8_S8_EEEEPS9_S9_NSD_9__find_if7functorIS9_EEEE10hipError_tPvRmT1_T2_T3_mT4_P12ihipStream_tbEUlT_E1_NS1_11comp_targetILNS1_3genE5ELNS1_11target_archE942ELNS1_3gpuE9ELNS1_3repE0EEENS1_30default_config_static_selectorELNS0_4arch9wavefront6targetE1EEEvS14_,"axG",@progbits,_ZN7rocprim17ROCPRIM_400000_NS6detail17trampoline_kernelINS0_14default_configENS1_22reduce_config_selectorIN6thrust23THRUST_200600_302600_NS5tupleIblNS6_9null_typeES8_S8_S8_S8_S8_S8_S8_EEEEZNS1_11reduce_implILb1ES3_NS6_12zip_iteratorINS7_INS6_11hip_rocprim26transform_input_iterator_tIbNSD_35transform_pair_of_input_iterators_tIbNS6_6detail15normal_iteratorINS6_10device_ptrIKdEEEESL_NS6_8equal_toIdEEEENSG_9not_fun_tINSD_8identityEEEEENSD_19counting_iterator_tIlEES8_S8_S8_S8_S8_S8_S8_S8_EEEEPS9_S9_NSD_9__find_if7functorIS9_EEEE10hipError_tPvRmT1_T2_T3_mT4_P12ihipStream_tbEUlT_E1_NS1_11comp_targetILNS1_3genE5ELNS1_11target_archE942ELNS1_3gpuE9ELNS1_3repE0EEENS1_30default_config_static_selectorELNS0_4arch9wavefront6targetE1EEEvS14_,comdat
.Lfunc_end47:
	.size	_ZN7rocprim17ROCPRIM_400000_NS6detail17trampoline_kernelINS0_14default_configENS1_22reduce_config_selectorIN6thrust23THRUST_200600_302600_NS5tupleIblNS6_9null_typeES8_S8_S8_S8_S8_S8_S8_EEEEZNS1_11reduce_implILb1ES3_NS6_12zip_iteratorINS7_INS6_11hip_rocprim26transform_input_iterator_tIbNSD_35transform_pair_of_input_iterators_tIbNS6_6detail15normal_iteratorINS6_10device_ptrIKdEEEESL_NS6_8equal_toIdEEEENSG_9not_fun_tINSD_8identityEEEEENSD_19counting_iterator_tIlEES8_S8_S8_S8_S8_S8_S8_S8_EEEEPS9_S9_NSD_9__find_if7functorIS9_EEEE10hipError_tPvRmT1_T2_T3_mT4_P12ihipStream_tbEUlT_E1_NS1_11comp_targetILNS1_3genE5ELNS1_11target_archE942ELNS1_3gpuE9ELNS1_3repE0EEENS1_30default_config_static_selectorELNS0_4arch9wavefront6targetE1EEEvS14_, .Lfunc_end47-_ZN7rocprim17ROCPRIM_400000_NS6detail17trampoline_kernelINS0_14default_configENS1_22reduce_config_selectorIN6thrust23THRUST_200600_302600_NS5tupleIblNS6_9null_typeES8_S8_S8_S8_S8_S8_S8_EEEEZNS1_11reduce_implILb1ES3_NS6_12zip_iteratorINS7_INS6_11hip_rocprim26transform_input_iterator_tIbNSD_35transform_pair_of_input_iterators_tIbNS6_6detail15normal_iteratorINS6_10device_ptrIKdEEEESL_NS6_8equal_toIdEEEENSG_9not_fun_tINSD_8identityEEEEENSD_19counting_iterator_tIlEES8_S8_S8_S8_S8_S8_S8_S8_EEEEPS9_S9_NSD_9__find_if7functorIS9_EEEE10hipError_tPvRmT1_T2_T3_mT4_P12ihipStream_tbEUlT_E1_NS1_11comp_targetILNS1_3genE5ELNS1_11target_archE942ELNS1_3gpuE9ELNS1_3repE0EEENS1_30default_config_static_selectorELNS0_4arch9wavefront6targetE1EEEvS14_
                                        ; -- End function
	.section	.AMDGPU.csdata,"",@progbits
; Kernel info:
; codeLenInByte = 0
; NumSgprs: 4
; NumVgprs: 0
; NumAgprs: 0
; TotalNumVgprs: 0
; ScratchSize: 0
; MemoryBound: 0
; FloatMode: 240
; IeeeMode: 1
; LDSByteSize: 0 bytes/workgroup (compile time only)
; SGPRBlocks: 0
; VGPRBlocks: 0
; NumSGPRsForWavesPerEU: 4
; NumVGPRsForWavesPerEU: 1
; AccumOffset: 4
; Occupancy: 8
; WaveLimiterHint : 0
; COMPUTE_PGM_RSRC2:SCRATCH_EN: 0
; COMPUTE_PGM_RSRC2:USER_SGPR: 6
; COMPUTE_PGM_RSRC2:TRAP_HANDLER: 0
; COMPUTE_PGM_RSRC2:TGID_X_EN: 1
; COMPUTE_PGM_RSRC2:TGID_Y_EN: 0
; COMPUTE_PGM_RSRC2:TGID_Z_EN: 0
; COMPUTE_PGM_RSRC2:TIDIG_COMP_CNT: 0
; COMPUTE_PGM_RSRC3_GFX90A:ACCUM_OFFSET: 0
; COMPUTE_PGM_RSRC3_GFX90A:TG_SPLIT: 0
	.section	.text._ZN7rocprim17ROCPRIM_400000_NS6detail17trampoline_kernelINS0_14default_configENS1_22reduce_config_selectorIN6thrust23THRUST_200600_302600_NS5tupleIblNS6_9null_typeES8_S8_S8_S8_S8_S8_S8_EEEEZNS1_11reduce_implILb1ES3_NS6_12zip_iteratorINS7_INS6_11hip_rocprim26transform_input_iterator_tIbNSD_35transform_pair_of_input_iterators_tIbNS6_6detail15normal_iteratorINS6_10device_ptrIKdEEEESL_NS6_8equal_toIdEEEENSG_9not_fun_tINSD_8identityEEEEENSD_19counting_iterator_tIlEES8_S8_S8_S8_S8_S8_S8_S8_EEEEPS9_S9_NSD_9__find_if7functorIS9_EEEE10hipError_tPvRmT1_T2_T3_mT4_P12ihipStream_tbEUlT_E1_NS1_11comp_targetILNS1_3genE4ELNS1_11target_archE910ELNS1_3gpuE8ELNS1_3repE0EEENS1_30default_config_static_selectorELNS0_4arch9wavefront6targetE1EEEvS14_,"axG",@progbits,_ZN7rocprim17ROCPRIM_400000_NS6detail17trampoline_kernelINS0_14default_configENS1_22reduce_config_selectorIN6thrust23THRUST_200600_302600_NS5tupleIblNS6_9null_typeES8_S8_S8_S8_S8_S8_S8_EEEEZNS1_11reduce_implILb1ES3_NS6_12zip_iteratorINS7_INS6_11hip_rocprim26transform_input_iterator_tIbNSD_35transform_pair_of_input_iterators_tIbNS6_6detail15normal_iteratorINS6_10device_ptrIKdEEEESL_NS6_8equal_toIdEEEENSG_9not_fun_tINSD_8identityEEEEENSD_19counting_iterator_tIlEES8_S8_S8_S8_S8_S8_S8_S8_EEEEPS9_S9_NSD_9__find_if7functorIS9_EEEE10hipError_tPvRmT1_T2_T3_mT4_P12ihipStream_tbEUlT_E1_NS1_11comp_targetILNS1_3genE4ELNS1_11target_archE910ELNS1_3gpuE8ELNS1_3repE0EEENS1_30default_config_static_selectorELNS0_4arch9wavefront6targetE1EEEvS14_,comdat
	.protected	_ZN7rocprim17ROCPRIM_400000_NS6detail17trampoline_kernelINS0_14default_configENS1_22reduce_config_selectorIN6thrust23THRUST_200600_302600_NS5tupleIblNS6_9null_typeES8_S8_S8_S8_S8_S8_S8_EEEEZNS1_11reduce_implILb1ES3_NS6_12zip_iteratorINS7_INS6_11hip_rocprim26transform_input_iterator_tIbNSD_35transform_pair_of_input_iterators_tIbNS6_6detail15normal_iteratorINS6_10device_ptrIKdEEEESL_NS6_8equal_toIdEEEENSG_9not_fun_tINSD_8identityEEEEENSD_19counting_iterator_tIlEES8_S8_S8_S8_S8_S8_S8_S8_EEEEPS9_S9_NSD_9__find_if7functorIS9_EEEE10hipError_tPvRmT1_T2_T3_mT4_P12ihipStream_tbEUlT_E1_NS1_11comp_targetILNS1_3genE4ELNS1_11target_archE910ELNS1_3gpuE8ELNS1_3repE0EEENS1_30default_config_static_selectorELNS0_4arch9wavefront6targetE1EEEvS14_ ; -- Begin function _ZN7rocprim17ROCPRIM_400000_NS6detail17trampoline_kernelINS0_14default_configENS1_22reduce_config_selectorIN6thrust23THRUST_200600_302600_NS5tupleIblNS6_9null_typeES8_S8_S8_S8_S8_S8_S8_EEEEZNS1_11reduce_implILb1ES3_NS6_12zip_iteratorINS7_INS6_11hip_rocprim26transform_input_iterator_tIbNSD_35transform_pair_of_input_iterators_tIbNS6_6detail15normal_iteratorINS6_10device_ptrIKdEEEESL_NS6_8equal_toIdEEEENSG_9not_fun_tINSD_8identityEEEEENSD_19counting_iterator_tIlEES8_S8_S8_S8_S8_S8_S8_S8_EEEEPS9_S9_NSD_9__find_if7functorIS9_EEEE10hipError_tPvRmT1_T2_T3_mT4_P12ihipStream_tbEUlT_E1_NS1_11comp_targetILNS1_3genE4ELNS1_11target_archE910ELNS1_3gpuE8ELNS1_3repE0EEENS1_30default_config_static_selectorELNS0_4arch9wavefront6targetE1EEEvS14_
	.globl	_ZN7rocprim17ROCPRIM_400000_NS6detail17trampoline_kernelINS0_14default_configENS1_22reduce_config_selectorIN6thrust23THRUST_200600_302600_NS5tupleIblNS6_9null_typeES8_S8_S8_S8_S8_S8_S8_EEEEZNS1_11reduce_implILb1ES3_NS6_12zip_iteratorINS7_INS6_11hip_rocprim26transform_input_iterator_tIbNSD_35transform_pair_of_input_iterators_tIbNS6_6detail15normal_iteratorINS6_10device_ptrIKdEEEESL_NS6_8equal_toIdEEEENSG_9not_fun_tINSD_8identityEEEEENSD_19counting_iterator_tIlEES8_S8_S8_S8_S8_S8_S8_S8_EEEEPS9_S9_NSD_9__find_if7functorIS9_EEEE10hipError_tPvRmT1_T2_T3_mT4_P12ihipStream_tbEUlT_E1_NS1_11comp_targetILNS1_3genE4ELNS1_11target_archE910ELNS1_3gpuE8ELNS1_3repE0EEENS1_30default_config_static_selectorELNS0_4arch9wavefront6targetE1EEEvS14_
	.p2align	8
	.type	_ZN7rocprim17ROCPRIM_400000_NS6detail17trampoline_kernelINS0_14default_configENS1_22reduce_config_selectorIN6thrust23THRUST_200600_302600_NS5tupleIblNS6_9null_typeES8_S8_S8_S8_S8_S8_S8_EEEEZNS1_11reduce_implILb1ES3_NS6_12zip_iteratorINS7_INS6_11hip_rocprim26transform_input_iterator_tIbNSD_35transform_pair_of_input_iterators_tIbNS6_6detail15normal_iteratorINS6_10device_ptrIKdEEEESL_NS6_8equal_toIdEEEENSG_9not_fun_tINSD_8identityEEEEENSD_19counting_iterator_tIlEES8_S8_S8_S8_S8_S8_S8_S8_EEEEPS9_S9_NSD_9__find_if7functorIS9_EEEE10hipError_tPvRmT1_T2_T3_mT4_P12ihipStream_tbEUlT_E1_NS1_11comp_targetILNS1_3genE4ELNS1_11target_archE910ELNS1_3gpuE8ELNS1_3repE0EEENS1_30default_config_static_selectorELNS0_4arch9wavefront6targetE1EEEvS14_,@function
_ZN7rocprim17ROCPRIM_400000_NS6detail17trampoline_kernelINS0_14default_configENS1_22reduce_config_selectorIN6thrust23THRUST_200600_302600_NS5tupleIblNS6_9null_typeES8_S8_S8_S8_S8_S8_S8_EEEEZNS1_11reduce_implILb1ES3_NS6_12zip_iteratorINS7_INS6_11hip_rocprim26transform_input_iterator_tIbNSD_35transform_pair_of_input_iterators_tIbNS6_6detail15normal_iteratorINS6_10device_ptrIKdEEEESL_NS6_8equal_toIdEEEENSG_9not_fun_tINSD_8identityEEEEENSD_19counting_iterator_tIlEES8_S8_S8_S8_S8_S8_S8_S8_EEEEPS9_S9_NSD_9__find_if7functorIS9_EEEE10hipError_tPvRmT1_T2_T3_mT4_P12ihipStream_tbEUlT_E1_NS1_11comp_targetILNS1_3genE4ELNS1_11target_archE910ELNS1_3gpuE8ELNS1_3repE0EEENS1_30default_config_static_selectorELNS0_4arch9wavefront6targetE1EEEvS14_: ; @_ZN7rocprim17ROCPRIM_400000_NS6detail17trampoline_kernelINS0_14default_configENS1_22reduce_config_selectorIN6thrust23THRUST_200600_302600_NS5tupleIblNS6_9null_typeES8_S8_S8_S8_S8_S8_S8_EEEEZNS1_11reduce_implILb1ES3_NS6_12zip_iteratorINS7_INS6_11hip_rocprim26transform_input_iterator_tIbNSD_35transform_pair_of_input_iterators_tIbNS6_6detail15normal_iteratorINS6_10device_ptrIKdEEEESL_NS6_8equal_toIdEEEENSG_9not_fun_tINSD_8identityEEEEENSD_19counting_iterator_tIlEES8_S8_S8_S8_S8_S8_S8_S8_EEEEPS9_S9_NSD_9__find_if7functorIS9_EEEE10hipError_tPvRmT1_T2_T3_mT4_P12ihipStream_tbEUlT_E1_NS1_11comp_targetILNS1_3genE4ELNS1_11target_archE910ELNS1_3gpuE8ELNS1_3repE0EEENS1_30default_config_static_selectorELNS0_4arch9wavefront6targetE1EEEvS14_
; %bb.0:
	s_load_dword s36, s[4:5], 0x4
	s_load_dwordx4 s[24:27], s[4:5], 0x8
	s_load_dwordx4 s[20:23], s[4:5], 0x28
	s_load_dword s33, s[4:5], 0x40
	s_load_dwordx2 s[18:19], s[4:5], 0x48
	s_waitcnt lgkmcnt(0)
	s_cmp_lt_i32 s36, 4
	s_cbranch_scc1 .LBB48_21
; %bb.1:
	s_cmp_gt_i32 s36, 7
	s_cbranch_scc0 .LBB48_22
; %bb.2:
	s_cmp_eq_u32 s36, 8
	s_mov_b64 s[28:29], 0
	s_cbranch_scc0 .LBB48_23
; %bb.3:
	s_mov_b32 s7, 0
	s_lshl_b32 s14, s6, 11
	s_mov_b32 s15, s7
	s_lshr_b64 s[0:1], s[22:23], 11
	s_lshl_b64 s[2:3], s[14:15], 3
	s_add_u32 s16, s24, s2
	s_addc_u32 s17, s25, s3
	s_add_u32 s30, s26, s2
	s_addc_u32 s31, s27, s3
	;; [unrolled: 2-line block ×3, first 2 shown]
	s_cmp_lg_u64 s[0:1], s[6:7]
	s_cbranch_scc0 .LBB48_44
; %bb.4:
	v_lshlrev_b32_e32 v1, 3, v0
	v_mov_b32_e32 v2, s17
	v_add_co_u32_e32 v28, vcc, s16, v1
	v_addc_co_u32_e32 v29, vcc, 0, v2, vcc
	v_mov_b32_e32 v2, s31
	v_add_co_u32_e32 v30, vcc, s30, v1
	v_addc_co_u32_e32 v31, vcc, 0, v2, vcc
	s_movk_i32 s0, 0x1000
	v_add_co_u32_e32 v10, vcc, s0, v28
	v_addc_co_u32_e32 v11, vcc, 0, v29, vcc
	s_movk_i32 s1, 0x2000
	v_add_co_u32_e32 v12, vcc, s1, v28
	v_addc_co_u32_e32 v13, vcc, 0, v29, vcc
	v_add_co_u32_e32 v14, vcc, s0, v30
	v_addc_co_u32_e32 v15, vcc, 0, v31, vcc
	v_add_co_u32_e32 v16, vcc, s1, v30
	global_load_dwordx2 v[2:3], v1, s[16:17]
	global_load_dwordx2 v[4:5], v1, s[30:31] offset:2048
	global_load_dwordx2 v[6:7], v1, s[30:31]
	global_load_dwordx2 v[8:9], v1, s[16:17] offset:2048
	v_addc_co_u32_e32 v17, vcc, 0, v31, vcc
	s_movk_i32 s0, 0x3000
	global_load_dwordx2 v[18:19], v[10:11], off offset:2048
	global_load_dwordx2 v[20:21], v[12:13], off offset:-4096
	global_load_dwordx2 v[22:23], v[12:13], off
	global_load_dwordx2 v[24:25], v[16:17], off offset:-4096
	global_load_dwordx2 v[26:27], v[16:17], off
	v_add_co_u32_e32 v10, vcc, s0, v28
	v_addc_co_u32_e32 v11, vcc, 0, v29, vcc
	v_add_co_u32_e32 v28, vcc, s0, v30
	v_addc_co_u32_e32 v29, vcc, 0, v31, vcc
	global_load_dwordx2 v[30:31], v[10:11], off
	global_load_dwordx2 v[32:33], v[10:11], off offset:2048
	global_load_dwordx2 v[34:35], v[28:29], off
	global_load_dwordx2 v[36:37], v[28:29], off offset:2048
	global_load_dwordx2 v[38:39], v[14:15], off offset:2048
	;; [unrolled: 1-line block ×4, first 2 shown]
	v_mov_b32_e32 v1, s38
	v_add_co_u32_e32 v17, vcc, s37, v0
	v_addc_co_u32_e32 v1, vcc, 0, v1, vcc
	v_mov_b32_e32 v10, 0x200
	v_mov_b32_e32 v11, 0x100
	;; [unrolled: 1-line block ×7, first 2 shown]
	s_waitcnt vmcnt(13)
	v_cmp_neq_f64_e64 s[0:1], v[2:3], v[6:7]
	s_waitcnt vmcnt(12)
	v_cmp_neq_f64_e32 vcc, v[8:9], v[4:5]
	v_cndmask_b32_e32 v4, v10, v11, vcc
	s_or_b64 s[34:35], s[0:1], vcc
	s_waitcnt vmcnt(8)
	v_cmp_neq_f64_e32 vcc, v[20:21], v[24:25]
	s_or_b64 vcc, s[34:35], vcc
	v_cndmask_b32_e64 v2, v4, 0, s[0:1]
	s_waitcnt vmcnt(7)
	v_cmp_neq_f64_e64 s[0:1], v[22:23], v[26:27]
	s_waitcnt vmcnt(4)
	v_cmp_neq_f64_e64 s[2:3], v[30:31], v[34:35]
	;; [unrolled: 2-line block ×4, first 2 shown]
	v_cndmask_b32_e64 v3, v12, v13, s[10:11]
	s_or_b64 s[10:11], vcc, s[10:11]
	s_waitcnt vmcnt(0)
	v_cmp_neq_f64_e64 s[12:13], v[40:41], v[42:43]
	v_cndmask_b32_e32 v2, v3, v2, vcc
	s_or_b64 vcc, s[10:11], s[0:1]
	v_cndmask_b32_e64 v4, v14, v15, s[12:13]
	s_or_b64 s[0:1], vcc, s[12:13]
	v_cndmask_b32_e32 v2, v4, v2, vcc
	s_or_b64 vcc, s[0:1], s[2:3]
	v_cndmask_b32_e32 v2, v16, v2, vcc
	v_add_co_u32_e64 v2, s[0:1], v17, v2
	v_addc_co_u32_e64 v3, s[0:1], 0, v1, s[0:1]
	s_or_b64 s[0:1], vcc, s[8:9]
	v_cndmask_b32_e64 v1, 0, 1, s[0:1]
	v_mov_b32_dpp v4, v2 quad_perm:[1,0,3,2] row_mask:0xf bank_mask:0xf bound_ctrl:1
	v_mov_b32_dpp v5, v3 quad_perm:[1,0,3,2] row_mask:0xf bank_mask:0xf bound_ctrl:1
	;; [unrolled: 1-line block ×3, first 2 shown]
	v_and_b32_e32 v7, 1, v6
	v_cmp_eq_u32_e32 vcc, 1, v7
	s_and_saveexec_b64 s[2:3], vcc
; %bb.5:
	v_cmp_lt_i64_e32 vcc, v[2:3], v[4:5]
	v_cndmask_b32_e64 v6, v6, 1, s[0:1]
	s_and_b64 vcc, s[0:1], vcc
	v_cndmask_b32_e32 v2, v4, v2, vcc
	v_and_b32_e32 v4, 1, v6
	v_cndmask_b32_e32 v3, v5, v3, vcc
	v_cmp_eq_u32_e32 vcc, 1, v4
	s_andn2_b64 s[0:1], s[0:1], exec
	s_and_b64 s[8:9], vcc, exec
	v_and_b32_e32 v1, 0xff, v6
	s_or_b64 s[0:1], s[0:1], s[8:9]
; %bb.6:
	s_or_b64 exec, exec, s[2:3]
	v_mov_b32_dpp v6, v1 quad_perm:[2,3,0,1] row_mask:0xf bank_mask:0xf bound_ctrl:1
	v_and_b32_e32 v7, 1, v6
	v_mov_b32_dpp v4, v2 quad_perm:[2,3,0,1] row_mask:0xf bank_mask:0xf bound_ctrl:1
	v_mov_b32_dpp v5, v3 quad_perm:[2,3,0,1] row_mask:0xf bank_mask:0xf bound_ctrl:1
	v_cmp_eq_u32_e32 vcc, 1, v7
	s_and_saveexec_b64 s[2:3], vcc
; %bb.7:
	v_cmp_lt_i64_e32 vcc, v[2:3], v[4:5]
	v_cndmask_b32_e64 v6, v6, 1, s[0:1]
	s_and_b64 vcc, s[0:1], vcc
	v_cndmask_b32_e32 v2, v4, v2, vcc
	v_and_b32_e32 v4, 1, v6
	v_cndmask_b32_e32 v3, v5, v3, vcc
	v_cmp_eq_u32_e32 vcc, 1, v4
	s_andn2_b64 s[0:1], s[0:1], exec
	s_and_b64 s[8:9], vcc, exec
	v_and_b32_e32 v1, 0xff, v6
	s_or_b64 s[0:1], s[0:1], s[8:9]
; %bb.8:
	s_or_b64 exec, exec, s[2:3]
	v_mov_b32_dpp v6, v1 row_ror:4 row_mask:0xf bank_mask:0xf bound_ctrl:1
	v_and_b32_e32 v7, 1, v6
	v_mov_b32_dpp v4, v2 row_ror:4 row_mask:0xf bank_mask:0xf bound_ctrl:1
	v_mov_b32_dpp v5, v3 row_ror:4 row_mask:0xf bank_mask:0xf bound_ctrl:1
	v_cmp_eq_u32_e32 vcc, 1, v7
	s_and_saveexec_b64 s[2:3], vcc
; %bb.9:
	v_cmp_lt_i64_e32 vcc, v[2:3], v[4:5]
	v_cndmask_b32_e64 v6, v6, 1, s[0:1]
	s_and_b64 vcc, s[0:1], vcc
	v_cndmask_b32_e32 v2, v4, v2, vcc
	v_and_b32_e32 v4, 1, v6
	v_cndmask_b32_e32 v3, v5, v3, vcc
	v_cmp_eq_u32_e32 vcc, 1, v4
	s_andn2_b64 s[0:1], s[0:1], exec
	s_and_b64 s[8:9], vcc, exec
	v_and_b32_e32 v1, 0xff, v6
	s_or_b64 s[0:1], s[0:1], s[8:9]
; %bb.10:
	s_or_b64 exec, exec, s[2:3]
	v_mov_b32_dpp v6, v1 row_ror:8 row_mask:0xf bank_mask:0xf bound_ctrl:1
	v_and_b32_e32 v7, 1, v6
	v_mov_b32_dpp v4, v2 row_ror:8 row_mask:0xf bank_mask:0xf bound_ctrl:1
	v_mov_b32_dpp v5, v3 row_ror:8 row_mask:0xf bank_mask:0xf bound_ctrl:1
	v_cmp_eq_u32_e32 vcc, 1, v7
	s_and_saveexec_b64 s[2:3], vcc
; %bb.11:
	v_cmp_lt_i64_e32 vcc, v[2:3], v[4:5]
	v_cndmask_b32_e64 v6, v6, 1, s[0:1]
	s_and_b64 vcc, s[0:1], vcc
	v_cndmask_b32_e32 v2, v4, v2, vcc
	v_and_b32_e32 v4, 1, v6
	v_cndmask_b32_e32 v3, v5, v3, vcc
	v_cmp_eq_u32_e32 vcc, 1, v4
	s_andn2_b64 s[0:1], s[0:1], exec
	s_and_b64 s[8:9], vcc, exec
	v_and_b32_e32 v1, 0xff, v6
	s_or_b64 s[0:1], s[0:1], s[8:9]
; %bb.12:
	s_or_b64 exec, exec, s[2:3]
	v_mov_b32_dpp v6, v1 row_bcast:15 row_mask:0xf bank_mask:0xf bound_ctrl:1
	v_and_b32_e32 v7, 1, v6
	v_mov_b32_dpp v4, v2 row_bcast:15 row_mask:0xf bank_mask:0xf bound_ctrl:1
	v_mov_b32_dpp v5, v3 row_bcast:15 row_mask:0xf bank_mask:0xf bound_ctrl:1
	v_cmp_eq_u32_e32 vcc, 1, v7
	s_and_saveexec_b64 s[2:3], vcc
; %bb.13:
	v_cmp_lt_i64_e32 vcc, v[2:3], v[4:5]
	v_cndmask_b32_e64 v6, v6, 1, s[0:1]
	s_and_b64 vcc, s[0:1], vcc
	v_cndmask_b32_e32 v2, v4, v2, vcc
	v_and_b32_e32 v4, 1, v6
	v_cndmask_b32_e32 v3, v5, v3, vcc
	v_cmp_eq_u32_e32 vcc, 1, v4
	s_andn2_b64 s[0:1], s[0:1], exec
	s_and_b64 s[8:9], vcc, exec
	v_and_b32_e32 v1, 0xff, v6
	s_or_b64 s[0:1], s[0:1], s[8:9]
; %bb.14:
	s_or_b64 exec, exec, s[2:3]
	v_mov_b32_dpp v6, v1 row_bcast:31 row_mask:0xf bank_mask:0xf bound_ctrl:1
	v_and_b32_e32 v7, 1, v6
	v_mov_b32_dpp v4, v2 row_bcast:31 row_mask:0xf bank_mask:0xf bound_ctrl:1
	v_mov_b32_dpp v5, v3 row_bcast:31 row_mask:0xf bank_mask:0xf bound_ctrl:1
	v_cmp_eq_u32_e32 vcc, 1, v7
	s_and_saveexec_b64 s[2:3], vcc
; %bb.15:
	v_cmp_lt_i64_e32 vcc, v[2:3], v[4:5]
	v_and_b32_e32 v1, 0xff, v6
	s_and_b64 vcc, s[0:1], vcc
	v_cndmask_b32_e32 v2, v4, v2, vcc
	v_cndmask_b32_e32 v3, v5, v3, vcc
	v_cndmask_b32_e64 v1, v1, 1, s[0:1]
; %bb.16:
	s_or_b64 exec, exec, s[2:3]
	v_mbcnt_lo_u32_b32 v4, -1, 0
	v_mbcnt_hi_u32_b32 v4, -1, v4
	v_bfrev_b32_e32 v5, 0.5
	v_lshl_or_b32 v5, v4, 2, v5
	ds_bpermute_b32 v7, v5, v1
	ds_bpermute_b32 v2, v5, v2
	;; [unrolled: 1-line block ×3, first 2 shown]
	v_cmp_eq_u32_e32 vcc, 0, v4
	s_and_saveexec_b64 s[0:1], vcc
	s_cbranch_execz .LBB48_18
; %bb.17:
	v_lshrrev_b32_e32 v1, 2, v0
	v_and_b32_e32 v1, 48, v1
	s_waitcnt lgkmcnt(2)
	ds_write_b8 v1, v7 offset:192
	s_waitcnt lgkmcnt(1)
	ds_write_b64 v1, v[2:3] offset:200
.LBB48_18:
	s_or_b64 exec, exec, s[0:1]
	v_cmp_gt_u32_e32 vcc, 64, v0
	s_waitcnt lgkmcnt(0)
	s_barrier
	s_and_saveexec_b64 s[2:3], vcc
	s_cbranch_execz .LBB48_20
; %bb.19:
	v_and_b32_e32 v1, 3, v4
	v_lshlrev_b32_e32 v2, 4, v1
	ds_read_u8 v5, v2 offset:192
	ds_read_b64 v[2:3], v2 offset:200
	v_cmp_ne_u32_e32 vcc, 3, v1
	v_addc_co_u32_e32 v6, vcc, 0, v4, vcc
	s_waitcnt lgkmcnt(1)
	v_and_b32_e32 v7, 0xff, v5
	v_lshlrev_b32_e32 v8, 2, v6
	ds_bpermute_b32 v9, v8, v7
	s_waitcnt lgkmcnt(1)
	ds_bpermute_b32 v6, v8, v2
	ds_bpermute_b32 v7, v8, v3
	v_and_b32_e32 v8, 1, v5
	s_waitcnt lgkmcnt(2)
	v_and_b32_e32 v10, 1, v9
	v_cmp_eq_u32_e64 s[0:1], 1, v10
	s_waitcnt lgkmcnt(0)
	v_cmp_lt_i64_e32 vcc, v[6:7], v[2:3]
	s_and_b64 vcc, s[0:1], vcc
	v_cndmask_b32_e64 v5, v5, 1, s[0:1]
	v_cndmask_b32_e32 v2, v2, v6, vcc
	v_cndmask_b32_e32 v3, v3, v7, vcc
	v_cmp_eq_u32_e32 vcc, 1, v8
	v_cndmask_b32_e32 v8, v9, v5, vcc
	v_cndmask_b32_e32 v3, v7, v3, vcc
	;; [unrolled: 1-line block ×3, first 2 shown]
	v_cmp_gt_u32_e32 vcc, 2, v1
	v_cndmask_b32_e64 v1, 0, 1, vcc
	v_lshlrev_b32_e32 v1, 1, v1
	v_and_b32_e32 v5, 0xff, v8
	v_add_lshl_u32 v1, v1, v4, 2
	ds_bpermute_b32 v6, v1, v5
	ds_bpermute_b32 v4, v1, v2
	;; [unrolled: 1-line block ×3, first 2 shown]
	v_and_b32_e32 v1, 1, v8
	s_waitcnt lgkmcnt(2)
	v_and_b32_e32 v7, 1, v6
	v_cmp_eq_u32_e64 s[0:1], 1, v7
	s_waitcnt lgkmcnt(0)
	v_cmp_lt_i64_e32 vcc, v[4:5], v[2:3]
	s_and_b64 vcc, s[0:1], vcc
	v_cndmask_b32_e64 v7, v8, 1, s[0:1]
	v_cndmask_b32_e32 v2, v2, v4, vcc
	v_cndmask_b32_e32 v3, v3, v5, vcc
	v_cmp_eq_u32_e32 vcc, 1, v1
	v_cndmask_b32_e32 v1, v6, v7, vcc
	v_cndmask_b32_e32 v3, v5, v3, vcc
	;; [unrolled: 1-line block ×3, first 2 shown]
	v_and_b32_e32 v7, 0xff, v1
.LBB48_20:
	s_or_b64 exec, exec, s[2:3]
	s_branch .LBB48_89
.LBB48_21:
	s_mov_b64 s[10:11], 0
                                        ; implicit-def: $vgpr4_vgpr5
                                        ; implicit-def: $vgpr1
	s_cbranch_execnz .LBB48_133
	s_branch .LBB48_208
.LBB48_22:
	s_mov_b64 s[28:29], -1
.LBB48_23:
	s_mov_b64 s[10:11], 0
                                        ; implicit-def: $vgpr4_vgpr5
                                        ; implicit-def: $vgpr1
	s_and_b64 vcc, exec, s[28:29]
	s_cbranch_vccz .LBB48_94
.LBB48_24:
	s_cmp_eq_u32 s36, 4
	s_cbranch_scc0 .LBB48_43
; %bb.25:
	s_mov_b32 s7, 0
	s_lshl_b32 s14, s6, 10
	s_mov_b32 s15, s7
	s_lshr_b64 s[0:1], s[22:23], 10
	s_lshl_b64 s[2:3], s[14:15], 3
	s_add_u32 s8, s24, s2
	s_addc_u32 s9, s25, s3
	s_add_u32 s12, s26, s2
	s_addc_u32 s13, s27, s3
	;; [unrolled: 2-line block ×3, first 2 shown]
	s_cmp_lg_u64 s[0:1], s[6:7]
	s_cbranch_scc0 .LBB48_95
; %bb.26:
	v_lshlrev_b32_e32 v1, 3, v0
	v_mov_b32_e32 v2, s9
	v_add_co_u32_e32 v10, vcc, s8, v1
	v_addc_co_u32_e32 v11, vcc, 0, v2, vcc
	v_mov_b32_e32 v2, s13
	v_add_co_u32_e32 v12, vcc, s12, v1
	v_addc_co_u32_e32 v13, vcc, 0, v2, vcc
	s_movk_i32 s0, 0x1000
	v_add_co_u32_e32 v10, vcc, s0, v10
	global_load_dwordx2 v[2:3], v1, s[8:9]
	s_waitcnt lgkmcnt(0)
	global_load_dwordx2 v[4:5], v1, s[12:13] offset:2048
	global_load_dwordx2 v[6:7], v1, s[12:13]
	global_load_dwordx2 v[8:9], v1, s[8:9] offset:2048
	v_addc_co_u32_e32 v11, vcc, 0, v11, vcc
	v_add_co_u32_e32 v12, vcc, s0, v12
	v_addc_co_u32_e32 v13, vcc, 0, v13, vcc
	global_load_dwordx2 v[14:15], v[10:11], off
	global_load_dwordx2 v[16:17], v[10:11], off offset:2048
	global_load_dwordx2 v[18:19], v[12:13], off
	global_load_dwordx2 v[20:21], v[12:13], off offset:2048
	v_mov_b32_e32 v1, s17
	v_add_co_u32_e32 v13, vcc, s16, v0
	v_addc_co_u32_e32 v1, vcc, 0, v1, vcc
	v_mov_b32_e32 v10, 0x200
	v_mov_b32_e32 v11, 0x100
	;; [unrolled: 1-line block ×3, first 2 shown]
	s_waitcnt vmcnt(5)
	v_cmp_neq_f64_e64 s[0:1], v[2:3], v[6:7]
	s_waitcnt vmcnt(4)
	v_cmp_neq_f64_e32 vcc, v[8:9], v[4:5]
	v_cndmask_b32_e32 v4, v10, v11, vcc
	s_or_b64 s[2:3], s[0:1], vcc
	v_cndmask_b32_e64 v2, v4, 0, s[0:1]
	s_waitcnt vmcnt(1)
	v_cmp_neq_f64_e32 vcc, v[14:15], v[18:19]
	s_or_b64 vcc, s[2:3], vcc
	s_waitcnt vmcnt(0)
	v_cmp_neq_f64_e64 s[0:1], v[16:17], v[20:21]
	v_cndmask_b32_e32 v2, v12, v2, vcc
	v_add_co_u32_e64 v2, s[2:3], v13, v2
	s_or_b64 s[0:1], vcc, s[0:1]
	v_addc_co_u32_e64 v3, s[2:3], 0, v1, s[2:3]
	v_cndmask_b32_e64 v1, 0, 1, s[0:1]
	v_mov_b32_dpp v4, v2 quad_perm:[1,0,3,2] row_mask:0xf bank_mask:0xf bound_ctrl:1
	v_mov_b32_dpp v5, v3 quad_perm:[1,0,3,2] row_mask:0xf bank_mask:0xf bound_ctrl:1
	;; [unrolled: 1-line block ×3, first 2 shown]
	v_and_b32_e32 v7, 1, v6
	v_cmp_eq_u32_e32 vcc, 1, v7
	s_and_saveexec_b64 s[2:3], vcc
; %bb.27:
	v_cmp_lt_i64_e32 vcc, v[2:3], v[4:5]
	v_cndmask_b32_e64 v6, v6, 1, s[0:1]
	s_and_b64 vcc, s[0:1], vcc
	v_cndmask_b32_e32 v2, v4, v2, vcc
	v_and_b32_e32 v4, 1, v6
	v_cndmask_b32_e32 v3, v5, v3, vcc
	v_cmp_eq_u32_e32 vcc, 1, v4
	s_andn2_b64 s[0:1], s[0:1], exec
	s_and_b64 s[28:29], vcc, exec
	v_and_b32_e32 v1, 0xff, v6
	s_or_b64 s[0:1], s[0:1], s[28:29]
; %bb.28:
	s_or_b64 exec, exec, s[2:3]
	v_mov_b32_dpp v6, v1 quad_perm:[2,3,0,1] row_mask:0xf bank_mask:0xf bound_ctrl:1
	v_and_b32_e32 v7, 1, v6
	v_mov_b32_dpp v4, v2 quad_perm:[2,3,0,1] row_mask:0xf bank_mask:0xf bound_ctrl:1
	v_mov_b32_dpp v5, v3 quad_perm:[2,3,0,1] row_mask:0xf bank_mask:0xf bound_ctrl:1
	v_cmp_eq_u32_e32 vcc, 1, v7
	s_and_saveexec_b64 s[2:3], vcc
; %bb.29:
	v_cmp_lt_i64_e32 vcc, v[2:3], v[4:5]
	v_cndmask_b32_e64 v6, v6, 1, s[0:1]
	s_and_b64 vcc, s[0:1], vcc
	v_cndmask_b32_e32 v2, v4, v2, vcc
	v_and_b32_e32 v4, 1, v6
	v_cndmask_b32_e32 v3, v5, v3, vcc
	v_cmp_eq_u32_e32 vcc, 1, v4
	s_andn2_b64 s[0:1], s[0:1], exec
	s_and_b64 s[28:29], vcc, exec
	v_and_b32_e32 v1, 0xff, v6
	s_or_b64 s[0:1], s[0:1], s[28:29]
; %bb.30:
	s_or_b64 exec, exec, s[2:3]
	v_mov_b32_dpp v6, v1 row_ror:4 row_mask:0xf bank_mask:0xf bound_ctrl:1
	v_and_b32_e32 v7, 1, v6
	v_mov_b32_dpp v4, v2 row_ror:4 row_mask:0xf bank_mask:0xf bound_ctrl:1
	v_mov_b32_dpp v5, v3 row_ror:4 row_mask:0xf bank_mask:0xf bound_ctrl:1
	v_cmp_eq_u32_e32 vcc, 1, v7
	s_and_saveexec_b64 s[2:3], vcc
; %bb.31:
	v_cmp_lt_i64_e32 vcc, v[2:3], v[4:5]
	v_cndmask_b32_e64 v6, v6, 1, s[0:1]
	s_and_b64 vcc, s[0:1], vcc
	v_cndmask_b32_e32 v2, v4, v2, vcc
	v_and_b32_e32 v4, 1, v6
	v_cndmask_b32_e32 v3, v5, v3, vcc
	v_cmp_eq_u32_e32 vcc, 1, v4
	s_andn2_b64 s[0:1], s[0:1], exec
	s_and_b64 s[28:29], vcc, exec
	v_and_b32_e32 v1, 0xff, v6
	s_or_b64 s[0:1], s[0:1], s[28:29]
; %bb.32:
	s_or_b64 exec, exec, s[2:3]
	v_mov_b32_dpp v6, v1 row_ror:8 row_mask:0xf bank_mask:0xf bound_ctrl:1
	v_and_b32_e32 v7, 1, v6
	v_mov_b32_dpp v4, v2 row_ror:8 row_mask:0xf bank_mask:0xf bound_ctrl:1
	v_mov_b32_dpp v5, v3 row_ror:8 row_mask:0xf bank_mask:0xf bound_ctrl:1
	v_cmp_eq_u32_e32 vcc, 1, v7
	s_and_saveexec_b64 s[2:3], vcc
; %bb.33:
	v_cmp_lt_i64_e32 vcc, v[2:3], v[4:5]
	v_cndmask_b32_e64 v6, v6, 1, s[0:1]
	s_and_b64 vcc, s[0:1], vcc
	v_cndmask_b32_e32 v2, v4, v2, vcc
	v_and_b32_e32 v4, 1, v6
	v_cndmask_b32_e32 v3, v5, v3, vcc
	v_cmp_eq_u32_e32 vcc, 1, v4
	s_andn2_b64 s[0:1], s[0:1], exec
	s_and_b64 s[28:29], vcc, exec
	v_and_b32_e32 v1, 0xff, v6
	s_or_b64 s[0:1], s[0:1], s[28:29]
; %bb.34:
	s_or_b64 exec, exec, s[2:3]
	v_mov_b32_dpp v6, v1 row_bcast:15 row_mask:0xf bank_mask:0xf bound_ctrl:1
	v_and_b32_e32 v7, 1, v6
	v_mov_b32_dpp v4, v2 row_bcast:15 row_mask:0xf bank_mask:0xf bound_ctrl:1
	v_mov_b32_dpp v5, v3 row_bcast:15 row_mask:0xf bank_mask:0xf bound_ctrl:1
	v_cmp_eq_u32_e32 vcc, 1, v7
	s_and_saveexec_b64 s[2:3], vcc
; %bb.35:
	v_cmp_lt_i64_e32 vcc, v[2:3], v[4:5]
	v_cndmask_b32_e64 v6, v6, 1, s[0:1]
	s_and_b64 vcc, s[0:1], vcc
	v_cndmask_b32_e32 v2, v4, v2, vcc
	v_and_b32_e32 v4, 1, v6
	v_cndmask_b32_e32 v3, v5, v3, vcc
	v_cmp_eq_u32_e32 vcc, 1, v4
	s_andn2_b64 s[0:1], s[0:1], exec
	s_and_b64 s[28:29], vcc, exec
	v_and_b32_e32 v1, 0xff, v6
	s_or_b64 s[0:1], s[0:1], s[28:29]
; %bb.36:
	s_or_b64 exec, exec, s[2:3]
	v_mov_b32_dpp v6, v1 row_bcast:31 row_mask:0xf bank_mask:0xf bound_ctrl:1
	v_and_b32_e32 v7, 1, v6
	v_mov_b32_dpp v4, v2 row_bcast:31 row_mask:0xf bank_mask:0xf bound_ctrl:1
	v_mov_b32_dpp v5, v3 row_bcast:31 row_mask:0xf bank_mask:0xf bound_ctrl:1
	v_cmp_eq_u32_e32 vcc, 1, v7
	s_and_saveexec_b64 s[2:3], vcc
; %bb.37:
	v_cmp_lt_i64_e32 vcc, v[2:3], v[4:5]
	v_and_b32_e32 v1, 0xff, v6
	s_and_b64 vcc, s[0:1], vcc
	v_cndmask_b32_e32 v2, v4, v2, vcc
	v_cndmask_b32_e32 v3, v5, v3, vcc
	v_cndmask_b32_e64 v1, v1, 1, s[0:1]
; %bb.38:
	s_or_b64 exec, exec, s[2:3]
	v_mbcnt_lo_u32_b32 v4, -1, 0
	v_mbcnt_hi_u32_b32 v4, -1, v4
	v_bfrev_b32_e32 v5, 0.5
	v_lshl_or_b32 v5, v4, 2, v5
	ds_bpermute_b32 v6, v5, v1
	ds_bpermute_b32 v2, v5, v2
	;; [unrolled: 1-line block ×3, first 2 shown]
	v_cmp_eq_u32_e32 vcc, 0, v4
	s_and_saveexec_b64 s[0:1], vcc
	s_cbranch_execz .LBB48_40
; %bb.39:
	v_lshrrev_b32_e32 v1, 2, v0
	v_and_b32_e32 v1, 48, v1
	s_waitcnt lgkmcnt(2)
	ds_write_b8 v1, v6 offset:128
	s_waitcnt lgkmcnt(1)
	ds_write_b64 v1, v[2:3] offset:136
.LBB48_40:
	s_or_b64 exec, exec, s[0:1]
	v_cmp_gt_u32_e32 vcc, 64, v0
	s_waitcnt lgkmcnt(0)
	s_barrier
	s_and_saveexec_b64 s[2:3], vcc
	s_cbranch_execz .LBB48_42
; %bb.41:
	v_and_b32_e32 v1, 3, v4
	v_lshlrev_b32_e32 v2, 4, v1
	ds_read_u8 v5, v2 offset:128
	ds_read_b64 v[2:3], v2 offset:136
	v_cmp_ne_u32_e32 vcc, 3, v1
	v_addc_co_u32_e32 v6, vcc, 0, v4, vcc
	s_waitcnt lgkmcnt(1)
	v_and_b32_e32 v7, 0xff, v5
	v_lshlrev_b32_e32 v8, 2, v6
	ds_bpermute_b32 v9, v8, v7
	s_waitcnt lgkmcnt(1)
	ds_bpermute_b32 v6, v8, v2
	ds_bpermute_b32 v7, v8, v3
	v_and_b32_e32 v8, 1, v5
	s_waitcnt lgkmcnt(2)
	v_and_b32_e32 v10, 1, v9
	v_cmp_eq_u32_e64 s[0:1], 1, v10
	s_waitcnt lgkmcnt(0)
	v_cmp_lt_i64_e32 vcc, v[6:7], v[2:3]
	s_and_b64 vcc, s[0:1], vcc
	v_cndmask_b32_e64 v5, v5, 1, s[0:1]
	v_cndmask_b32_e32 v2, v2, v6, vcc
	v_cndmask_b32_e32 v3, v3, v7, vcc
	v_cmp_eq_u32_e32 vcc, 1, v8
	v_cndmask_b32_e32 v8, v9, v5, vcc
	v_cndmask_b32_e32 v3, v7, v3, vcc
	v_cndmask_b32_e32 v2, v6, v2, vcc
	v_cmp_gt_u32_e32 vcc, 2, v1
	v_cndmask_b32_e64 v1, 0, 1, vcc
	v_lshlrev_b32_e32 v1, 1, v1
	v_and_b32_e32 v5, 0xff, v8
	v_add_lshl_u32 v1, v1, v4, 2
	ds_bpermute_b32 v6, v1, v5
	ds_bpermute_b32 v4, v1, v2
	;; [unrolled: 1-line block ×3, first 2 shown]
	v_and_b32_e32 v1, 1, v8
	s_waitcnt lgkmcnt(2)
	v_and_b32_e32 v7, 1, v6
	v_cmp_eq_u32_e64 s[0:1], 1, v7
	s_waitcnt lgkmcnt(0)
	v_cmp_lt_i64_e32 vcc, v[4:5], v[2:3]
	s_and_b64 vcc, s[0:1], vcc
	v_cndmask_b32_e64 v7, v8, 1, s[0:1]
	v_cndmask_b32_e32 v2, v2, v4, vcc
	v_cndmask_b32_e32 v3, v3, v5, vcc
	v_cmp_eq_u32_e32 vcc, 1, v1
	v_cndmask_b32_e32 v1, v6, v7, vcc
	v_cndmask_b32_e32 v3, v5, v3, vcc
	;; [unrolled: 1-line block ×3, first 2 shown]
	v_and_b32_e32 v6, 0xff, v1
.LBB48_42:
	s_or_b64 exec, exec, s[2:3]
	s_branch .LBB48_128
.LBB48_43:
                                        ; implicit-def: $vgpr4_vgpr5
                                        ; implicit-def: $vgpr1
	s_branch .LBB48_208
.LBB48_44:
                                        ; implicit-def: $vgpr2_vgpr3
                                        ; implicit-def: $vgpr7
	s_cbranch_execz .LBB48_89
; %bb.45:
	s_sub_i32 s39, s22, s14
	v_pk_mov_b32 v[4:5], 0, 0
	v_cmp_gt_u32_e32 vcc, s39, v0
	v_mov_b32_e32 v18, 0
	v_pk_mov_b32 v[2:3], v[4:5], v[4:5] op_sel:[0,1]
	v_mov_b32_e32 v1, 0
	s_and_saveexec_b64 s[0:1], vcc
	s_cbranch_execz .LBB48_47
; %bb.46:
	v_lshlrev_b32_e32 v1, 3, v0
	global_load_dwordx2 v[6:7], v1, s[16:17]
	global_load_dwordx2 v[8:9], v1, s[30:31]
	v_mov_b32_e32 v1, s38
	v_add_co_u32_e32 v2, vcc, s37, v0
	v_addc_co_u32_e32 v3, vcc, 0, v1, vcc
	s_waitcnt vmcnt(0)
	v_cmp_neq_f64_e32 vcc, v[6:7], v[8:9]
	v_cndmask_b32_e64 v1, 0, 1, vcc
.LBB48_47:
	s_or_b64 exec, exec, s[0:1]
	v_or_b32_e32 v6, 0x100, v0
	v_cmp_gt_u32_e64 s[8:9], s39, v6
	s_and_saveexec_b64 s[0:1], s[8:9]
	s_cbranch_execz .LBB48_49
; %bb.48:
	v_lshlrev_b32_e32 v4, 3, v0
	global_load_dwordx2 v[8:9], v4, s[16:17] offset:2048
	global_load_dwordx2 v[10:11], v4, s[30:31] offset:2048
	v_mov_b32_e32 v5, s38
	v_add_co_u32_e32 v4, vcc, s37, v6
	v_addc_co_u32_e32 v5, vcc, 0, v5, vcc
	s_waitcnt vmcnt(0)
	v_cmp_neq_f64_e32 vcc, v[8:9], v[10:11]
	v_cndmask_b32_e64 v18, 0, 1, vcc
.LBB48_49:
	s_or_b64 exec, exec, s[0:1]
	v_or_b32_e32 v8, 0x200, v0
	v_pk_mov_b32 v[6:7], 0, 0
	v_cmp_gt_u32_e32 vcc, s39, v8
	v_mov_b32_e32 v19, 0
	v_pk_mov_b32 v[12:13], v[6:7], v[6:7] op_sel:[0,1]
	v_mov_b32_e32 v23, 0
	s_and_saveexec_b64 s[2:3], vcc
	s_cbranch_execz .LBB48_51
; %bb.50:
	v_lshlrev_b32_e32 v9, 3, v8
	global_load_dwordx2 v[10:11], v9, s[16:17]
	global_load_dwordx2 v[14:15], v9, s[30:31]
	v_mov_b32_e32 v9, s38
	v_add_co_u32_e64 v12, s[0:1], s37, v8
	v_addc_co_u32_e64 v13, s[0:1], 0, v9, s[0:1]
	s_waitcnt vmcnt(0)
	v_cmp_neq_f64_e64 s[0:1], v[10:11], v[14:15]
	v_cndmask_b32_e64 v23, 0, 1, s[0:1]
.LBB48_51:
	s_or_b64 exec, exec, s[2:3]
	v_or_b32_e32 v8, 0x300, v0
	v_cmp_gt_u32_e64 s[10:11], s39, v8
	s_and_saveexec_b64 s[2:3], s[10:11]
	s_cbranch_execz .LBB48_53
; %bb.52:
	v_lshlrev_b32_e32 v6, 3, v8
	global_load_dwordx2 v[10:11], v6, s[16:17]
	global_load_dwordx2 v[14:15], v6, s[30:31]
	v_mov_b32_e32 v7, s38
	v_add_co_u32_e64 v6, s[0:1], s37, v8
	v_addc_co_u32_e64 v7, s[0:1], 0, v7, s[0:1]
	s_waitcnt vmcnt(0)
	v_cmp_neq_f64_e64 s[0:1], v[10:11], v[14:15]
	v_cndmask_b32_e64 v19, 0, 1, s[0:1]
.LBB48_53:
	s_or_b64 exec, exec, s[2:3]
	v_or_b32_e32 v10, 0x400, v0
	v_pk_mov_b32 v[8:9], 0, 0
	v_cmp_gt_u32_e64 s[0:1], s39, v10
	v_mov_b32_e32 v20, 0
	v_pk_mov_b32 v[14:15], v[8:9], v[8:9] op_sel:[0,1]
	v_mov_b32_e32 v24, 0
	s_and_saveexec_b64 s[12:13], s[0:1]
	s_cbranch_execz .LBB48_55
; %bb.54:
	v_lshlrev_b32_e32 v11, 3, v10
	global_load_dwordx2 v[16:17], v11, s[16:17]
	global_load_dwordx2 v[24:25], v11, s[30:31]
	v_mov_b32_e32 v11, s38
	v_add_co_u32_e64 v14, s[2:3], s37, v10
	v_addc_co_u32_e64 v15, s[2:3], 0, v11, s[2:3]
	s_waitcnt vmcnt(0)
	v_cmp_neq_f64_e64 s[2:3], v[16:17], v[24:25]
	v_cndmask_b32_e64 v24, 0, 1, s[2:3]
.LBB48_55:
	s_or_b64 exec, exec, s[12:13]
	v_or_b32_e32 v10, 0x500, v0
	v_cmp_gt_u32_e64 s[12:13], s39, v10
	s_and_saveexec_b64 s[14:15], s[12:13]
	s_cbranch_execz .LBB48_57
; %bb.56:
	v_lshlrev_b32_e32 v8, 3, v10
	global_load_dwordx2 v[16:17], v8, s[16:17]
	global_load_dwordx2 v[20:21], v8, s[30:31]
	v_mov_b32_e32 v9, s38
	v_add_co_u32_e64 v8, s[2:3], s37, v10
	v_addc_co_u32_e64 v9, s[2:3], 0, v9, s[2:3]
	s_waitcnt vmcnt(0)
	v_cmp_neq_f64_e64 s[2:3], v[16:17], v[20:21]
	v_cndmask_b32_e64 v20, 0, 1, s[2:3]
.LBB48_57:
	s_or_b64 exec, exec, s[14:15]
	v_or_b32_e32 v25, 0x600, v0
	v_pk_mov_b32 v[10:11], 0, 0
	v_cmp_gt_u32_e64 s[2:3], s39, v25
	v_mov_b32_e32 v21, 0
	v_mov_b32_e32 v22, 0
	v_pk_mov_b32 v[16:17], v[10:11], v[10:11] op_sel:[0,1]
	s_and_saveexec_b64 s[34:35], s[2:3]
	s_cbranch_execz .LBB48_59
; %bb.58:
	v_lshlrev_b32_e32 v16, 3, v25
	global_load_dwordx2 v[26:27], v16, s[16:17]
	global_load_dwordx2 v[28:29], v16, s[30:31]
	v_mov_b32_e32 v17, s38
	v_add_co_u32_e64 v16, s[14:15], s37, v25
	v_addc_co_u32_e64 v17, s[14:15], 0, v17, s[14:15]
	s_waitcnt vmcnt(0)
	v_cmp_neq_f64_e64 s[14:15], v[26:27], v[28:29]
	v_cndmask_b32_e64 v22, 0, 1, s[14:15]
.LBB48_59:
	s_or_b64 exec, exec, s[34:35]
	v_or_b32_e32 v25, 0x700, v0
	v_cmp_gt_u32_e64 s[14:15], s39, v25
	s_and_saveexec_b64 s[34:35], s[14:15]
	s_cbranch_execnz .LBB48_240
; %bb.60:
	s_or_b64 exec, exec, s[34:35]
	s_and_saveexec_b64 s[30:31], s[8:9]
	s_cbranch_execnz .LBB48_241
.LBB48_61:
	s_or_b64 exec, exec, s[30:31]
	s_and_saveexec_b64 s[16:17], vcc
	s_cbranch_execnz .LBB48_242
.LBB48_62:
	s_or_b64 exec, exec, s[16:17]
	s_and_saveexec_b64 s[16:17], s[10:11]
	s_cbranch_execnz .LBB48_243
.LBB48_63:
	s_or_b64 exec, exec, s[16:17]
	s_and_saveexec_b64 s[8:9], s[0:1]
	s_cbranch_execnz .LBB48_244
.LBB48_64:
	s_or_b64 exec, exec, s[8:9]
	s_and_saveexec_b64 s[8:9], s[12:13]
	s_cbranch_execnz .LBB48_245
.LBB48_65:
	s_or_b64 exec, exec, s[8:9]
	s_and_saveexec_b64 s[8:9], s[2:3]
	s_cbranch_execnz .LBB48_246
.LBB48_66:
	s_or_b64 exec, exec, s[8:9]
	s_and_saveexec_b64 s[2:3], s[14:15]
	s_cbranch_execz .LBB48_68
.LBB48_67:
	v_and_b32_e32 v5, 1, v21
	v_cmp_lt_i64_e32 vcc, v[10:11], v[2:3]
	v_cmp_eq_u32_e64 s[0:1], 1, v5
	v_and_b32_e32 v4, 1, v1
	s_and_b64 vcc, s[0:1], vcc
	v_cndmask_b32_e64 v1, v1, 1, s[0:1]
	v_cndmask_b32_e32 v2, v2, v10, vcc
	v_cndmask_b32_e32 v3, v3, v11, vcc
	v_cmp_eq_u32_e32 vcc, 1, v4
	v_cndmask_b32_e32 v1, v21, v1, vcc
	v_cndmask_b32_e32 v3, v11, v3, vcc
	;; [unrolled: 1-line block ×3, first 2 shown]
.LBB48_68:
	s_or_b64 exec, exec, s[2:3]
	v_mbcnt_lo_u32_b32 v4, -1, 0
	v_mbcnt_hi_u32_b32 v6, -1, v4
	v_and_b32_e32 v8, 63, v6
	v_cmp_ne_u32_e32 vcc, 63, v8
	v_addc_co_u32_e32 v4, vcc, 0, v6, vcc
	v_and_b32_e32 v7, 0xffff, v1
	v_lshlrev_b32_e32 v5, 2, v4
	ds_bpermute_b32 v11, v5, v7
	ds_bpermute_b32 v4, v5, v2
	;; [unrolled: 1-line block ×3, first 2 shown]
	s_min_u32 s8, s39, 0x100
	v_and_b32_e32 v9, 0xc0, v0
	v_sub_u32_e64 v10, s8, v9 clamp
	v_add_u32_e32 v9, 1, v8
	v_cmp_lt_u32_e32 vcc, v9, v10
	v_mov_b32_e32 v9, v7
	s_and_saveexec_b64 s[0:1], vcc
	s_xor_b64 s[2:3], exec, s[0:1]
	s_cbranch_execz .LBB48_70
; %bb.69:
	s_waitcnt lgkmcnt(2)
	v_and_b32_e32 v9, 1, v11
	s_waitcnt lgkmcnt(0)
	v_cmp_lt_i64_e32 vcc, v[4:5], v[2:3]
	v_cmp_eq_u32_e64 s[0:1], 1, v9
	v_and_b32_e32 v1, 1, v1
	s_and_b64 vcc, s[0:1], vcc
	v_cndmask_b32_e64 v7, v7, 1, s[0:1]
	v_cndmask_b32_e32 v2, v2, v4, vcc
	v_cndmask_b32_e32 v3, v3, v5, vcc
	v_cmp_eq_u32_e32 vcc, 1, v1
	v_cndmask_b32_e32 v9, v11, v7, vcc
	v_cndmask_b32_e32 v3, v5, v3, vcc
	v_cndmask_b32_e32 v2, v4, v2, vcc
	v_and_b32_e32 v7, 0xff, v9
.LBB48_70:
	s_or_b64 exec, exec, s[2:3]
	v_cmp_gt_u32_e32 vcc, 62, v8
	v_cndmask_b32_e64 v1, 0, 1, vcc
	v_lshlrev_b32_e32 v1, 1, v1
	s_waitcnt lgkmcnt(0)
	v_add_lshl_u32 v5, v1, v6, 2
	ds_bpermute_b32 v1, v5, v7
	ds_bpermute_b32 v4, v5, v2
	ds_bpermute_b32 v5, v5, v3
	v_add_u32_e32 v11, 2, v8
	v_cmp_lt_u32_e32 vcc, v11, v10
	s_and_saveexec_b64 s[2:3], vcc
	s_cbranch_execz .LBB48_72
; %bb.71:
	s_waitcnt lgkmcnt(2)
	v_and_b32_e32 v11, 1, v1
	s_waitcnt lgkmcnt(0)
	v_cmp_lt_i64_e32 vcc, v[4:5], v[2:3]
	v_cmp_eq_u32_e64 s[0:1], 1, v11
	v_and_b32_e32 v7, 1, v9
	s_and_b64 vcc, s[0:1], vcc
	v_cndmask_b32_e64 v9, v9, 1, s[0:1]
	v_cndmask_b32_e32 v2, v2, v4, vcc
	v_cndmask_b32_e32 v3, v3, v5, vcc
	v_cmp_eq_u32_e32 vcc, 1, v7
	v_cndmask_b32_e32 v9, v1, v9, vcc
	v_cndmask_b32_e32 v3, v5, v3, vcc
	v_cndmask_b32_e32 v2, v4, v2, vcc
	v_and_b32_e32 v7, 0xff, v9
.LBB48_72:
	s_or_b64 exec, exec, s[2:3]
	v_cmp_gt_u32_e32 vcc, 60, v8
	s_waitcnt lgkmcnt(2)
	v_cndmask_b32_e64 v1, 0, 1, vcc
	v_lshlrev_b32_e32 v1, 2, v1
	s_waitcnt lgkmcnt(0)
	v_add_lshl_u32 v5, v1, v6, 2
	ds_bpermute_b32 v1, v5, v7
	ds_bpermute_b32 v4, v5, v2
	ds_bpermute_b32 v5, v5, v3
	v_add_u32_e32 v11, 4, v8
	v_cmp_lt_u32_e32 vcc, v11, v10
	s_and_saveexec_b64 s[2:3], vcc
	s_cbranch_execz .LBB48_74
; %bb.73:
	s_waitcnt lgkmcnt(2)
	v_and_b32_e32 v11, 1, v1
	s_waitcnt lgkmcnt(0)
	v_cmp_lt_i64_e32 vcc, v[4:5], v[2:3]
	v_cmp_eq_u32_e64 s[0:1], 1, v11
	v_and_b32_e32 v7, 1, v9
	s_and_b64 vcc, s[0:1], vcc
	v_cndmask_b32_e64 v9, v9, 1, s[0:1]
	v_cndmask_b32_e32 v2, v2, v4, vcc
	v_cndmask_b32_e32 v3, v3, v5, vcc
	v_cmp_eq_u32_e32 vcc, 1, v7
	v_cndmask_b32_e32 v9, v1, v9, vcc
	v_cndmask_b32_e32 v3, v5, v3, vcc
	v_cndmask_b32_e32 v2, v4, v2, vcc
	v_and_b32_e32 v7, 0xff, v9
.LBB48_74:
	s_or_b64 exec, exec, s[2:3]
	v_cmp_gt_u32_e32 vcc, 56, v8
	s_waitcnt lgkmcnt(2)
	;; [unrolled: 31-line block ×4, first 2 shown]
	v_cndmask_b32_e64 v1, 0, 1, vcc
	v_lshlrev_b32_e32 v1, 5, v1
	s_waitcnt lgkmcnt(0)
	v_add_lshl_u32 v5, v1, v6, 2
	ds_bpermute_b32 v1, v5, v7
	ds_bpermute_b32 v4, v5, v2
	;; [unrolled: 1-line block ×3, first 2 shown]
	v_add_u32_e32 v8, 32, v8
	v_cmp_lt_u32_e32 vcc, v8, v10
	s_and_saveexec_b64 s[2:3], vcc
	s_cbranch_execz .LBB48_80
; %bb.79:
	s_waitcnt lgkmcnt(2)
	v_and_b32_e32 v8, 1, v1
	s_waitcnt lgkmcnt(0)
	v_cmp_lt_i64_e32 vcc, v[4:5], v[2:3]
	v_cmp_eq_u32_e64 s[0:1], 1, v8
	v_and_b32_e32 v7, 1, v9
	s_and_b64 vcc, s[0:1], vcc
	v_cndmask_b32_e64 v8, v9, 1, s[0:1]
	v_cndmask_b32_e32 v2, v2, v4, vcc
	v_cndmask_b32_e32 v3, v3, v5, vcc
	v_cmp_eq_u32_e32 vcc, 1, v7
	v_cndmask_b32_e32 v9, v1, v8, vcc
	v_cndmask_b32_e32 v3, v5, v3, vcc
	;; [unrolled: 1-line block ×3, first 2 shown]
	v_and_b32_e32 v7, 0xff, v9
.LBB48_80:
	s_or_b64 exec, exec, s[2:3]
	v_cmp_eq_u32_e32 vcc, 0, v6
	s_and_saveexec_b64 s[0:1], vcc
	s_cbranch_execz .LBB48_82
; %bb.81:
	s_waitcnt lgkmcnt(2)
	v_lshrrev_b32_e32 v1, 2, v0
	v_and_b32_e32 v1, 48, v1
	ds_write_b8 v1, v9 offset:256
	ds_write_b64 v1, v[2:3] offset:264
.LBB48_82:
	s_or_b64 exec, exec, s[0:1]
	v_cmp_gt_u32_e32 vcc, 4, v0
	s_waitcnt lgkmcnt(0)
	s_barrier
	s_and_saveexec_b64 s[2:3], vcc
	s_cbranch_execz .LBB48_88
; %bb.83:
	v_lshlrev_b32_e32 v2, 4, v6
	ds_read_u8 v1, v2 offset:256
	ds_read_b64 v[2:3], v2 offset:264
	v_and_b32_e32 v8, 3, v6
	v_cmp_ne_u32_e32 vcc, 3, v8
	v_addc_co_u32_e32 v4, vcc, 0, v6, vcc
	s_waitcnt lgkmcnt(1)
	v_and_b32_e32 v7, 0xff, v1
	v_lshlrev_b32_e32 v5, 2, v4
	ds_bpermute_b32 v9, v5, v7
	s_waitcnt lgkmcnt(1)
	ds_bpermute_b32 v4, v5, v2
	ds_bpermute_b32 v5, v5, v3
	s_add_i32 s8, s8, 63
	s_lshr_b32 s10, s8, 6
	v_add_u32_e32 v10, 1, v8
	v_cmp_gt_u32_e32 vcc, s10, v10
	s_and_saveexec_b64 s[8:9], vcc
	s_cbranch_execz .LBB48_85
; %bb.84:
	s_waitcnt lgkmcnt(2)
	v_and_b32_e32 v10, 1, v9
	s_waitcnt lgkmcnt(0)
	v_cmp_lt_i64_e32 vcc, v[4:5], v[2:3]
	v_cmp_eq_u32_e64 s[0:1], 1, v10
	v_and_b32_e32 v7, 1, v1
	s_and_b64 vcc, s[0:1], vcc
	v_cndmask_b32_e64 v1, v1, 1, s[0:1]
	v_cndmask_b32_e32 v2, v2, v4, vcc
	v_cndmask_b32_e32 v3, v3, v5, vcc
	v_cmp_eq_u32_e32 vcc, 1, v7
	v_cndmask_b32_e32 v1, v9, v1, vcc
	v_cndmask_b32_e32 v3, v5, v3, vcc
	;; [unrolled: 1-line block ×3, first 2 shown]
	v_and_b32_e32 v7, 0xff, v1
.LBB48_85:
	s_or_b64 exec, exec, s[8:9]
	v_cmp_gt_u32_e32 vcc, 2, v8
	s_waitcnt lgkmcnt(1)
	v_cndmask_b32_e64 v4, 0, 1, vcc
	v_lshlrev_b32_e32 v4, 1, v4
	s_waitcnt lgkmcnt(0)
	v_add_lshl_u32 v5, v4, v6, 2
	ds_bpermute_b32 v6, v5, v7
	ds_bpermute_b32 v4, v5, v2
	;; [unrolled: 1-line block ×3, first 2 shown]
	v_add_u32_e32 v8, 2, v8
	v_cmp_gt_u32_e32 vcc, s10, v8
	s_and_saveexec_b64 s[8:9], vcc
	s_cbranch_execz .LBB48_87
; %bb.86:
	s_waitcnt lgkmcnt(2)
	v_and_b32_e32 v8, 1, v6
	s_waitcnt lgkmcnt(0)
	v_cmp_lt_i64_e32 vcc, v[4:5], v[2:3]
	v_cmp_eq_u32_e64 s[0:1], 1, v8
	v_and_b32_e32 v7, 1, v1
	s_and_b64 vcc, s[0:1], vcc
	v_cndmask_b32_e64 v1, v1, 1, s[0:1]
	v_cndmask_b32_e32 v2, v2, v4, vcc
	v_cndmask_b32_e32 v3, v3, v5, vcc
	v_cmp_eq_u32_e32 vcc, 1, v7
	v_cndmask_b32_e32 v1, v6, v1, vcc
	v_cndmask_b32_e32 v3, v5, v3, vcc
	;; [unrolled: 1-line block ×3, first 2 shown]
	v_and_b32_e32 v7, 0xff, v1
.LBB48_87:
	s_or_b64 exec, exec, s[8:9]
.LBB48_88:
	s_or_b64 exec, exec, s[2:3]
.LBB48_89:
	v_cmp_eq_u32_e32 vcc, 0, v0
	s_mov_b64 s[10:11], 0
                                        ; implicit-def: $vgpr4_vgpr5
                                        ; implicit-def: $vgpr1
	s_and_saveexec_b64 s[0:1], vcc
	s_xor_b64 s[8:9], exec, s[0:1]
	s_cbranch_execz .LBB48_93
; %bb.90:
	s_cmp_eq_u64 s[22:23], 0
	s_waitcnt lgkmcnt(0)
	v_pk_mov_b32 v[4:5], s[18:19], s[18:19] op_sel:[0,1]
	v_mov_b32_e32 v1, s33
	s_cbranch_scc1 .LBB48_92
; %bb.91:
	v_and_b32_e32 v1, 1, v7
	s_bitcmp1_b32 s33, 0
	v_mov_b32_e32 v4, s33
	v_cmp_eq_u32_e32 vcc, 1, v1
	v_cmp_gt_i64_e64 s[2:3], s[18:19], v[2:3]
	v_cndmask_b32_e64 v1, v4, 1, vcc
	s_cselect_b64 s[0:1], -1, 0
	v_mov_b32_e32 v4, s18
	s_and_b64 vcc, vcc, s[2:3]
	v_mov_b32_e32 v5, s19
	v_cndmask_b32_e32 v4, v4, v2, vcc
	v_cndmask_b32_e32 v5, v5, v3, vcc
	v_cndmask_b32_e64 v1, v7, v1, s[0:1]
	v_cndmask_b32_e64 v5, v3, v5, s[0:1]
	;; [unrolled: 1-line block ×3, first 2 shown]
.LBB48_92:
	s_mov_b64 s[10:11], exec
.LBB48_93:
	s_or_b64 exec, exec, s[8:9]
	s_and_b64 vcc, exec, s[28:29]
	s_cbranch_vccnz .LBB48_24
.LBB48_94:
	s_branch .LBB48_208
.LBB48_95:
                                        ; implicit-def: $vgpr2_vgpr3
                                        ; implicit-def: $vgpr6
	s_cbranch_execz .LBB48_128
; %bb.96:
	s_sub_i32 s28, s22, s14
	s_waitcnt lgkmcnt(0)
	v_pk_mov_b32 v[4:5], 0, 0
	v_cmp_gt_u32_e32 vcc, s28, v0
	v_mov_b32_e32 v1, 0
	v_pk_mov_b32 v[2:3], v[4:5], v[4:5] op_sel:[0,1]
	v_mov_b32_e32 v10, 0
	s_and_saveexec_b64 s[0:1], vcc
	s_cbranch_execz .LBB48_98
; %bb.97:
	v_lshlrev_b32_e32 v2, 3, v0
	global_load_dwordx2 v[6:7], v2, s[8:9]
	global_load_dwordx2 v[8:9], v2, s[12:13]
	v_mov_b32_e32 v3, s17
	v_add_co_u32_e32 v2, vcc, s16, v0
	v_addc_co_u32_e32 v3, vcc, 0, v3, vcc
	s_waitcnt vmcnt(0)
	v_cmp_neq_f64_e32 vcc, v[6:7], v[8:9]
	v_cndmask_b32_e64 v10, 0, 1, vcc
.LBB48_98:
	s_or_b64 exec, exec, s[0:1]
	v_or_b32_e32 v6, 0x100, v0
	v_cmp_gt_u32_e64 s[0:1], s28, v6
	s_and_saveexec_b64 s[2:3], s[0:1]
	s_cbranch_execz .LBB48_100
; %bb.99:
	v_lshlrev_b32_e32 v1, 3, v0
	global_load_dwordx2 v[8:9], v1, s[8:9] offset:2048
	global_load_dwordx2 v[12:13], v1, s[12:13] offset:2048
	v_mov_b32_e32 v1, s17
	v_add_co_u32_e32 v4, vcc, s16, v6
	v_addc_co_u32_e32 v5, vcc, 0, v1, vcc
	s_waitcnt vmcnt(0)
	v_cmp_neq_f64_e32 vcc, v[8:9], v[12:13]
	v_cndmask_b32_e64 v1, 0, 1, vcc
.LBB48_100:
	s_or_b64 exec, exec, s[2:3]
	v_or_b32_e32 v13, 0x200, v0
	v_pk_mov_b32 v[6:7], 0, 0
	v_cmp_gt_u32_e32 vcc, s28, v13
	v_mov_b32_e32 v11, 0
	v_pk_mov_b32 v[8:9], v[6:7], v[6:7] op_sel:[0,1]
	v_mov_b32_e32 v12, 0
	s_and_saveexec_b64 s[14:15], vcc
	s_cbranch_execz .LBB48_102
; %bb.101:
	v_lshlrev_b32_e32 v8, 3, v13
	global_load_dwordx2 v[14:15], v8, s[8:9]
	global_load_dwordx2 v[16:17], v8, s[12:13]
	v_mov_b32_e32 v9, s17
	v_add_co_u32_e64 v8, s[2:3], s16, v13
	v_addc_co_u32_e64 v9, s[2:3], 0, v9, s[2:3]
	s_waitcnt vmcnt(0)
	v_cmp_neq_f64_e64 s[2:3], v[14:15], v[16:17]
	v_cndmask_b32_e64 v12, 0, 1, s[2:3]
.LBB48_102:
	s_or_b64 exec, exec, s[14:15]
	v_or_b32_e32 v13, 0x300, v0
	v_cmp_gt_u32_e64 s[2:3], s28, v13
	s_and_saveexec_b64 s[14:15], s[2:3]
	s_cbranch_execnz .LBB48_247
; %bb.103:
	s_or_b64 exec, exec, s[14:15]
	s_and_saveexec_b64 s[12:13], s[0:1]
	s_cbranch_execnz .LBB48_248
.LBB48_104:
	s_or_b64 exec, exec, s[12:13]
	s_and_saveexec_b64 s[8:9], vcc
	s_cbranch_execnz .LBB48_249
.LBB48_105:
	s_or_b64 exec, exec, s[8:9]
	s_and_saveexec_b64 s[8:9], s[2:3]
	s_cbranch_execz .LBB48_107
.LBB48_106:
	v_and_b32_e32 v4, 1, v11
	v_cmp_lt_i64_e32 vcc, v[6:7], v[2:3]
	v_cmp_eq_u32_e64 s[0:1], 1, v4
	v_and_b32_e32 v1, 1, v10
	s_and_b64 vcc, s[0:1], vcc
	v_cndmask_b32_e64 v4, v10, 1, s[0:1]
	v_cndmask_b32_e32 v2, v2, v6, vcc
	v_cndmask_b32_e32 v3, v3, v7, vcc
	v_cmp_eq_u32_e32 vcc, 1, v1
	v_cndmask_b32_e32 v10, v11, v4, vcc
	v_cndmask_b32_e32 v3, v7, v3, vcc
	;; [unrolled: 1-line block ×3, first 2 shown]
.LBB48_107:
	s_or_b64 exec, exec, s[8:9]
	v_mbcnt_lo_u32_b32 v1, -1, 0
	v_mbcnt_hi_u32_b32 v1, -1, v1
	v_and_b32_e32 v7, 63, v1
	v_cmp_ne_u32_e32 vcc, 63, v7
	v_addc_co_u32_e32 v4, vcc, 0, v1, vcc
	v_and_b32_e32 v6, 0xffff, v10
	v_lshlrev_b32_e32 v5, 2, v4
	ds_bpermute_b32 v11, v5, v6
	ds_bpermute_b32 v4, v5, v2
	;; [unrolled: 1-line block ×3, first 2 shown]
	s_min_u32 s8, s28, 0x100
	v_and_b32_e32 v8, 0xc0, v0
	v_sub_u32_e64 v9, s8, v8 clamp
	v_add_u32_e32 v8, 1, v7
	v_cmp_lt_u32_e32 vcc, v8, v9
	v_mov_b32_e32 v8, v6
	s_and_saveexec_b64 s[0:1], vcc
	s_xor_b64 s[2:3], exec, s[0:1]
	s_cbranch_execz .LBB48_109
; %bb.108:
	v_and_b32_e32 v8, 1, v10
	s_waitcnt lgkmcnt(2)
	v_and_b32_e32 v10, 1, v11
	s_waitcnt lgkmcnt(0)
	v_cmp_lt_i64_e32 vcc, v[4:5], v[2:3]
	v_cmp_eq_u32_e64 s[0:1], 1, v10
	s_and_b64 vcc, s[0:1], vcc
	v_cndmask_b32_e64 v6, v6, 1, s[0:1]
	v_cndmask_b32_e32 v2, v2, v4, vcc
	v_cndmask_b32_e32 v3, v3, v5, vcc
	v_cmp_eq_u32_e32 vcc, 1, v8
	v_cndmask_b32_e32 v8, v11, v6, vcc
	v_cndmask_b32_e32 v3, v5, v3, vcc
	;; [unrolled: 1-line block ×3, first 2 shown]
	v_and_b32_e32 v6, 0xff, v8
.LBB48_109:
	s_or_b64 exec, exec, s[2:3]
	v_cmp_gt_u32_e32 vcc, 62, v7
	s_waitcnt lgkmcnt(1)
	v_cndmask_b32_e64 v4, 0, 1, vcc
	v_lshlrev_b32_e32 v4, 1, v4
	s_waitcnt lgkmcnt(0)
	v_add_lshl_u32 v5, v4, v1, 2
	ds_bpermute_b32 v10, v5, v6
	ds_bpermute_b32 v4, v5, v2
	ds_bpermute_b32 v5, v5, v3
	v_add_u32_e32 v11, 2, v7
	v_cmp_lt_u32_e32 vcc, v11, v9
	s_and_saveexec_b64 s[2:3], vcc
	s_cbranch_execz .LBB48_111
; %bb.110:
	s_waitcnt lgkmcnt(2)
	v_and_b32_e32 v11, 1, v10
	s_waitcnt lgkmcnt(0)
	v_cmp_lt_i64_e32 vcc, v[4:5], v[2:3]
	v_cmp_eq_u32_e64 s[0:1], 1, v11
	v_and_b32_e32 v6, 1, v8
	s_and_b64 vcc, s[0:1], vcc
	v_cndmask_b32_e64 v8, v8, 1, s[0:1]
	v_cndmask_b32_e32 v2, v2, v4, vcc
	v_cndmask_b32_e32 v3, v3, v5, vcc
	v_cmp_eq_u32_e32 vcc, 1, v6
	v_cndmask_b32_e32 v8, v10, v8, vcc
	v_cndmask_b32_e32 v3, v5, v3, vcc
	v_cndmask_b32_e32 v2, v4, v2, vcc
	v_and_b32_e32 v6, 0xff, v8
.LBB48_111:
	s_or_b64 exec, exec, s[2:3]
	v_cmp_gt_u32_e32 vcc, 60, v7
	s_waitcnt lgkmcnt(1)
	v_cndmask_b32_e64 v4, 0, 1, vcc
	v_lshlrev_b32_e32 v4, 2, v4
	s_waitcnt lgkmcnt(0)
	v_add_lshl_u32 v5, v4, v1, 2
	ds_bpermute_b32 v10, v5, v6
	ds_bpermute_b32 v4, v5, v2
	ds_bpermute_b32 v5, v5, v3
	v_add_u32_e32 v11, 4, v7
	v_cmp_lt_u32_e32 vcc, v11, v9
	s_and_saveexec_b64 s[2:3], vcc
	s_cbranch_execz .LBB48_113
; %bb.112:
	s_waitcnt lgkmcnt(2)
	v_and_b32_e32 v11, 1, v10
	s_waitcnt lgkmcnt(0)
	v_cmp_lt_i64_e32 vcc, v[4:5], v[2:3]
	v_cmp_eq_u32_e64 s[0:1], 1, v11
	v_and_b32_e32 v6, 1, v8
	s_and_b64 vcc, s[0:1], vcc
	v_cndmask_b32_e64 v8, v8, 1, s[0:1]
	v_cndmask_b32_e32 v2, v2, v4, vcc
	v_cndmask_b32_e32 v3, v3, v5, vcc
	v_cmp_eq_u32_e32 vcc, 1, v6
	v_cndmask_b32_e32 v8, v10, v8, vcc
	v_cndmask_b32_e32 v3, v5, v3, vcc
	v_cndmask_b32_e32 v2, v4, v2, vcc
	v_and_b32_e32 v6, 0xff, v8
.LBB48_113:
	;; [unrolled: 31-line block ×5, first 2 shown]
	s_or_b64 exec, exec, s[2:3]
	v_cmp_eq_u32_e32 vcc, 0, v1
	s_and_saveexec_b64 s[0:1], vcc
	s_cbranch_execz .LBB48_121
; %bb.120:
	s_waitcnt lgkmcnt(1)
	v_lshrrev_b32_e32 v4, 2, v0
	v_and_b32_e32 v4, 48, v4
	ds_write_b8 v4, v8 offset:256
	ds_write_b64 v4, v[2:3] offset:264
.LBB48_121:
	s_or_b64 exec, exec, s[0:1]
	v_cmp_gt_u32_e32 vcc, 4, v0
	s_waitcnt lgkmcnt(0)
	s_barrier
	s_and_saveexec_b64 s[2:3], vcc
	s_cbranch_execz .LBB48_127
; %bb.122:
	v_lshlrev_b32_e32 v2, 4, v1
	ds_read_u8 v7, v2 offset:256
	ds_read_b64 v[2:3], v2 offset:264
	v_and_b32_e32 v8, 3, v1
	v_cmp_ne_u32_e32 vcc, 3, v8
	v_addc_co_u32_e32 v4, vcc, 0, v1, vcc
	s_waitcnt lgkmcnt(1)
	v_and_b32_e32 v6, 0xff, v7
	v_lshlrev_b32_e32 v5, 2, v4
	ds_bpermute_b32 v9, v5, v6
	s_waitcnt lgkmcnt(1)
	ds_bpermute_b32 v4, v5, v2
	ds_bpermute_b32 v5, v5, v3
	s_add_i32 s8, s8, 63
	s_lshr_b32 s12, s8, 6
	v_add_u32_e32 v10, 1, v8
	v_cmp_gt_u32_e32 vcc, s12, v10
	s_and_saveexec_b64 s[8:9], vcc
	s_cbranch_execz .LBB48_124
; %bb.123:
	s_waitcnt lgkmcnt(2)
	v_and_b32_e32 v10, 1, v9
	s_waitcnt lgkmcnt(0)
	v_cmp_lt_i64_e32 vcc, v[4:5], v[2:3]
	v_cmp_eq_u32_e64 s[0:1], 1, v10
	v_and_b32_e32 v6, 1, v7
	s_and_b64 vcc, s[0:1], vcc
	v_cndmask_b32_e64 v7, v7, 1, s[0:1]
	v_cndmask_b32_e32 v2, v2, v4, vcc
	v_cndmask_b32_e32 v3, v3, v5, vcc
	v_cmp_eq_u32_e32 vcc, 1, v6
	v_cndmask_b32_e32 v7, v9, v7, vcc
	v_cndmask_b32_e32 v3, v5, v3, vcc
	;; [unrolled: 1-line block ×3, first 2 shown]
	v_and_b32_e32 v6, 0xff, v7
.LBB48_124:
	s_or_b64 exec, exec, s[8:9]
	v_cmp_gt_u32_e32 vcc, 2, v8
	s_waitcnt lgkmcnt(1)
	v_cndmask_b32_e64 v4, 0, 1, vcc
	v_lshlrev_b32_e32 v4, 1, v4
	s_waitcnt lgkmcnt(0)
	v_add_lshl_u32 v5, v4, v1, 2
	ds_bpermute_b32 v1, v5, v6
	ds_bpermute_b32 v4, v5, v2
	;; [unrolled: 1-line block ×3, first 2 shown]
	v_add_u32_e32 v8, 2, v8
	v_cmp_gt_u32_e32 vcc, s12, v8
	s_and_saveexec_b64 s[8:9], vcc
	s_cbranch_execz .LBB48_126
; %bb.125:
	s_waitcnt lgkmcnt(2)
	v_and_b32_e32 v8, 1, v1
	s_waitcnt lgkmcnt(0)
	v_cmp_lt_i64_e32 vcc, v[4:5], v[2:3]
	v_cmp_eq_u32_e64 s[0:1], 1, v8
	v_and_b32_e32 v6, 1, v7
	s_and_b64 vcc, s[0:1], vcc
	v_cndmask_b32_e64 v7, v7, 1, s[0:1]
	v_cndmask_b32_e32 v2, v2, v4, vcc
	v_cndmask_b32_e32 v3, v3, v5, vcc
	v_cmp_eq_u32_e32 vcc, 1, v6
	v_cndmask_b32_e32 v1, v1, v7, vcc
	v_cndmask_b32_e32 v3, v5, v3, vcc
	;; [unrolled: 1-line block ×3, first 2 shown]
	v_and_b32_e32 v6, 0xff, v1
.LBB48_126:
	s_or_b64 exec, exec, s[8:9]
.LBB48_127:
	s_or_b64 exec, exec, s[2:3]
.LBB48_128:
	v_cmp_eq_u32_e32 vcc, 0, v0
                                        ; implicit-def: $vgpr4_vgpr5
                                        ; implicit-def: $vgpr1
	s_and_saveexec_b64 s[0:1], vcc
	s_xor_b64 s[8:9], exec, s[0:1]
	s_cbranch_execz .LBB48_132
; %bb.129:
	s_cmp_eq_u64 s[22:23], 0
	s_waitcnt lgkmcnt(0)
	v_pk_mov_b32 v[4:5], s[18:19], s[18:19] op_sel:[0,1]
	v_mov_b32_e32 v1, s33
	s_cbranch_scc1 .LBB48_131
; %bb.130:
	v_and_b32_e32 v1, 1, v6
	s_bitcmp1_b32 s33, 0
	v_mov_b32_e32 v4, s33
	v_cmp_eq_u32_e32 vcc, 1, v1
	v_cmp_gt_i64_e64 s[2:3], s[18:19], v[2:3]
	v_cndmask_b32_e64 v1, v4, 1, vcc
	s_cselect_b64 s[0:1], -1, 0
	v_mov_b32_e32 v4, s18
	s_and_b64 vcc, vcc, s[2:3]
	v_mov_b32_e32 v5, s19
	v_cndmask_b32_e32 v4, v4, v2, vcc
	v_cndmask_b32_e32 v5, v5, v3, vcc
	v_cndmask_b32_e64 v1, v6, v1, s[0:1]
	v_cndmask_b32_e64 v5, v3, v5, s[0:1]
	;; [unrolled: 1-line block ×3, first 2 shown]
.LBB48_131:
	s_or_b64 s[10:11], s[10:11], exec
.LBB48_132:
	s_or_b64 exec, exec, s[8:9]
	s_branch .LBB48_208
.LBB48_133:
	s_cmp_gt_i32 s36, 1
	s_cbranch_scc0 .LBB48_153
; %bb.134:
	s_cmp_eq_u32 s36, 2
	s_cbranch_scc0 .LBB48_154
; %bb.135:
	s_mov_b32 s7, 0
	s_lshl_b32 s12, s6, 9
	s_mov_b32 s13, s7
	s_lshr_b64 s[0:1], s[22:23], 9
	s_lshl_b64 s[8:9], s[12:13], 3
	s_add_u32 s2, s24, s8
	s_addc_u32 s3, s25, s9
	s_add_u32 s8, s26, s8
	s_addc_u32 s9, s27, s9
	;; [unrolled: 2-line block ×3, first 2 shown]
	s_cmp_lg_u64 s[0:1], s[6:7]
	s_cbranch_scc0 .LBB48_155
; %bb.136:
	s_waitcnt lgkmcnt(2)
	v_lshlrev_b32_e32 v1, 3, v0
	global_load_dwordx2 v[2:3], v1, s[8:9] offset:2048
	s_waitcnt lgkmcnt(0)
	global_load_dwordx2 v[4:5], v1, s[8:9]
	global_load_dwordx2 v[6:7], v1, s[2:3] offset:2048
	global_load_dwordx2 v[8:9], v1, s[2:3]
	v_mov_b32_e32 v1, s17
	v_add_co_u32_e32 v10, vcc, s16, v0
	v_addc_co_u32_e32 v1, vcc, 0, v1, vcc
	v_add_co_u32_e32 v11, vcc, 0x100, v10
	v_addc_co_u32_e32 v12, vcc, 0, v1, vcc
	s_waitcnt vmcnt(1)
	v_cmp_neq_f64_e32 vcc, v[6:7], v[2:3]
	s_waitcnt vmcnt(0)
	v_cmp_neq_f64_e64 s[0:1], v[8:9], v[4:5]
	v_cndmask_b32_e64 v3, v12, v1, s[0:1]
	v_cndmask_b32_e64 v2, v11, v10, s[0:1]
	s_or_b64 s[0:1], s[0:1], vcc
	v_cndmask_b32_e64 v1, 0, 1, s[0:1]
	v_mov_b32_dpp v4, v2 quad_perm:[1,0,3,2] row_mask:0xf bank_mask:0xf bound_ctrl:1
	v_mov_b32_dpp v5, v3 quad_perm:[1,0,3,2] row_mask:0xf bank_mask:0xf bound_ctrl:1
	;; [unrolled: 1-line block ×3, first 2 shown]
	v_and_b32_e32 v7, 1, v6
	v_cmp_eq_u32_e32 vcc, 1, v7
	s_and_saveexec_b64 s[14:15], vcc
; %bb.137:
	v_cmp_lt_i64_e32 vcc, v[2:3], v[4:5]
	v_cndmask_b32_e64 v6, v6, 1, s[0:1]
	s_and_b64 vcc, s[0:1], vcc
	v_cndmask_b32_e32 v2, v4, v2, vcc
	v_and_b32_e32 v4, 1, v6
	v_cndmask_b32_e32 v3, v5, v3, vcc
	v_cmp_eq_u32_e32 vcc, 1, v4
	s_andn2_b64 s[0:1], s[0:1], exec
	s_and_b64 s[28:29], vcc, exec
	v_and_b32_e32 v1, 0xff, v6
	s_or_b64 s[0:1], s[0:1], s[28:29]
; %bb.138:
	s_or_b64 exec, exec, s[14:15]
	v_mov_b32_dpp v6, v1 quad_perm:[2,3,0,1] row_mask:0xf bank_mask:0xf bound_ctrl:1
	v_and_b32_e32 v7, 1, v6
	v_mov_b32_dpp v4, v2 quad_perm:[2,3,0,1] row_mask:0xf bank_mask:0xf bound_ctrl:1
	v_mov_b32_dpp v5, v3 quad_perm:[2,3,0,1] row_mask:0xf bank_mask:0xf bound_ctrl:1
	v_cmp_eq_u32_e32 vcc, 1, v7
	s_and_saveexec_b64 s[14:15], vcc
; %bb.139:
	v_cmp_lt_i64_e32 vcc, v[2:3], v[4:5]
	v_cndmask_b32_e64 v6, v6, 1, s[0:1]
	s_and_b64 vcc, s[0:1], vcc
	v_cndmask_b32_e32 v2, v4, v2, vcc
	v_and_b32_e32 v4, 1, v6
	v_cndmask_b32_e32 v3, v5, v3, vcc
	v_cmp_eq_u32_e32 vcc, 1, v4
	s_andn2_b64 s[0:1], s[0:1], exec
	s_and_b64 s[28:29], vcc, exec
	v_and_b32_e32 v1, 0xff, v6
	s_or_b64 s[0:1], s[0:1], s[28:29]
; %bb.140:
	s_or_b64 exec, exec, s[14:15]
	v_mov_b32_dpp v6, v1 row_ror:4 row_mask:0xf bank_mask:0xf bound_ctrl:1
	v_and_b32_e32 v7, 1, v6
	v_mov_b32_dpp v4, v2 row_ror:4 row_mask:0xf bank_mask:0xf bound_ctrl:1
	v_mov_b32_dpp v5, v3 row_ror:4 row_mask:0xf bank_mask:0xf bound_ctrl:1
	v_cmp_eq_u32_e32 vcc, 1, v7
	s_and_saveexec_b64 s[14:15], vcc
; %bb.141:
	v_cmp_lt_i64_e32 vcc, v[2:3], v[4:5]
	v_cndmask_b32_e64 v6, v6, 1, s[0:1]
	s_and_b64 vcc, s[0:1], vcc
	v_cndmask_b32_e32 v2, v4, v2, vcc
	v_and_b32_e32 v4, 1, v6
	v_cndmask_b32_e32 v3, v5, v3, vcc
	v_cmp_eq_u32_e32 vcc, 1, v4
	s_andn2_b64 s[0:1], s[0:1], exec
	s_and_b64 s[28:29], vcc, exec
	v_and_b32_e32 v1, 0xff, v6
	s_or_b64 s[0:1], s[0:1], s[28:29]
; %bb.142:
	s_or_b64 exec, exec, s[14:15]
	v_mov_b32_dpp v6, v1 row_ror:8 row_mask:0xf bank_mask:0xf bound_ctrl:1
	v_and_b32_e32 v7, 1, v6
	v_mov_b32_dpp v4, v2 row_ror:8 row_mask:0xf bank_mask:0xf bound_ctrl:1
	v_mov_b32_dpp v5, v3 row_ror:8 row_mask:0xf bank_mask:0xf bound_ctrl:1
	v_cmp_eq_u32_e32 vcc, 1, v7
	s_and_saveexec_b64 s[14:15], vcc
; %bb.143:
	v_cmp_lt_i64_e32 vcc, v[2:3], v[4:5]
	v_cndmask_b32_e64 v6, v6, 1, s[0:1]
	s_and_b64 vcc, s[0:1], vcc
	v_cndmask_b32_e32 v2, v4, v2, vcc
	v_and_b32_e32 v4, 1, v6
	v_cndmask_b32_e32 v3, v5, v3, vcc
	v_cmp_eq_u32_e32 vcc, 1, v4
	s_andn2_b64 s[0:1], s[0:1], exec
	s_and_b64 s[28:29], vcc, exec
	v_and_b32_e32 v1, 0xff, v6
	s_or_b64 s[0:1], s[0:1], s[28:29]
; %bb.144:
	s_or_b64 exec, exec, s[14:15]
	v_mov_b32_dpp v6, v1 row_bcast:15 row_mask:0xf bank_mask:0xf bound_ctrl:1
	v_and_b32_e32 v7, 1, v6
	v_mov_b32_dpp v4, v2 row_bcast:15 row_mask:0xf bank_mask:0xf bound_ctrl:1
	v_mov_b32_dpp v5, v3 row_bcast:15 row_mask:0xf bank_mask:0xf bound_ctrl:1
	v_cmp_eq_u32_e32 vcc, 1, v7
	s_and_saveexec_b64 s[14:15], vcc
; %bb.145:
	v_cmp_lt_i64_e32 vcc, v[2:3], v[4:5]
	v_cndmask_b32_e64 v6, v6, 1, s[0:1]
	s_and_b64 vcc, s[0:1], vcc
	v_cndmask_b32_e32 v2, v4, v2, vcc
	v_and_b32_e32 v4, 1, v6
	v_cndmask_b32_e32 v3, v5, v3, vcc
	v_cmp_eq_u32_e32 vcc, 1, v4
	s_andn2_b64 s[0:1], s[0:1], exec
	s_and_b64 s[28:29], vcc, exec
	v_and_b32_e32 v1, 0xff, v6
	s_or_b64 s[0:1], s[0:1], s[28:29]
; %bb.146:
	s_or_b64 exec, exec, s[14:15]
	v_mov_b32_dpp v6, v1 row_bcast:31 row_mask:0xf bank_mask:0xf bound_ctrl:1
	v_and_b32_e32 v7, 1, v6
	v_mov_b32_dpp v4, v2 row_bcast:31 row_mask:0xf bank_mask:0xf bound_ctrl:1
	v_mov_b32_dpp v5, v3 row_bcast:31 row_mask:0xf bank_mask:0xf bound_ctrl:1
	v_cmp_eq_u32_e32 vcc, 1, v7
	s_and_saveexec_b64 s[14:15], vcc
; %bb.147:
	v_cmp_lt_i64_e32 vcc, v[2:3], v[4:5]
	v_and_b32_e32 v1, 0xff, v6
	s_and_b64 vcc, s[0:1], vcc
	v_cndmask_b32_e32 v2, v4, v2, vcc
	v_cndmask_b32_e32 v3, v5, v3, vcc
	v_cndmask_b32_e64 v1, v1, 1, s[0:1]
; %bb.148:
	s_or_b64 exec, exec, s[14:15]
	v_mbcnt_lo_u32_b32 v4, -1, 0
	v_mbcnt_hi_u32_b32 v4, -1, v4
	v_bfrev_b32_e32 v5, 0.5
	v_lshl_or_b32 v5, v4, 2, v5
	ds_bpermute_b32 v6, v5, v1
	ds_bpermute_b32 v2, v5, v2
	;; [unrolled: 1-line block ×3, first 2 shown]
	v_cmp_eq_u32_e32 vcc, 0, v4
	s_and_saveexec_b64 s[0:1], vcc
	s_cbranch_execz .LBB48_150
; %bb.149:
	v_lshrrev_b32_e32 v1, 2, v0
	v_and_b32_e32 v1, 48, v1
	s_waitcnt lgkmcnt(2)
	ds_write_b8 v1, v6 offset:64
	s_waitcnt lgkmcnt(1)
	ds_write_b64 v1, v[2:3] offset:72
.LBB48_150:
	s_or_b64 exec, exec, s[0:1]
	v_cmp_gt_u32_e32 vcc, 64, v0
	s_waitcnt lgkmcnt(0)
	s_barrier
	s_and_saveexec_b64 s[14:15], vcc
	s_cbranch_execz .LBB48_152
; %bb.151:
	v_and_b32_e32 v1, 3, v4
	v_lshlrev_b32_e32 v2, 4, v1
	ds_read_u8 v5, v2 offset:64
	ds_read_b64 v[2:3], v2 offset:72
	v_cmp_ne_u32_e32 vcc, 3, v1
	v_addc_co_u32_e32 v6, vcc, 0, v4, vcc
	s_waitcnt lgkmcnt(1)
	v_and_b32_e32 v7, 0xff, v5
	v_lshlrev_b32_e32 v8, 2, v6
	ds_bpermute_b32 v9, v8, v7
	s_waitcnt lgkmcnt(1)
	ds_bpermute_b32 v6, v8, v2
	ds_bpermute_b32 v7, v8, v3
	v_and_b32_e32 v8, 1, v5
	s_waitcnt lgkmcnt(2)
	v_and_b32_e32 v10, 1, v9
	v_cmp_eq_u32_e64 s[0:1], 1, v10
	s_waitcnt lgkmcnt(0)
	v_cmp_lt_i64_e32 vcc, v[6:7], v[2:3]
	s_and_b64 vcc, s[0:1], vcc
	v_cndmask_b32_e64 v5, v5, 1, s[0:1]
	v_cndmask_b32_e32 v2, v2, v6, vcc
	v_cndmask_b32_e32 v3, v3, v7, vcc
	v_cmp_eq_u32_e32 vcc, 1, v8
	v_cndmask_b32_e32 v8, v9, v5, vcc
	v_cndmask_b32_e32 v3, v7, v3, vcc
	v_cndmask_b32_e32 v2, v6, v2, vcc
	v_cmp_gt_u32_e32 vcc, 2, v1
	v_cndmask_b32_e64 v1, 0, 1, vcc
	v_lshlrev_b32_e32 v1, 1, v1
	v_and_b32_e32 v5, 0xff, v8
	v_add_lshl_u32 v1, v1, v4, 2
	ds_bpermute_b32 v6, v1, v5
	ds_bpermute_b32 v4, v1, v2
	;; [unrolled: 1-line block ×3, first 2 shown]
	v_and_b32_e32 v1, 1, v8
	s_waitcnt lgkmcnt(2)
	v_and_b32_e32 v7, 1, v6
	v_cmp_eq_u32_e64 s[0:1], 1, v7
	s_waitcnt lgkmcnt(0)
	v_cmp_lt_i64_e32 vcc, v[4:5], v[2:3]
	s_and_b64 vcc, s[0:1], vcc
	v_cndmask_b32_e64 v7, v8, 1, s[0:1]
	v_cndmask_b32_e32 v2, v2, v4, vcc
	v_cndmask_b32_e32 v3, v3, v5, vcc
	v_cmp_eq_u32_e32 vcc, 1, v1
	v_cndmask_b32_e32 v1, v6, v7, vcc
	v_cndmask_b32_e32 v3, v5, v3, vcc
	;; [unrolled: 1-line block ×3, first 2 shown]
	v_and_b32_e32 v6, 0xff, v1
.LBB48_152:
	s_or_b64 exec, exec, s[14:15]
	s_branch .LBB48_183
.LBB48_153:
                                        ; implicit-def: $vgpr4_vgpr5
                                        ; implicit-def: $vgpr1
	s_cbranch_execnz .LBB48_188
	s_branch .LBB48_208
.LBB48_154:
                                        ; implicit-def: $vgpr4_vgpr5
                                        ; implicit-def: $vgpr1
	s_branch .LBB48_208
.LBB48_155:
                                        ; implicit-def: $vgpr2_vgpr3
                                        ; implicit-def: $vgpr6
	s_cbranch_execz .LBB48_183
; %bb.156:
	s_sub_i32 s14, s22, s12
	s_waitcnt lgkmcnt(0)
	v_pk_mov_b32 v[4:5], 0, 0
	v_cmp_gt_u32_e32 vcc, s14, v0
	v_mov_b32_e32 v1, 0
	v_pk_mov_b32 v[2:3], v[4:5], v[4:5] op_sel:[0,1]
	v_mov_b32_e32 v7, 0
	s_and_saveexec_b64 s[0:1], vcc
	s_cbranch_execz .LBB48_158
; %bb.157:
	v_lshlrev_b32_e32 v2, 3, v0
	global_load_dwordx2 v[6:7], v2, s[2:3]
	global_load_dwordx2 v[8:9], v2, s[8:9]
	v_mov_b32_e32 v3, s17
	v_add_co_u32_e32 v2, vcc, s16, v0
	v_addc_co_u32_e32 v3, vcc, 0, v3, vcc
	s_waitcnt vmcnt(0)
	v_cmp_neq_f64_e32 vcc, v[6:7], v[8:9]
	v_cndmask_b32_e64 v7, 0, 1, vcc
.LBB48_158:
	s_or_b64 exec, exec, s[0:1]
	v_or_b32_e32 v6, 0x100, v0
	v_cmp_gt_u32_e32 vcc, s14, v6
	s_and_saveexec_b64 s[12:13], vcc
	s_cbranch_execz .LBB48_160
; %bb.159:
	v_lshlrev_b32_e32 v1, 3, v0
	global_load_dwordx2 v[8:9], v1, s[2:3] offset:2048
	global_load_dwordx2 v[10:11], v1, s[8:9] offset:2048
	v_mov_b32_e32 v1, s17
	v_add_co_u32_e64 v4, s[0:1], s16, v6
	v_addc_co_u32_e64 v5, s[0:1], 0, v1, s[0:1]
	s_waitcnt vmcnt(0)
	v_cmp_neq_f64_e64 s[0:1], v[8:9], v[10:11]
	v_cndmask_b32_e64 v1, 0, 1, s[0:1]
.LBB48_160:
	s_or_b64 exec, exec, s[12:13]
	s_and_saveexec_b64 s[2:3], vcc
	s_cbranch_execz .LBB48_162
; %bb.161:
	v_and_b32_e32 v8, 1, v1
	v_cmp_lt_i64_e32 vcc, v[4:5], v[2:3]
	v_cmp_eq_u32_e64 s[0:1], 1, v8
	v_and_b32_e32 v6, 1, v7
	s_and_b64 vcc, s[0:1], vcc
	v_cndmask_b32_e64 v7, v7, 1, s[0:1]
	v_cndmask_b32_e32 v2, v2, v4, vcc
	v_cndmask_b32_e32 v3, v3, v5, vcc
	v_cmp_eq_u32_e32 vcc, 1, v6
	v_cndmask_b32_e32 v7, v1, v7, vcc
	v_cndmask_b32_e32 v3, v5, v3, vcc
	;; [unrolled: 1-line block ×3, first 2 shown]
.LBB48_162:
	s_or_b64 exec, exec, s[2:3]
	v_mbcnt_lo_u32_b32 v1, -1, 0
	v_mbcnt_hi_u32_b32 v1, -1, v1
	v_and_b32_e32 v8, 63, v1
	v_cmp_ne_u32_e32 vcc, 63, v8
	v_addc_co_u32_e32 v4, vcc, 0, v1, vcc
	v_and_b32_e32 v6, 0xffff, v7
	v_lshlrev_b32_e32 v5, 2, v4
	ds_bpermute_b32 v10, v5, v6
	ds_bpermute_b32 v4, v5, v2
	;; [unrolled: 1-line block ×3, first 2 shown]
	s_min_u32 s8, s14, 0x100
	v_and_b32_e32 v9, 0xc0, v0
	v_sub_u32_e64 v9, s8, v9 clamp
	v_add_u32_e32 v11, 1, v8
	v_cmp_lt_u32_e32 vcc, v11, v9
	s_and_saveexec_b64 s[2:3], vcc
	s_cbranch_execz .LBB48_164
; %bb.163:
	s_waitcnt lgkmcnt(2)
	v_and_b32_e32 v11, 1, v10
	s_waitcnt lgkmcnt(0)
	v_cmp_lt_i64_e32 vcc, v[4:5], v[2:3]
	v_cmp_eq_u32_e64 s[0:1], 1, v11
	v_and_b32_e32 v6, 1, v7
	s_and_b64 vcc, s[0:1], vcc
	v_cndmask_b32_e64 v7, v7, 1, s[0:1]
	v_cndmask_b32_e32 v2, v2, v4, vcc
	v_cndmask_b32_e32 v3, v3, v5, vcc
	v_cmp_eq_u32_e32 vcc, 1, v6
	v_cndmask_b32_e32 v7, v10, v7, vcc
	v_cndmask_b32_e32 v3, v5, v3, vcc
	v_cndmask_b32_e32 v2, v4, v2, vcc
	v_and_b32_e32 v6, 0xff, v7
.LBB48_164:
	s_or_b64 exec, exec, s[2:3]
	v_cmp_gt_u32_e32 vcc, 62, v8
	s_waitcnt lgkmcnt(1)
	v_cndmask_b32_e64 v4, 0, 1, vcc
	v_lshlrev_b32_e32 v4, 1, v4
	s_waitcnt lgkmcnt(0)
	v_add_lshl_u32 v5, v4, v1, 2
	ds_bpermute_b32 v10, v5, v6
	ds_bpermute_b32 v4, v5, v2
	ds_bpermute_b32 v5, v5, v3
	v_add_u32_e32 v11, 2, v8
	v_cmp_lt_u32_e32 vcc, v11, v9
	s_and_saveexec_b64 s[2:3], vcc
	s_cbranch_execz .LBB48_166
; %bb.165:
	s_waitcnt lgkmcnt(2)
	v_and_b32_e32 v11, 1, v10
	s_waitcnt lgkmcnt(0)
	v_cmp_lt_i64_e32 vcc, v[4:5], v[2:3]
	v_cmp_eq_u32_e64 s[0:1], 1, v11
	v_and_b32_e32 v6, 1, v7
	s_and_b64 vcc, s[0:1], vcc
	v_cndmask_b32_e64 v7, v7, 1, s[0:1]
	v_cndmask_b32_e32 v2, v2, v4, vcc
	v_cndmask_b32_e32 v3, v3, v5, vcc
	v_cmp_eq_u32_e32 vcc, 1, v6
	v_cndmask_b32_e32 v7, v10, v7, vcc
	v_cndmask_b32_e32 v3, v5, v3, vcc
	v_cndmask_b32_e32 v2, v4, v2, vcc
	v_and_b32_e32 v6, 0xff, v7
.LBB48_166:
	s_or_b64 exec, exec, s[2:3]
	v_cmp_gt_u32_e32 vcc, 60, v8
	s_waitcnt lgkmcnt(1)
	v_cndmask_b32_e64 v4, 0, 1, vcc
	v_lshlrev_b32_e32 v4, 2, v4
	s_waitcnt lgkmcnt(0)
	v_add_lshl_u32 v5, v4, v1, 2
	ds_bpermute_b32 v10, v5, v6
	ds_bpermute_b32 v4, v5, v2
	ds_bpermute_b32 v5, v5, v3
	;; [unrolled: 31-line block ×5, first 2 shown]
	v_add_u32_e32 v8, 32, v8
	v_cmp_lt_u32_e32 vcc, v8, v9
	s_and_saveexec_b64 s[2:3], vcc
	s_cbranch_execz .LBB48_174
; %bb.173:
	s_waitcnt lgkmcnt(2)
	v_and_b32_e32 v8, 1, v10
	s_waitcnt lgkmcnt(0)
	v_cmp_lt_i64_e32 vcc, v[4:5], v[2:3]
	v_cmp_eq_u32_e64 s[0:1], 1, v8
	v_and_b32_e32 v6, 1, v7
	s_and_b64 vcc, s[0:1], vcc
	v_cndmask_b32_e64 v7, v7, 1, s[0:1]
	v_cndmask_b32_e32 v2, v2, v4, vcc
	v_cndmask_b32_e32 v3, v3, v5, vcc
	v_cmp_eq_u32_e32 vcc, 1, v6
	v_cndmask_b32_e32 v7, v10, v7, vcc
	v_cndmask_b32_e32 v3, v5, v3, vcc
	;; [unrolled: 1-line block ×3, first 2 shown]
	v_and_b32_e32 v6, 0xff, v7
.LBB48_174:
	s_or_b64 exec, exec, s[2:3]
	v_cmp_eq_u32_e32 vcc, 0, v1
	s_and_saveexec_b64 s[0:1], vcc
	s_cbranch_execz .LBB48_176
; %bb.175:
	s_waitcnt lgkmcnt(1)
	v_lshrrev_b32_e32 v4, 2, v0
	v_and_b32_e32 v4, 48, v4
	ds_write_b8 v4, v7 offset:256
	ds_write_b64 v4, v[2:3] offset:264
.LBB48_176:
	s_or_b64 exec, exec, s[0:1]
	v_cmp_gt_u32_e32 vcc, 4, v0
	s_waitcnt lgkmcnt(0)
	s_barrier
	s_and_saveexec_b64 s[2:3], vcc
	s_cbranch_execz .LBB48_182
; %bb.177:
	v_lshlrev_b32_e32 v2, 4, v1
	ds_read_u8 v7, v2 offset:256
	ds_read_b64 v[2:3], v2 offset:264
	v_and_b32_e32 v8, 3, v1
	v_cmp_ne_u32_e32 vcc, 3, v8
	v_addc_co_u32_e32 v4, vcc, 0, v1, vcc
	s_waitcnt lgkmcnt(1)
	v_and_b32_e32 v6, 0xff, v7
	v_lshlrev_b32_e32 v5, 2, v4
	ds_bpermute_b32 v9, v5, v6
	s_waitcnt lgkmcnt(1)
	ds_bpermute_b32 v4, v5, v2
	ds_bpermute_b32 v5, v5, v3
	s_add_i32 s8, s8, 63
	s_lshr_b32 s12, s8, 6
	v_add_u32_e32 v10, 1, v8
	v_cmp_gt_u32_e32 vcc, s12, v10
	s_and_saveexec_b64 s[8:9], vcc
	s_cbranch_execz .LBB48_179
; %bb.178:
	s_waitcnt lgkmcnt(2)
	v_and_b32_e32 v10, 1, v9
	s_waitcnt lgkmcnt(0)
	v_cmp_lt_i64_e32 vcc, v[4:5], v[2:3]
	v_cmp_eq_u32_e64 s[0:1], 1, v10
	v_and_b32_e32 v6, 1, v7
	s_and_b64 vcc, s[0:1], vcc
	v_cndmask_b32_e64 v7, v7, 1, s[0:1]
	v_cndmask_b32_e32 v2, v2, v4, vcc
	v_cndmask_b32_e32 v3, v3, v5, vcc
	v_cmp_eq_u32_e32 vcc, 1, v6
	v_cndmask_b32_e32 v7, v9, v7, vcc
	v_cndmask_b32_e32 v3, v5, v3, vcc
	;; [unrolled: 1-line block ×3, first 2 shown]
	v_and_b32_e32 v6, 0xff, v7
.LBB48_179:
	s_or_b64 exec, exec, s[8:9]
	v_cmp_gt_u32_e32 vcc, 2, v8
	s_waitcnt lgkmcnt(1)
	v_cndmask_b32_e64 v4, 0, 1, vcc
	v_lshlrev_b32_e32 v4, 1, v4
	s_waitcnt lgkmcnt(0)
	v_add_lshl_u32 v5, v4, v1, 2
	ds_bpermute_b32 v1, v5, v6
	ds_bpermute_b32 v4, v5, v2
	;; [unrolled: 1-line block ×3, first 2 shown]
	v_add_u32_e32 v8, 2, v8
	v_cmp_gt_u32_e32 vcc, s12, v8
	s_and_saveexec_b64 s[8:9], vcc
	s_cbranch_execz .LBB48_181
; %bb.180:
	s_waitcnt lgkmcnt(2)
	v_and_b32_e32 v8, 1, v1
	s_waitcnt lgkmcnt(0)
	v_cmp_lt_i64_e32 vcc, v[4:5], v[2:3]
	v_cmp_eq_u32_e64 s[0:1], 1, v8
	v_and_b32_e32 v6, 1, v7
	s_and_b64 vcc, s[0:1], vcc
	v_cndmask_b32_e64 v7, v7, 1, s[0:1]
	v_cndmask_b32_e32 v2, v2, v4, vcc
	v_cndmask_b32_e32 v3, v3, v5, vcc
	v_cmp_eq_u32_e32 vcc, 1, v6
	v_cndmask_b32_e32 v1, v1, v7, vcc
	v_cndmask_b32_e32 v3, v5, v3, vcc
	;; [unrolled: 1-line block ×3, first 2 shown]
	v_and_b32_e32 v6, 0xff, v1
.LBB48_181:
	s_or_b64 exec, exec, s[8:9]
.LBB48_182:
	s_or_b64 exec, exec, s[2:3]
.LBB48_183:
	v_cmp_eq_u32_e32 vcc, 0, v0
                                        ; implicit-def: $vgpr4_vgpr5
                                        ; implicit-def: $vgpr1
	s_and_saveexec_b64 s[0:1], vcc
	s_xor_b64 s[8:9], exec, s[0:1]
	s_cbranch_execz .LBB48_187
; %bb.184:
	s_cmp_eq_u64 s[22:23], 0
	s_waitcnt lgkmcnt(0)
	v_pk_mov_b32 v[4:5], s[18:19], s[18:19] op_sel:[0,1]
	v_mov_b32_e32 v1, s33
	s_cbranch_scc1 .LBB48_186
; %bb.185:
	v_and_b32_e32 v1, 1, v6
	s_bitcmp1_b32 s33, 0
	v_mov_b32_e32 v4, s33
	v_cmp_eq_u32_e32 vcc, 1, v1
	v_cmp_gt_i64_e64 s[2:3], s[18:19], v[2:3]
	v_cndmask_b32_e64 v1, v4, 1, vcc
	s_cselect_b64 s[0:1], -1, 0
	v_mov_b32_e32 v4, s18
	s_and_b64 vcc, vcc, s[2:3]
	v_mov_b32_e32 v5, s19
	v_cndmask_b32_e32 v4, v4, v2, vcc
	v_cndmask_b32_e32 v5, v5, v3, vcc
	v_cndmask_b32_e64 v1, v6, v1, s[0:1]
	v_cndmask_b32_e64 v5, v3, v5, s[0:1]
	;; [unrolled: 1-line block ×3, first 2 shown]
.LBB48_186:
	s_or_b64 s[10:11], s[10:11], exec
.LBB48_187:
	s_or_b64 exec, exec, s[8:9]
	s_branch .LBB48_208
.LBB48_188:
	s_cmp_eq_u32 s36, 1
	s_cbranch_scc0 .LBB48_207
; %bb.189:
	s_mov_b32 s3, 0
	s_lshl_b32 s2, s6, 8
	s_mov_b32 s7, s3
	s_lshr_b64 s[0:1], s[22:23], 8
	s_cmp_lg_u64 s[0:1], s[6:7]
	s_cbranch_scc0 .LBB48_211
; %bb.190:
	s_lshl_b64 s[0:1], s[2:3], 3
	s_add_u32 s8, s24, s0
	s_addc_u32 s9, s25, s1
	s_add_u32 s0, s26, s0
	s_waitcnt lgkmcnt(2)
	v_lshlrev_b32_e32 v1, 3, v0
	s_addc_u32 s1, s27, s1
	global_load_dwordx2 v[6:7], v1, s[8:9]
	global_load_dwordx2 v[8:9], v1, s[0:1]
	s_add_u32 s0, s20, s2
	s_addc_u32 s1, s21, 0
	v_mov_b32_e32 v1, s1
	v_add_co_u32_e32 v2, vcc, s0, v0
	v_addc_co_u32_e32 v3, vcc, 0, v1, vcc
	s_waitcnt lgkmcnt(1)
	v_mov_b32_dpp v4, v2 quad_perm:[1,0,3,2] row_mask:0xf bank_mask:0xf bound_ctrl:1
	s_waitcnt lgkmcnt(0)
	v_mov_b32_dpp v5, v3 quad_perm:[1,0,3,2] row_mask:0xf bank_mask:0xf bound_ctrl:1
	s_waitcnt vmcnt(0)
	v_cmp_neq_f64_e32 vcc, v[6:7], v[8:9]
	v_cndmask_b32_e64 v1, 0, 1, vcc
	v_cndmask_b32_e64 v6, 0, 1, vcc
	s_nop 0
	v_mov_b32_dpp v1, v1 quad_perm:[1,0,3,2] row_mask:0xf bank_mask:0xf bound_ctrl:1
	v_and_b32_e32 v7, 1, v1
	v_cmp_eq_u32_e64 s[0:1], 1, v7
	s_and_saveexec_b64 s[8:9], s[0:1]
; %bb.191:
	v_cmp_lt_i64_e64 s[0:1], v[2:3], v[4:5]
	v_cndmask_b32_e64 v6, v1, 1, vcc
	s_and_b64 vcc, vcc, s[0:1]
	v_cndmask_b32_e32 v3, v5, v3, vcc
	v_cndmask_b32_e32 v2, v4, v2, vcc
; %bb.192:
	s_or_b64 exec, exec, s[8:9]
	v_and_b32_e32 v1, 0xff, v6
	v_and_b32_e32 v6, 1, v6
	v_mov_b32_dpp v4, v2 quad_perm:[2,3,0,1] row_mask:0xf bank_mask:0xf bound_ctrl:1
	v_mov_b32_dpp v7, v1 quad_perm:[2,3,0,1] row_mask:0xf bank_mask:0xf bound_ctrl:1
	v_and_b32_e32 v8, 1, v7
	v_mov_b32_dpp v5, v3 quad_perm:[2,3,0,1] row_mask:0xf bank_mask:0xf bound_ctrl:1
	v_cmp_eq_u32_e32 vcc, 1, v8
	v_cmp_eq_u32_e64 s[0:1], 1, v6
	s_and_saveexec_b64 s[8:9], vcc
; %bb.193:
	v_cmp_lt_i64_e32 vcc, v[2:3], v[4:5]
	v_cndmask_b32_e64 v6, v7, 1, s[0:1]
	s_and_b64 vcc, s[0:1], vcc
	v_cndmask_b32_e32 v2, v4, v2, vcc
	v_and_b32_e32 v4, 1, v6
	v_cndmask_b32_e32 v3, v5, v3, vcc
	v_cmp_eq_u32_e32 vcc, 1, v4
	s_andn2_b64 s[0:1], s[0:1], exec
	s_and_b64 s[12:13], vcc, exec
	v_and_b32_e32 v1, 0xff, v6
	s_or_b64 s[0:1], s[0:1], s[12:13]
; %bb.194:
	s_or_b64 exec, exec, s[8:9]
	v_mov_b32_dpp v6, v1 row_ror:4 row_mask:0xf bank_mask:0xf bound_ctrl:1
	v_and_b32_e32 v7, 1, v6
	v_mov_b32_dpp v4, v2 row_ror:4 row_mask:0xf bank_mask:0xf bound_ctrl:1
	v_mov_b32_dpp v5, v3 row_ror:4 row_mask:0xf bank_mask:0xf bound_ctrl:1
	v_cmp_eq_u32_e32 vcc, 1, v7
	s_and_saveexec_b64 s[8:9], vcc
; %bb.195:
	v_cmp_lt_i64_e32 vcc, v[2:3], v[4:5]
	v_cndmask_b32_e64 v6, v6, 1, s[0:1]
	s_and_b64 vcc, s[0:1], vcc
	v_cndmask_b32_e32 v2, v4, v2, vcc
	v_and_b32_e32 v4, 1, v6
	v_cndmask_b32_e32 v3, v5, v3, vcc
	v_cmp_eq_u32_e32 vcc, 1, v4
	s_andn2_b64 s[0:1], s[0:1], exec
	s_and_b64 s[12:13], vcc, exec
	v_and_b32_e32 v1, 0xff, v6
	s_or_b64 s[0:1], s[0:1], s[12:13]
; %bb.196:
	s_or_b64 exec, exec, s[8:9]
	v_mov_b32_dpp v6, v1 row_ror:8 row_mask:0xf bank_mask:0xf bound_ctrl:1
	v_and_b32_e32 v7, 1, v6
	v_mov_b32_dpp v4, v2 row_ror:8 row_mask:0xf bank_mask:0xf bound_ctrl:1
	v_mov_b32_dpp v5, v3 row_ror:8 row_mask:0xf bank_mask:0xf bound_ctrl:1
	v_cmp_eq_u32_e32 vcc, 1, v7
	s_and_saveexec_b64 s[8:9], vcc
; %bb.197:
	v_cmp_lt_i64_e32 vcc, v[2:3], v[4:5]
	v_cndmask_b32_e64 v6, v6, 1, s[0:1]
	s_and_b64 vcc, s[0:1], vcc
	v_cndmask_b32_e32 v2, v4, v2, vcc
	v_and_b32_e32 v4, 1, v6
	v_cndmask_b32_e32 v3, v5, v3, vcc
	v_cmp_eq_u32_e32 vcc, 1, v4
	s_andn2_b64 s[0:1], s[0:1], exec
	s_and_b64 s[12:13], vcc, exec
	v_and_b32_e32 v1, 0xff, v6
	s_or_b64 s[0:1], s[0:1], s[12:13]
; %bb.198:
	s_or_b64 exec, exec, s[8:9]
	v_mov_b32_dpp v6, v1 row_bcast:15 row_mask:0xf bank_mask:0xf bound_ctrl:1
	v_and_b32_e32 v7, 1, v6
	v_mov_b32_dpp v4, v2 row_bcast:15 row_mask:0xf bank_mask:0xf bound_ctrl:1
	v_mov_b32_dpp v5, v3 row_bcast:15 row_mask:0xf bank_mask:0xf bound_ctrl:1
	v_cmp_eq_u32_e32 vcc, 1, v7
	s_and_saveexec_b64 s[8:9], vcc
; %bb.199:
	v_cmp_lt_i64_e32 vcc, v[2:3], v[4:5]
	v_cndmask_b32_e64 v6, v6, 1, s[0:1]
	s_and_b64 vcc, s[0:1], vcc
	v_cndmask_b32_e32 v2, v4, v2, vcc
	v_and_b32_e32 v4, 1, v6
	v_cndmask_b32_e32 v3, v5, v3, vcc
	v_cmp_eq_u32_e32 vcc, 1, v4
	s_andn2_b64 s[0:1], s[0:1], exec
	s_and_b64 s[12:13], vcc, exec
	v_and_b32_e32 v1, 0xff, v6
	s_or_b64 s[0:1], s[0:1], s[12:13]
; %bb.200:
	s_or_b64 exec, exec, s[8:9]
	v_mov_b32_dpp v6, v1 row_bcast:31 row_mask:0xf bank_mask:0xf bound_ctrl:1
	v_and_b32_e32 v7, 1, v6
	v_mov_b32_dpp v4, v2 row_bcast:31 row_mask:0xf bank_mask:0xf bound_ctrl:1
	v_mov_b32_dpp v5, v3 row_bcast:31 row_mask:0xf bank_mask:0xf bound_ctrl:1
	v_cmp_eq_u32_e32 vcc, 1, v7
	s_and_saveexec_b64 s[8:9], vcc
; %bb.201:
	v_cmp_lt_i64_e32 vcc, v[2:3], v[4:5]
	v_and_b32_e32 v1, 0xff, v6
	s_and_b64 vcc, s[0:1], vcc
	v_cndmask_b32_e32 v2, v4, v2, vcc
	v_cndmask_b32_e32 v3, v5, v3, vcc
	v_cndmask_b32_e64 v1, v1, 1, s[0:1]
; %bb.202:
	s_or_b64 exec, exec, s[8:9]
	v_mbcnt_lo_u32_b32 v4, -1, 0
	v_mbcnt_hi_u32_b32 v4, -1, v4
	v_bfrev_b32_e32 v5, 0.5
	v_lshl_or_b32 v5, v4, 2, v5
	ds_bpermute_b32 v6, v5, v1
	ds_bpermute_b32 v2, v5, v2
	;; [unrolled: 1-line block ×3, first 2 shown]
	v_cmp_eq_u32_e32 vcc, 0, v4
	s_and_saveexec_b64 s[0:1], vcc
	s_cbranch_execz .LBB48_204
; %bb.203:
	v_lshrrev_b32_e32 v1, 2, v0
	v_and_b32_e32 v1, 48, v1
	s_waitcnt lgkmcnt(2)
	ds_write_b8 v1, v6
	s_waitcnt lgkmcnt(1)
	ds_write_b64 v1, v[2:3] offset:8
.LBB48_204:
	s_or_b64 exec, exec, s[0:1]
	v_cmp_gt_u32_e32 vcc, 64, v0
	s_waitcnt lgkmcnt(0)
	s_barrier
	s_and_saveexec_b64 s[8:9], vcc
	s_cbranch_execz .LBB48_206
; %bb.205:
	v_and_b32_e32 v1, 3, v4
	v_lshlrev_b32_e32 v2, 4, v1
	ds_read_u8 v5, v2
	ds_read_b64 v[2:3], v2 offset:8
	v_cmp_ne_u32_e32 vcc, 3, v1
	v_addc_co_u32_e32 v6, vcc, 0, v4, vcc
	s_waitcnt lgkmcnt(1)
	v_and_b32_e32 v7, 0xff, v5
	v_lshlrev_b32_e32 v8, 2, v6
	ds_bpermute_b32 v9, v8, v7
	s_waitcnt lgkmcnt(1)
	ds_bpermute_b32 v6, v8, v2
	ds_bpermute_b32 v7, v8, v3
	v_and_b32_e32 v8, 1, v5
	s_waitcnt lgkmcnt(2)
	v_and_b32_e32 v10, 1, v9
	v_cmp_eq_u32_e64 s[0:1], 1, v10
	s_waitcnt lgkmcnt(0)
	v_cmp_lt_i64_e32 vcc, v[6:7], v[2:3]
	s_and_b64 vcc, s[0:1], vcc
	v_cndmask_b32_e64 v5, v5, 1, s[0:1]
	v_cndmask_b32_e32 v2, v2, v6, vcc
	v_cndmask_b32_e32 v3, v3, v7, vcc
	v_cmp_eq_u32_e32 vcc, 1, v8
	v_cndmask_b32_e32 v8, v9, v5, vcc
	v_cndmask_b32_e32 v3, v7, v3, vcc
	;; [unrolled: 1-line block ×3, first 2 shown]
	v_cmp_gt_u32_e32 vcc, 2, v1
	v_cndmask_b32_e64 v1, 0, 1, vcc
	v_lshlrev_b32_e32 v1, 1, v1
	v_and_b32_e32 v5, 0xff, v8
	v_add_lshl_u32 v1, v1, v4, 2
	ds_bpermute_b32 v6, v1, v5
	ds_bpermute_b32 v4, v1, v2
	;; [unrolled: 1-line block ×3, first 2 shown]
	v_and_b32_e32 v1, 1, v8
	s_waitcnt lgkmcnt(2)
	v_and_b32_e32 v7, 1, v6
	v_cmp_eq_u32_e64 s[0:1], 1, v7
	s_waitcnt lgkmcnt(0)
	v_cmp_lt_i64_e32 vcc, v[4:5], v[2:3]
	s_and_b64 vcc, s[0:1], vcc
	v_cndmask_b32_e64 v7, v8, 1, s[0:1]
	v_cndmask_b32_e32 v2, v2, v4, vcc
	v_cndmask_b32_e32 v3, v3, v5, vcc
	v_cmp_eq_u32_e32 vcc, 1, v1
	v_cndmask_b32_e32 v1, v6, v7, vcc
	v_cndmask_b32_e32 v3, v5, v3, vcc
	;; [unrolled: 1-line block ×3, first 2 shown]
	v_and_b32_e32 v6, 0xff, v1
.LBB48_206:
	s_or_b64 exec, exec, s[8:9]
	s_branch .LBB48_235
.LBB48_207:
                                        ; implicit-def: $vgpr4_vgpr5
                                        ; implicit-def: $vgpr1
                                        ; implicit-def: $sgpr6_sgpr7
.LBB48_208:
	s_and_saveexec_b64 s[0:1], s[10:11]
	s_cbranch_execz .LBB48_210
.LBB48_209:
	s_load_dwordx2 s[0:1], s[4:5], 0x38
	s_lshl_b64 s[2:3], s[6:7], 4
	v_mov_b32_e32 v0, 0
	s_waitcnt lgkmcnt(0)
	s_add_u32 s0, s0, s2
	s_addc_u32 s1, s1, s3
	global_store_byte v0, v1, s[0:1]
	global_store_dwordx2 v0, v[4:5], s[0:1] offset:8
.LBB48_210:
	s_endpgm
.LBB48_211:
                                        ; implicit-def: $vgpr2_vgpr3
                                        ; implicit-def: $vgpr6
	s_cbranch_execz .LBB48_235
; %bb.212:
	s_sub_i32 s8, s22, s2
	v_cmp_gt_u32_e32 vcc, s8, v0
	v_pk_mov_b32 v[2:3], 0, 0
	v_mov_b32_e32 v7, 0
	s_and_saveexec_b64 s[0:1], vcc
	s_cbranch_execz .LBB48_214
; %bb.213:
	s_lshl_b64 s[12:13], s[2:3], 3
	s_add_u32 s14, s26, s12
	s_addc_u32 s15, s27, s13
	s_add_u32 s12, s24, s12
	s_addc_u32 s13, s25, s13
	s_waitcnt lgkmcnt(2)
	v_lshlrev_b32_e32 v1, 3, v0
	s_waitcnt lgkmcnt(0)
	global_load_dwordx2 v[4:5], v1, s[12:13]
	global_load_dwordx2 v[6:7], v1, s[14:15]
	s_add_u32 s2, s20, s2
	s_addc_u32 s3, s21, 0
	v_mov_b32_e32 v1, s3
	v_add_co_u32_e32 v2, vcc, s2, v0
	v_addc_co_u32_e32 v3, vcc, 0, v1, vcc
	s_waitcnt vmcnt(0)
	v_cmp_neq_f64_e32 vcc, v[4:5], v[6:7]
	v_cndmask_b32_e64 v7, 0, 1, vcc
.LBB48_214:
	s_or_b64 exec, exec, s[0:1]
	s_waitcnt lgkmcnt(2)
	v_mbcnt_lo_u32_b32 v1, -1, 0
	v_mbcnt_hi_u32_b32 v1, -1, v1
	v_and_b32_e32 v8, 63, v1
	v_cmp_ne_u32_e32 vcc, 63, v8
	s_waitcnt lgkmcnt(1)
	v_addc_co_u32_e32 v4, vcc, 0, v1, vcc
	v_and_b32_e32 v6, 0xffff, v7
	s_waitcnt lgkmcnt(0)
	v_lshlrev_b32_e32 v5, 2, v4
	ds_bpermute_b32 v10, v5, v6
	ds_bpermute_b32 v4, v5, v2
	;; [unrolled: 1-line block ×3, first 2 shown]
	s_min_u32 s8, s8, 0x100
	v_and_b32_e32 v9, 0xc0, v0
	v_sub_u32_e64 v9, s8, v9 clamp
	v_add_u32_e32 v11, 1, v8
	v_cmp_lt_u32_e32 vcc, v11, v9
	s_and_saveexec_b64 s[2:3], vcc
	s_cbranch_execz .LBB48_216
; %bb.215:
	s_waitcnt lgkmcnt(2)
	v_and_b32_e32 v11, 1, v10
	s_waitcnt lgkmcnt(0)
	v_cmp_lt_i64_e32 vcc, v[4:5], v[2:3]
	v_cmp_eq_u32_e64 s[0:1], 1, v11
	v_and_b32_e32 v6, 1, v7
	s_and_b64 vcc, s[0:1], vcc
	v_cndmask_b32_e64 v7, v7, 1, s[0:1]
	v_cndmask_b32_e32 v2, v2, v4, vcc
	v_cndmask_b32_e32 v3, v3, v5, vcc
	v_cmp_eq_u32_e32 vcc, 1, v6
	v_cndmask_b32_e32 v7, v10, v7, vcc
	v_cndmask_b32_e32 v3, v5, v3, vcc
	v_cndmask_b32_e32 v2, v4, v2, vcc
	v_and_b32_e32 v6, 0xff, v7
.LBB48_216:
	s_or_b64 exec, exec, s[2:3]
	v_cmp_gt_u32_e32 vcc, 62, v8
	s_waitcnt lgkmcnt(1)
	v_cndmask_b32_e64 v4, 0, 1, vcc
	v_lshlrev_b32_e32 v4, 1, v4
	s_waitcnt lgkmcnt(0)
	v_add_lshl_u32 v5, v4, v1, 2
	ds_bpermute_b32 v10, v5, v6
	ds_bpermute_b32 v4, v5, v2
	ds_bpermute_b32 v5, v5, v3
	v_add_u32_e32 v11, 2, v8
	v_cmp_lt_u32_e32 vcc, v11, v9
	s_and_saveexec_b64 s[2:3], vcc
	s_cbranch_execz .LBB48_218
; %bb.217:
	s_waitcnt lgkmcnt(2)
	v_and_b32_e32 v11, 1, v10
	s_waitcnt lgkmcnt(0)
	v_cmp_lt_i64_e32 vcc, v[4:5], v[2:3]
	v_cmp_eq_u32_e64 s[0:1], 1, v11
	v_and_b32_e32 v6, 1, v7
	s_and_b64 vcc, s[0:1], vcc
	v_cndmask_b32_e64 v7, v7, 1, s[0:1]
	v_cndmask_b32_e32 v2, v2, v4, vcc
	v_cndmask_b32_e32 v3, v3, v5, vcc
	v_cmp_eq_u32_e32 vcc, 1, v6
	v_cndmask_b32_e32 v7, v10, v7, vcc
	v_cndmask_b32_e32 v3, v5, v3, vcc
	v_cndmask_b32_e32 v2, v4, v2, vcc
	v_and_b32_e32 v6, 0xff, v7
.LBB48_218:
	s_or_b64 exec, exec, s[2:3]
	v_cmp_gt_u32_e32 vcc, 60, v8
	s_waitcnt lgkmcnt(1)
	v_cndmask_b32_e64 v4, 0, 1, vcc
	v_lshlrev_b32_e32 v4, 2, v4
	s_waitcnt lgkmcnt(0)
	v_add_lshl_u32 v5, v4, v1, 2
	ds_bpermute_b32 v10, v5, v6
	ds_bpermute_b32 v4, v5, v2
	ds_bpermute_b32 v5, v5, v3
	;; [unrolled: 31-line block ×5, first 2 shown]
	v_add_u32_e32 v8, 32, v8
	v_cmp_lt_u32_e32 vcc, v8, v9
	s_and_saveexec_b64 s[2:3], vcc
	s_cbranch_execz .LBB48_226
; %bb.225:
	s_waitcnt lgkmcnt(2)
	v_and_b32_e32 v8, 1, v10
	s_waitcnt lgkmcnt(0)
	v_cmp_lt_i64_e32 vcc, v[4:5], v[2:3]
	v_cmp_eq_u32_e64 s[0:1], 1, v8
	v_and_b32_e32 v6, 1, v7
	s_and_b64 vcc, s[0:1], vcc
	v_cndmask_b32_e64 v7, v7, 1, s[0:1]
	v_cndmask_b32_e32 v2, v2, v4, vcc
	v_cndmask_b32_e32 v3, v3, v5, vcc
	v_cmp_eq_u32_e32 vcc, 1, v6
	v_cndmask_b32_e32 v7, v10, v7, vcc
	v_cndmask_b32_e32 v3, v5, v3, vcc
	;; [unrolled: 1-line block ×3, first 2 shown]
	v_and_b32_e32 v6, 0xff, v7
.LBB48_226:
	s_or_b64 exec, exec, s[2:3]
	v_cmp_eq_u32_e32 vcc, 0, v1
	s_and_saveexec_b64 s[0:1], vcc
	s_cbranch_execz .LBB48_228
; %bb.227:
	s_waitcnt lgkmcnt(1)
	v_lshrrev_b32_e32 v4, 2, v0
	v_and_b32_e32 v4, 48, v4
	ds_write_b8 v4, v7 offset:256
	ds_write_b64 v4, v[2:3] offset:264
.LBB48_228:
	s_or_b64 exec, exec, s[0:1]
	v_cmp_gt_u32_e32 vcc, 4, v0
	s_waitcnt lgkmcnt(0)
	s_barrier
	s_and_saveexec_b64 s[2:3], vcc
	s_cbranch_execz .LBB48_234
; %bb.229:
	v_lshlrev_b32_e32 v2, 4, v1
	ds_read_u8 v7, v2 offset:256
	ds_read_b64 v[2:3], v2 offset:264
	v_and_b32_e32 v8, 3, v1
	v_cmp_ne_u32_e32 vcc, 3, v8
	v_addc_co_u32_e32 v4, vcc, 0, v1, vcc
	s_waitcnt lgkmcnt(1)
	v_and_b32_e32 v6, 0xff, v7
	v_lshlrev_b32_e32 v5, 2, v4
	ds_bpermute_b32 v9, v5, v6
	s_waitcnt lgkmcnt(1)
	ds_bpermute_b32 v4, v5, v2
	ds_bpermute_b32 v5, v5, v3
	s_add_i32 s8, s8, 63
	s_lshr_b32 s12, s8, 6
	v_add_u32_e32 v10, 1, v8
	v_cmp_gt_u32_e32 vcc, s12, v10
	s_and_saveexec_b64 s[8:9], vcc
	s_cbranch_execz .LBB48_231
; %bb.230:
	s_waitcnt lgkmcnt(2)
	v_and_b32_e32 v10, 1, v9
	s_waitcnt lgkmcnt(0)
	v_cmp_lt_i64_e32 vcc, v[4:5], v[2:3]
	v_cmp_eq_u32_e64 s[0:1], 1, v10
	v_and_b32_e32 v6, 1, v7
	s_and_b64 vcc, s[0:1], vcc
	v_cndmask_b32_e64 v7, v7, 1, s[0:1]
	v_cndmask_b32_e32 v2, v2, v4, vcc
	v_cndmask_b32_e32 v3, v3, v5, vcc
	v_cmp_eq_u32_e32 vcc, 1, v6
	v_cndmask_b32_e32 v7, v9, v7, vcc
	v_cndmask_b32_e32 v3, v5, v3, vcc
	v_cndmask_b32_e32 v2, v4, v2, vcc
	v_and_b32_e32 v6, 0xff, v7
.LBB48_231:
	s_or_b64 exec, exec, s[8:9]
	v_cmp_gt_u32_e32 vcc, 2, v8
	s_waitcnt lgkmcnt(1)
	v_cndmask_b32_e64 v4, 0, 1, vcc
	v_lshlrev_b32_e32 v4, 1, v4
	s_waitcnt lgkmcnt(0)
	v_add_lshl_u32 v5, v4, v1, 2
	ds_bpermute_b32 v1, v5, v6
	ds_bpermute_b32 v4, v5, v2
	;; [unrolled: 1-line block ×3, first 2 shown]
	v_add_u32_e32 v8, 2, v8
	v_cmp_gt_u32_e32 vcc, s12, v8
	s_and_saveexec_b64 s[8:9], vcc
	s_cbranch_execz .LBB48_233
; %bb.232:
	s_waitcnt lgkmcnt(2)
	v_and_b32_e32 v8, 1, v1
	s_waitcnt lgkmcnt(0)
	v_cmp_lt_i64_e32 vcc, v[4:5], v[2:3]
	v_cmp_eq_u32_e64 s[0:1], 1, v8
	v_and_b32_e32 v6, 1, v7
	s_and_b64 vcc, s[0:1], vcc
	v_cndmask_b32_e64 v7, v7, 1, s[0:1]
	v_cndmask_b32_e32 v2, v2, v4, vcc
	v_cndmask_b32_e32 v3, v3, v5, vcc
	v_cmp_eq_u32_e32 vcc, 1, v6
	v_cndmask_b32_e32 v1, v1, v7, vcc
	v_cndmask_b32_e32 v3, v5, v3, vcc
	;; [unrolled: 1-line block ×3, first 2 shown]
	v_and_b32_e32 v6, 0xff, v1
.LBB48_233:
	s_or_b64 exec, exec, s[8:9]
.LBB48_234:
	s_or_b64 exec, exec, s[2:3]
.LBB48_235:
	v_cmp_eq_u32_e32 vcc, 0, v0
                                        ; implicit-def: $vgpr4_vgpr5
                                        ; implicit-def: $vgpr1
	s_and_saveexec_b64 s[8:9], vcc
	s_cbranch_execz .LBB48_239
; %bb.236:
	s_cmp_eq_u64 s[22:23], 0
	s_waitcnt lgkmcnt(0)
	v_pk_mov_b32 v[4:5], s[18:19], s[18:19] op_sel:[0,1]
	v_mov_b32_e32 v1, s33
	s_cbranch_scc1 .LBB48_238
; %bb.237:
	v_and_b32_e32 v0, 1, v6
	s_bitcmp1_b32 s33, 0
	v_mov_b32_e32 v1, s33
	v_cmp_eq_u32_e32 vcc, 1, v0
	v_cmp_gt_i64_e64 s[2:3], s[18:19], v[2:3]
	v_cndmask_b32_e64 v0, v1, 1, vcc
	s_cselect_b64 s[0:1], -1, 0
	v_mov_b32_e32 v1, s18
	s_and_b64 vcc, vcc, s[2:3]
	v_cndmask_b32_e32 v4, v1, v2, vcc
	v_mov_b32_e32 v1, s19
	v_cndmask_b32_e32 v5, v1, v3, vcc
	v_cndmask_b32_e64 v1, v6, v0, s[0:1]
	v_cndmask_b32_e64 v5, v3, v5, s[0:1]
	;; [unrolled: 1-line block ×3, first 2 shown]
.LBB48_238:
	s_or_b64 s[10:11], s[10:11], exec
.LBB48_239:
	s_or_b64 exec, exec, s[8:9]
	s_and_saveexec_b64 s[0:1], s[10:11]
	s_cbranch_execnz .LBB48_209
	s_branch .LBB48_210
.LBB48_240:
	v_lshlrev_b32_e32 v10, 3, v25
	global_load_dwordx2 v[26:27], v10, s[16:17]
	global_load_dwordx2 v[28:29], v10, s[30:31]
	v_mov_b32_e32 v11, s38
	v_add_co_u32_e64 v10, s[16:17], s37, v25
	v_addc_co_u32_e64 v11, s[16:17], 0, v11, s[16:17]
	s_waitcnt vmcnt(0)
	v_cmp_neq_f64_e64 s[16:17], v[26:27], v[28:29]
	v_cndmask_b32_e64 v21, 0, 1, s[16:17]
	s_or_b64 exec, exec, s[34:35]
	s_and_saveexec_b64 s[30:31], s[8:9]
	s_cbranch_execz .LBB48_61
.LBB48_241:
	v_and_b32_e32 v26, 1, v18
	v_cmp_lt_i64_e64 s[8:9], v[4:5], v[2:3]
	v_cmp_eq_u32_e64 s[16:17], 1, v26
	v_and_b32_e32 v25, 1, v1
	s_and_b64 s[8:9], s[16:17], s[8:9]
	v_cndmask_b32_e64 v1, v1, 1, s[16:17]
	v_cndmask_b32_e64 v2, v2, v4, s[8:9]
	;; [unrolled: 1-line block ×3, first 2 shown]
	v_cmp_eq_u32_e64 s[8:9], 1, v25
	v_cndmask_b32_e64 v1, v18, v1, s[8:9]
	v_cndmask_b32_e64 v3, v5, v3, s[8:9]
	;; [unrolled: 1-line block ×3, first 2 shown]
	s_or_b64 exec, exec, s[30:31]
	s_and_saveexec_b64 s[16:17], vcc
	s_cbranch_execz .LBB48_62
.LBB48_242:
	v_and_b32_e32 v5, 1, v23
	v_cmp_lt_i64_e32 vcc, v[12:13], v[2:3]
	v_cmp_eq_u32_e64 s[8:9], 1, v5
	v_and_b32_e32 v4, 1, v1
	s_and_b64 vcc, s[8:9], vcc
	v_cndmask_b32_e64 v1, v1, 1, s[8:9]
	v_cndmask_b32_e32 v2, v2, v12, vcc
	v_cndmask_b32_e32 v3, v3, v13, vcc
	v_cmp_eq_u32_e32 vcc, 1, v4
	v_cndmask_b32_e32 v1, v23, v1, vcc
	v_cndmask_b32_e32 v3, v13, v3, vcc
	;; [unrolled: 1-line block ×3, first 2 shown]
	s_or_b64 exec, exec, s[16:17]
	s_and_saveexec_b64 s[16:17], s[10:11]
	s_cbranch_execz .LBB48_63
.LBB48_243:
	v_and_b32_e32 v5, 1, v19
	v_cmp_lt_i64_e32 vcc, v[6:7], v[2:3]
	v_cmp_eq_u32_e64 s[8:9], 1, v5
	v_and_b32_e32 v4, 1, v1
	s_and_b64 vcc, s[8:9], vcc
	v_cndmask_b32_e64 v1, v1, 1, s[8:9]
	v_cndmask_b32_e32 v2, v2, v6, vcc
	v_cndmask_b32_e32 v3, v3, v7, vcc
	v_cmp_eq_u32_e32 vcc, 1, v4
	v_cndmask_b32_e32 v1, v19, v1, vcc
	v_cndmask_b32_e32 v3, v7, v3, vcc
	v_cndmask_b32_e32 v2, v6, v2, vcc
	s_or_b64 exec, exec, s[16:17]
	s_and_saveexec_b64 s[8:9], s[0:1]
	s_cbranch_execz .LBB48_64
.LBB48_244:
	v_and_b32_e32 v5, 1, v24
	v_cmp_lt_i64_e32 vcc, v[14:15], v[2:3]
	v_cmp_eq_u32_e64 s[0:1], 1, v5
	v_and_b32_e32 v4, 1, v1
	s_and_b64 vcc, s[0:1], vcc
	v_cndmask_b32_e64 v1, v1, 1, s[0:1]
	v_cndmask_b32_e32 v2, v2, v14, vcc
	v_cndmask_b32_e32 v3, v3, v15, vcc
	v_cmp_eq_u32_e32 vcc, 1, v4
	v_cndmask_b32_e32 v1, v24, v1, vcc
	v_cndmask_b32_e32 v3, v15, v3, vcc
	;; [unrolled: 1-line block ×3, first 2 shown]
	s_or_b64 exec, exec, s[8:9]
	s_and_saveexec_b64 s[8:9], s[12:13]
	s_cbranch_execz .LBB48_65
.LBB48_245:
	v_and_b32_e32 v5, 1, v20
	v_cmp_lt_i64_e32 vcc, v[8:9], v[2:3]
	v_cmp_eq_u32_e64 s[0:1], 1, v5
	v_and_b32_e32 v4, 1, v1
	s_and_b64 vcc, s[0:1], vcc
	v_cndmask_b32_e64 v1, v1, 1, s[0:1]
	v_cndmask_b32_e32 v2, v2, v8, vcc
	v_cndmask_b32_e32 v3, v3, v9, vcc
	v_cmp_eq_u32_e32 vcc, 1, v4
	v_cndmask_b32_e32 v1, v20, v1, vcc
	v_cndmask_b32_e32 v3, v9, v3, vcc
	v_cndmask_b32_e32 v2, v8, v2, vcc
	s_or_b64 exec, exec, s[8:9]
	s_and_saveexec_b64 s[8:9], s[2:3]
	s_cbranch_execz .LBB48_66
.LBB48_246:
	v_and_b32_e32 v5, 1, v22
	v_cmp_lt_i64_e32 vcc, v[16:17], v[2:3]
	v_cmp_eq_u32_e64 s[0:1], 1, v5
	v_and_b32_e32 v4, 1, v1
	s_and_b64 vcc, s[0:1], vcc
	v_cndmask_b32_e64 v1, v1, 1, s[0:1]
	v_cndmask_b32_e32 v2, v2, v16, vcc
	v_cndmask_b32_e32 v3, v3, v17, vcc
	v_cmp_eq_u32_e32 vcc, 1, v4
	v_cndmask_b32_e32 v1, v22, v1, vcc
	v_cndmask_b32_e32 v3, v17, v3, vcc
	;; [unrolled: 1-line block ×3, first 2 shown]
	s_or_b64 exec, exec, s[8:9]
	s_and_saveexec_b64 s[2:3], s[14:15]
	s_cbranch_execnz .LBB48_67
	s_branch .LBB48_68
.LBB48_247:
	v_lshlrev_b32_e32 v6, 3, v13
	global_load_dwordx2 v[14:15], v6, s[8:9]
	global_load_dwordx2 v[16:17], v6, s[12:13]
	v_mov_b32_e32 v7, s17
	v_add_co_u32_e64 v6, s[8:9], s16, v13
	v_addc_co_u32_e64 v7, s[8:9], 0, v7, s[8:9]
	s_waitcnt vmcnt(0)
	v_cmp_neq_f64_e64 s[8:9], v[14:15], v[16:17]
	v_cndmask_b32_e64 v11, 0, 1, s[8:9]
	s_or_b64 exec, exec, s[14:15]
	s_and_saveexec_b64 s[12:13], s[0:1]
	s_cbranch_execz .LBB48_104
.LBB48_248:
	v_and_b32_e32 v14, 1, v1
	v_cmp_lt_i64_e64 s[0:1], v[4:5], v[2:3]
	v_cmp_eq_u32_e64 s[8:9], 1, v14
	v_and_b32_e32 v13, 1, v10
	s_and_b64 s[0:1], s[8:9], s[0:1]
	v_cndmask_b32_e64 v10, v10, 1, s[8:9]
	v_cndmask_b32_e64 v2, v2, v4, s[0:1]
	;; [unrolled: 1-line block ×3, first 2 shown]
	v_cmp_eq_u32_e64 s[0:1], 1, v13
	v_cndmask_b32_e64 v10, v1, v10, s[0:1]
	v_cndmask_b32_e64 v3, v5, v3, s[0:1]
	;; [unrolled: 1-line block ×3, first 2 shown]
	s_or_b64 exec, exec, s[12:13]
	s_and_saveexec_b64 s[8:9], vcc
	s_cbranch_execz .LBB48_105
.LBB48_249:
	v_and_b32_e32 v4, 1, v12
	v_cmp_lt_i64_e32 vcc, v[8:9], v[2:3]
	v_cmp_eq_u32_e64 s[0:1], 1, v4
	v_and_b32_e32 v1, 1, v10
	s_and_b64 vcc, s[0:1], vcc
	v_cndmask_b32_e64 v4, v10, 1, s[0:1]
	v_cndmask_b32_e32 v2, v2, v8, vcc
	v_cndmask_b32_e32 v3, v3, v9, vcc
	v_cmp_eq_u32_e32 vcc, 1, v1
	v_cndmask_b32_e32 v10, v12, v4, vcc
	v_cndmask_b32_e32 v3, v9, v3, vcc
	;; [unrolled: 1-line block ×3, first 2 shown]
	s_or_b64 exec, exec, s[8:9]
	s_and_saveexec_b64 s[8:9], s[2:3]
	s_cbranch_execnz .LBB48_106
	s_branch .LBB48_107
	.section	.rodata,"a",@progbits
	.p2align	6, 0x0
	.amdhsa_kernel _ZN7rocprim17ROCPRIM_400000_NS6detail17trampoline_kernelINS0_14default_configENS1_22reduce_config_selectorIN6thrust23THRUST_200600_302600_NS5tupleIblNS6_9null_typeES8_S8_S8_S8_S8_S8_S8_EEEEZNS1_11reduce_implILb1ES3_NS6_12zip_iteratorINS7_INS6_11hip_rocprim26transform_input_iterator_tIbNSD_35transform_pair_of_input_iterators_tIbNS6_6detail15normal_iteratorINS6_10device_ptrIKdEEEESL_NS6_8equal_toIdEEEENSG_9not_fun_tINSD_8identityEEEEENSD_19counting_iterator_tIlEES8_S8_S8_S8_S8_S8_S8_S8_EEEEPS9_S9_NSD_9__find_if7functorIS9_EEEE10hipError_tPvRmT1_T2_T3_mT4_P12ihipStream_tbEUlT_E1_NS1_11comp_targetILNS1_3genE4ELNS1_11target_archE910ELNS1_3gpuE8ELNS1_3repE0EEENS1_30default_config_static_selectorELNS0_4arch9wavefront6targetE1EEEvS14_
		.amdhsa_group_segment_fixed_size 320
		.amdhsa_private_segment_fixed_size 0
		.amdhsa_kernarg_size 88
		.amdhsa_user_sgpr_count 6
		.amdhsa_user_sgpr_private_segment_buffer 1
		.amdhsa_user_sgpr_dispatch_ptr 0
		.amdhsa_user_sgpr_queue_ptr 0
		.amdhsa_user_sgpr_kernarg_segment_ptr 1
		.amdhsa_user_sgpr_dispatch_id 0
		.amdhsa_user_sgpr_flat_scratch_init 0
		.amdhsa_user_sgpr_kernarg_preload_length 0
		.amdhsa_user_sgpr_kernarg_preload_offset 0
		.amdhsa_user_sgpr_private_segment_size 0
		.amdhsa_uses_dynamic_stack 0
		.amdhsa_system_sgpr_private_segment_wavefront_offset 0
		.amdhsa_system_sgpr_workgroup_id_x 1
		.amdhsa_system_sgpr_workgroup_id_y 0
		.amdhsa_system_sgpr_workgroup_id_z 0
		.amdhsa_system_sgpr_workgroup_info 0
		.amdhsa_system_vgpr_workitem_id 0
		.amdhsa_next_free_vgpr 44
		.amdhsa_next_free_sgpr 40
		.amdhsa_accum_offset 44
		.amdhsa_reserve_vcc 1
		.amdhsa_reserve_flat_scratch 0
		.amdhsa_float_round_mode_32 0
		.amdhsa_float_round_mode_16_64 0
		.amdhsa_float_denorm_mode_32 3
		.amdhsa_float_denorm_mode_16_64 3
		.amdhsa_dx10_clamp 1
		.amdhsa_ieee_mode 1
		.amdhsa_fp16_overflow 0
		.amdhsa_tg_split 0
		.amdhsa_exception_fp_ieee_invalid_op 0
		.amdhsa_exception_fp_denorm_src 0
		.amdhsa_exception_fp_ieee_div_zero 0
		.amdhsa_exception_fp_ieee_overflow 0
		.amdhsa_exception_fp_ieee_underflow 0
		.amdhsa_exception_fp_ieee_inexact 0
		.amdhsa_exception_int_div_zero 0
	.end_amdhsa_kernel
	.section	.text._ZN7rocprim17ROCPRIM_400000_NS6detail17trampoline_kernelINS0_14default_configENS1_22reduce_config_selectorIN6thrust23THRUST_200600_302600_NS5tupleIblNS6_9null_typeES8_S8_S8_S8_S8_S8_S8_EEEEZNS1_11reduce_implILb1ES3_NS6_12zip_iteratorINS7_INS6_11hip_rocprim26transform_input_iterator_tIbNSD_35transform_pair_of_input_iterators_tIbNS6_6detail15normal_iteratorINS6_10device_ptrIKdEEEESL_NS6_8equal_toIdEEEENSG_9not_fun_tINSD_8identityEEEEENSD_19counting_iterator_tIlEES8_S8_S8_S8_S8_S8_S8_S8_EEEEPS9_S9_NSD_9__find_if7functorIS9_EEEE10hipError_tPvRmT1_T2_T3_mT4_P12ihipStream_tbEUlT_E1_NS1_11comp_targetILNS1_3genE4ELNS1_11target_archE910ELNS1_3gpuE8ELNS1_3repE0EEENS1_30default_config_static_selectorELNS0_4arch9wavefront6targetE1EEEvS14_,"axG",@progbits,_ZN7rocprim17ROCPRIM_400000_NS6detail17trampoline_kernelINS0_14default_configENS1_22reduce_config_selectorIN6thrust23THRUST_200600_302600_NS5tupleIblNS6_9null_typeES8_S8_S8_S8_S8_S8_S8_EEEEZNS1_11reduce_implILb1ES3_NS6_12zip_iteratorINS7_INS6_11hip_rocprim26transform_input_iterator_tIbNSD_35transform_pair_of_input_iterators_tIbNS6_6detail15normal_iteratorINS6_10device_ptrIKdEEEESL_NS6_8equal_toIdEEEENSG_9not_fun_tINSD_8identityEEEEENSD_19counting_iterator_tIlEES8_S8_S8_S8_S8_S8_S8_S8_EEEEPS9_S9_NSD_9__find_if7functorIS9_EEEE10hipError_tPvRmT1_T2_T3_mT4_P12ihipStream_tbEUlT_E1_NS1_11comp_targetILNS1_3genE4ELNS1_11target_archE910ELNS1_3gpuE8ELNS1_3repE0EEENS1_30default_config_static_selectorELNS0_4arch9wavefront6targetE1EEEvS14_,comdat
.Lfunc_end48:
	.size	_ZN7rocprim17ROCPRIM_400000_NS6detail17trampoline_kernelINS0_14default_configENS1_22reduce_config_selectorIN6thrust23THRUST_200600_302600_NS5tupleIblNS6_9null_typeES8_S8_S8_S8_S8_S8_S8_EEEEZNS1_11reduce_implILb1ES3_NS6_12zip_iteratorINS7_INS6_11hip_rocprim26transform_input_iterator_tIbNSD_35transform_pair_of_input_iterators_tIbNS6_6detail15normal_iteratorINS6_10device_ptrIKdEEEESL_NS6_8equal_toIdEEEENSG_9not_fun_tINSD_8identityEEEEENSD_19counting_iterator_tIlEES8_S8_S8_S8_S8_S8_S8_S8_EEEEPS9_S9_NSD_9__find_if7functorIS9_EEEE10hipError_tPvRmT1_T2_T3_mT4_P12ihipStream_tbEUlT_E1_NS1_11comp_targetILNS1_3genE4ELNS1_11target_archE910ELNS1_3gpuE8ELNS1_3repE0EEENS1_30default_config_static_selectorELNS0_4arch9wavefront6targetE1EEEvS14_, .Lfunc_end48-_ZN7rocprim17ROCPRIM_400000_NS6detail17trampoline_kernelINS0_14default_configENS1_22reduce_config_selectorIN6thrust23THRUST_200600_302600_NS5tupleIblNS6_9null_typeES8_S8_S8_S8_S8_S8_S8_EEEEZNS1_11reduce_implILb1ES3_NS6_12zip_iteratorINS7_INS6_11hip_rocprim26transform_input_iterator_tIbNSD_35transform_pair_of_input_iterators_tIbNS6_6detail15normal_iteratorINS6_10device_ptrIKdEEEESL_NS6_8equal_toIdEEEENSG_9not_fun_tINSD_8identityEEEEENSD_19counting_iterator_tIlEES8_S8_S8_S8_S8_S8_S8_S8_EEEEPS9_S9_NSD_9__find_if7functorIS9_EEEE10hipError_tPvRmT1_T2_T3_mT4_P12ihipStream_tbEUlT_E1_NS1_11comp_targetILNS1_3genE4ELNS1_11target_archE910ELNS1_3gpuE8ELNS1_3repE0EEENS1_30default_config_static_selectorELNS0_4arch9wavefront6targetE1EEEvS14_
                                        ; -- End function
	.section	.AMDGPU.csdata,"",@progbits
; Kernel info:
; codeLenInByte = 13212
; NumSgprs: 44
; NumVgprs: 44
; NumAgprs: 0
; TotalNumVgprs: 44
; ScratchSize: 0
; MemoryBound: 0
; FloatMode: 240
; IeeeMode: 1
; LDSByteSize: 320 bytes/workgroup (compile time only)
; SGPRBlocks: 5
; VGPRBlocks: 5
; NumSGPRsForWavesPerEU: 44
; NumVGPRsForWavesPerEU: 44
; AccumOffset: 44
; Occupancy: 8
; WaveLimiterHint : 0
; COMPUTE_PGM_RSRC2:SCRATCH_EN: 0
; COMPUTE_PGM_RSRC2:USER_SGPR: 6
; COMPUTE_PGM_RSRC2:TRAP_HANDLER: 0
; COMPUTE_PGM_RSRC2:TGID_X_EN: 1
; COMPUTE_PGM_RSRC2:TGID_Y_EN: 0
; COMPUTE_PGM_RSRC2:TGID_Z_EN: 0
; COMPUTE_PGM_RSRC2:TIDIG_COMP_CNT: 0
; COMPUTE_PGM_RSRC3_GFX90A:ACCUM_OFFSET: 10
; COMPUTE_PGM_RSRC3_GFX90A:TG_SPLIT: 0
	.section	.text._ZN7rocprim17ROCPRIM_400000_NS6detail17trampoline_kernelINS0_14default_configENS1_22reduce_config_selectorIN6thrust23THRUST_200600_302600_NS5tupleIblNS6_9null_typeES8_S8_S8_S8_S8_S8_S8_EEEEZNS1_11reduce_implILb1ES3_NS6_12zip_iteratorINS7_INS6_11hip_rocprim26transform_input_iterator_tIbNSD_35transform_pair_of_input_iterators_tIbNS6_6detail15normal_iteratorINS6_10device_ptrIKdEEEESL_NS6_8equal_toIdEEEENSG_9not_fun_tINSD_8identityEEEEENSD_19counting_iterator_tIlEES8_S8_S8_S8_S8_S8_S8_S8_EEEEPS9_S9_NSD_9__find_if7functorIS9_EEEE10hipError_tPvRmT1_T2_T3_mT4_P12ihipStream_tbEUlT_E1_NS1_11comp_targetILNS1_3genE3ELNS1_11target_archE908ELNS1_3gpuE7ELNS1_3repE0EEENS1_30default_config_static_selectorELNS0_4arch9wavefront6targetE1EEEvS14_,"axG",@progbits,_ZN7rocprim17ROCPRIM_400000_NS6detail17trampoline_kernelINS0_14default_configENS1_22reduce_config_selectorIN6thrust23THRUST_200600_302600_NS5tupleIblNS6_9null_typeES8_S8_S8_S8_S8_S8_S8_EEEEZNS1_11reduce_implILb1ES3_NS6_12zip_iteratorINS7_INS6_11hip_rocprim26transform_input_iterator_tIbNSD_35transform_pair_of_input_iterators_tIbNS6_6detail15normal_iteratorINS6_10device_ptrIKdEEEESL_NS6_8equal_toIdEEEENSG_9not_fun_tINSD_8identityEEEEENSD_19counting_iterator_tIlEES8_S8_S8_S8_S8_S8_S8_S8_EEEEPS9_S9_NSD_9__find_if7functorIS9_EEEE10hipError_tPvRmT1_T2_T3_mT4_P12ihipStream_tbEUlT_E1_NS1_11comp_targetILNS1_3genE3ELNS1_11target_archE908ELNS1_3gpuE7ELNS1_3repE0EEENS1_30default_config_static_selectorELNS0_4arch9wavefront6targetE1EEEvS14_,comdat
	.protected	_ZN7rocprim17ROCPRIM_400000_NS6detail17trampoline_kernelINS0_14default_configENS1_22reduce_config_selectorIN6thrust23THRUST_200600_302600_NS5tupleIblNS6_9null_typeES8_S8_S8_S8_S8_S8_S8_EEEEZNS1_11reduce_implILb1ES3_NS6_12zip_iteratorINS7_INS6_11hip_rocprim26transform_input_iterator_tIbNSD_35transform_pair_of_input_iterators_tIbNS6_6detail15normal_iteratorINS6_10device_ptrIKdEEEESL_NS6_8equal_toIdEEEENSG_9not_fun_tINSD_8identityEEEEENSD_19counting_iterator_tIlEES8_S8_S8_S8_S8_S8_S8_S8_EEEEPS9_S9_NSD_9__find_if7functorIS9_EEEE10hipError_tPvRmT1_T2_T3_mT4_P12ihipStream_tbEUlT_E1_NS1_11comp_targetILNS1_3genE3ELNS1_11target_archE908ELNS1_3gpuE7ELNS1_3repE0EEENS1_30default_config_static_selectorELNS0_4arch9wavefront6targetE1EEEvS14_ ; -- Begin function _ZN7rocprim17ROCPRIM_400000_NS6detail17trampoline_kernelINS0_14default_configENS1_22reduce_config_selectorIN6thrust23THRUST_200600_302600_NS5tupleIblNS6_9null_typeES8_S8_S8_S8_S8_S8_S8_EEEEZNS1_11reduce_implILb1ES3_NS6_12zip_iteratorINS7_INS6_11hip_rocprim26transform_input_iterator_tIbNSD_35transform_pair_of_input_iterators_tIbNS6_6detail15normal_iteratorINS6_10device_ptrIKdEEEESL_NS6_8equal_toIdEEEENSG_9not_fun_tINSD_8identityEEEEENSD_19counting_iterator_tIlEES8_S8_S8_S8_S8_S8_S8_S8_EEEEPS9_S9_NSD_9__find_if7functorIS9_EEEE10hipError_tPvRmT1_T2_T3_mT4_P12ihipStream_tbEUlT_E1_NS1_11comp_targetILNS1_3genE3ELNS1_11target_archE908ELNS1_3gpuE7ELNS1_3repE0EEENS1_30default_config_static_selectorELNS0_4arch9wavefront6targetE1EEEvS14_
	.globl	_ZN7rocprim17ROCPRIM_400000_NS6detail17trampoline_kernelINS0_14default_configENS1_22reduce_config_selectorIN6thrust23THRUST_200600_302600_NS5tupleIblNS6_9null_typeES8_S8_S8_S8_S8_S8_S8_EEEEZNS1_11reduce_implILb1ES3_NS6_12zip_iteratorINS7_INS6_11hip_rocprim26transform_input_iterator_tIbNSD_35transform_pair_of_input_iterators_tIbNS6_6detail15normal_iteratorINS6_10device_ptrIKdEEEESL_NS6_8equal_toIdEEEENSG_9not_fun_tINSD_8identityEEEEENSD_19counting_iterator_tIlEES8_S8_S8_S8_S8_S8_S8_S8_EEEEPS9_S9_NSD_9__find_if7functorIS9_EEEE10hipError_tPvRmT1_T2_T3_mT4_P12ihipStream_tbEUlT_E1_NS1_11comp_targetILNS1_3genE3ELNS1_11target_archE908ELNS1_3gpuE7ELNS1_3repE0EEENS1_30default_config_static_selectorELNS0_4arch9wavefront6targetE1EEEvS14_
	.p2align	8
	.type	_ZN7rocprim17ROCPRIM_400000_NS6detail17trampoline_kernelINS0_14default_configENS1_22reduce_config_selectorIN6thrust23THRUST_200600_302600_NS5tupleIblNS6_9null_typeES8_S8_S8_S8_S8_S8_S8_EEEEZNS1_11reduce_implILb1ES3_NS6_12zip_iteratorINS7_INS6_11hip_rocprim26transform_input_iterator_tIbNSD_35transform_pair_of_input_iterators_tIbNS6_6detail15normal_iteratorINS6_10device_ptrIKdEEEESL_NS6_8equal_toIdEEEENSG_9not_fun_tINSD_8identityEEEEENSD_19counting_iterator_tIlEES8_S8_S8_S8_S8_S8_S8_S8_EEEEPS9_S9_NSD_9__find_if7functorIS9_EEEE10hipError_tPvRmT1_T2_T3_mT4_P12ihipStream_tbEUlT_E1_NS1_11comp_targetILNS1_3genE3ELNS1_11target_archE908ELNS1_3gpuE7ELNS1_3repE0EEENS1_30default_config_static_selectorELNS0_4arch9wavefront6targetE1EEEvS14_,@function
_ZN7rocprim17ROCPRIM_400000_NS6detail17trampoline_kernelINS0_14default_configENS1_22reduce_config_selectorIN6thrust23THRUST_200600_302600_NS5tupleIblNS6_9null_typeES8_S8_S8_S8_S8_S8_S8_EEEEZNS1_11reduce_implILb1ES3_NS6_12zip_iteratorINS7_INS6_11hip_rocprim26transform_input_iterator_tIbNSD_35transform_pair_of_input_iterators_tIbNS6_6detail15normal_iteratorINS6_10device_ptrIKdEEEESL_NS6_8equal_toIdEEEENSG_9not_fun_tINSD_8identityEEEEENSD_19counting_iterator_tIlEES8_S8_S8_S8_S8_S8_S8_S8_EEEEPS9_S9_NSD_9__find_if7functorIS9_EEEE10hipError_tPvRmT1_T2_T3_mT4_P12ihipStream_tbEUlT_E1_NS1_11comp_targetILNS1_3genE3ELNS1_11target_archE908ELNS1_3gpuE7ELNS1_3repE0EEENS1_30default_config_static_selectorELNS0_4arch9wavefront6targetE1EEEvS14_: ; @_ZN7rocprim17ROCPRIM_400000_NS6detail17trampoline_kernelINS0_14default_configENS1_22reduce_config_selectorIN6thrust23THRUST_200600_302600_NS5tupleIblNS6_9null_typeES8_S8_S8_S8_S8_S8_S8_EEEEZNS1_11reduce_implILb1ES3_NS6_12zip_iteratorINS7_INS6_11hip_rocprim26transform_input_iterator_tIbNSD_35transform_pair_of_input_iterators_tIbNS6_6detail15normal_iteratorINS6_10device_ptrIKdEEEESL_NS6_8equal_toIdEEEENSG_9not_fun_tINSD_8identityEEEEENSD_19counting_iterator_tIlEES8_S8_S8_S8_S8_S8_S8_S8_EEEEPS9_S9_NSD_9__find_if7functorIS9_EEEE10hipError_tPvRmT1_T2_T3_mT4_P12ihipStream_tbEUlT_E1_NS1_11comp_targetILNS1_3genE3ELNS1_11target_archE908ELNS1_3gpuE7ELNS1_3repE0EEENS1_30default_config_static_selectorELNS0_4arch9wavefront6targetE1EEEvS14_
; %bb.0:
	.section	.rodata,"a",@progbits
	.p2align	6, 0x0
	.amdhsa_kernel _ZN7rocprim17ROCPRIM_400000_NS6detail17trampoline_kernelINS0_14default_configENS1_22reduce_config_selectorIN6thrust23THRUST_200600_302600_NS5tupleIblNS6_9null_typeES8_S8_S8_S8_S8_S8_S8_EEEEZNS1_11reduce_implILb1ES3_NS6_12zip_iteratorINS7_INS6_11hip_rocprim26transform_input_iterator_tIbNSD_35transform_pair_of_input_iterators_tIbNS6_6detail15normal_iteratorINS6_10device_ptrIKdEEEESL_NS6_8equal_toIdEEEENSG_9not_fun_tINSD_8identityEEEEENSD_19counting_iterator_tIlEES8_S8_S8_S8_S8_S8_S8_S8_EEEEPS9_S9_NSD_9__find_if7functorIS9_EEEE10hipError_tPvRmT1_T2_T3_mT4_P12ihipStream_tbEUlT_E1_NS1_11comp_targetILNS1_3genE3ELNS1_11target_archE908ELNS1_3gpuE7ELNS1_3repE0EEENS1_30default_config_static_selectorELNS0_4arch9wavefront6targetE1EEEvS14_
		.amdhsa_group_segment_fixed_size 0
		.amdhsa_private_segment_fixed_size 0
		.amdhsa_kernarg_size 88
		.amdhsa_user_sgpr_count 6
		.amdhsa_user_sgpr_private_segment_buffer 1
		.amdhsa_user_sgpr_dispatch_ptr 0
		.amdhsa_user_sgpr_queue_ptr 0
		.amdhsa_user_sgpr_kernarg_segment_ptr 1
		.amdhsa_user_sgpr_dispatch_id 0
		.amdhsa_user_sgpr_flat_scratch_init 0
		.amdhsa_user_sgpr_kernarg_preload_length 0
		.amdhsa_user_sgpr_kernarg_preload_offset 0
		.amdhsa_user_sgpr_private_segment_size 0
		.amdhsa_uses_dynamic_stack 0
		.amdhsa_system_sgpr_private_segment_wavefront_offset 0
		.amdhsa_system_sgpr_workgroup_id_x 1
		.amdhsa_system_sgpr_workgroup_id_y 0
		.amdhsa_system_sgpr_workgroup_id_z 0
		.amdhsa_system_sgpr_workgroup_info 0
		.amdhsa_system_vgpr_workitem_id 0
		.amdhsa_next_free_vgpr 1
		.amdhsa_next_free_sgpr 0
		.amdhsa_accum_offset 4
		.amdhsa_reserve_vcc 0
		.amdhsa_reserve_flat_scratch 0
		.amdhsa_float_round_mode_32 0
		.amdhsa_float_round_mode_16_64 0
		.amdhsa_float_denorm_mode_32 3
		.amdhsa_float_denorm_mode_16_64 3
		.amdhsa_dx10_clamp 1
		.amdhsa_ieee_mode 1
		.amdhsa_fp16_overflow 0
		.amdhsa_tg_split 0
		.amdhsa_exception_fp_ieee_invalid_op 0
		.amdhsa_exception_fp_denorm_src 0
		.amdhsa_exception_fp_ieee_div_zero 0
		.amdhsa_exception_fp_ieee_overflow 0
		.amdhsa_exception_fp_ieee_underflow 0
		.amdhsa_exception_fp_ieee_inexact 0
		.amdhsa_exception_int_div_zero 0
	.end_amdhsa_kernel
	.section	.text._ZN7rocprim17ROCPRIM_400000_NS6detail17trampoline_kernelINS0_14default_configENS1_22reduce_config_selectorIN6thrust23THRUST_200600_302600_NS5tupleIblNS6_9null_typeES8_S8_S8_S8_S8_S8_S8_EEEEZNS1_11reduce_implILb1ES3_NS6_12zip_iteratorINS7_INS6_11hip_rocprim26transform_input_iterator_tIbNSD_35transform_pair_of_input_iterators_tIbNS6_6detail15normal_iteratorINS6_10device_ptrIKdEEEESL_NS6_8equal_toIdEEEENSG_9not_fun_tINSD_8identityEEEEENSD_19counting_iterator_tIlEES8_S8_S8_S8_S8_S8_S8_S8_EEEEPS9_S9_NSD_9__find_if7functorIS9_EEEE10hipError_tPvRmT1_T2_T3_mT4_P12ihipStream_tbEUlT_E1_NS1_11comp_targetILNS1_3genE3ELNS1_11target_archE908ELNS1_3gpuE7ELNS1_3repE0EEENS1_30default_config_static_selectorELNS0_4arch9wavefront6targetE1EEEvS14_,"axG",@progbits,_ZN7rocprim17ROCPRIM_400000_NS6detail17trampoline_kernelINS0_14default_configENS1_22reduce_config_selectorIN6thrust23THRUST_200600_302600_NS5tupleIblNS6_9null_typeES8_S8_S8_S8_S8_S8_S8_EEEEZNS1_11reduce_implILb1ES3_NS6_12zip_iteratorINS7_INS6_11hip_rocprim26transform_input_iterator_tIbNSD_35transform_pair_of_input_iterators_tIbNS6_6detail15normal_iteratorINS6_10device_ptrIKdEEEESL_NS6_8equal_toIdEEEENSG_9not_fun_tINSD_8identityEEEEENSD_19counting_iterator_tIlEES8_S8_S8_S8_S8_S8_S8_S8_EEEEPS9_S9_NSD_9__find_if7functorIS9_EEEE10hipError_tPvRmT1_T2_T3_mT4_P12ihipStream_tbEUlT_E1_NS1_11comp_targetILNS1_3genE3ELNS1_11target_archE908ELNS1_3gpuE7ELNS1_3repE0EEENS1_30default_config_static_selectorELNS0_4arch9wavefront6targetE1EEEvS14_,comdat
.Lfunc_end49:
	.size	_ZN7rocprim17ROCPRIM_400000_NS6detail17trampoline_kernelINS0_14default_configENS1_22reduce_config_selectorIN6thrust23THRUST_200600_302600_NS5tupleIblNS6_9null_typeES8_S8_S8_S8_S8_S8_S8_EEEEZNS1_11reduce_implILb1ES3_NS6_12zip_iteratorINS7_INS6_11hip_rocprim26transform_input_iterator_tIbNSD_35transform_pair_of_input_iterators_tIbNS6_6detail15normal_iteratorINS6_10device_ptrIKdEEEESL_NS6_8equal_toIdEEEENSG_9not_fun_tINSD_8identityEEEEENSD_19counting_iterator_tIlEES8_S8_S8_S8_S8_S8_S8_S8_EEEEPS9_S9_NSD_9__find_if7functorIS9_EEEE10hipError_tPvRmT1_T2_T3_mT4_P12ihipStream_tbEUlT_E1_NS1_11comp_targetILNS1_3genE3ELNS1_11target_archE908ELNS1_3gpuE7ELNS1_3repE0EEENS1_30default_config_static_selectorELNS0_4arch9wavefront6targetE1EEEvS14_, .Lfunc_end49-_ZN7rocprim17ROCPRIM_400000_NS6detail17trampoline_kernelINS0_14default_configENS1_22reduce_config_selectorIN6thrust23THRUST_200600_302600_NS5tupleIblNS6_9null_typeES8_S8_S8_S8_S8_S8_S8_EEEEZNS1_11reduce_implILb1ES3_NS6_12zip_iteratorINS7_INS6_11hip_rocprim26transform_input_iterator_tIbNSD_35transform_pair_of_input_iterators_tIbNS6_6detail15normal_iteratorINS6_10device_ptrIKdEEEESL_NS6_8equal_toIdEEEENSG_9not_fun_tINSD_8identityEEEEENSD_19counting_iterator_tIlEES8_S8_S8_S8_S8_S8_S8_S8_EEEEPS9_S9_NSD_9__find_if7functorIS9_EEEE10hipError_tPvRmT1_T2_T3_mT4_P12ihipStream_tbEUlT_E1_NS1_11comp_targetILNS1_3genE3ELNS1_11target_archE908ELNS1_3gpuE7ELNS1_3repE0EEENS1_30default_config_static_selectorELNS0_4arch9wavefront6targetE1EEEvS14_
                                        ; -- End function
	.section	.AMDGPU.csdata,"",@progbits
; Kernel info:
; codeLenInByte = 0
; NumSgprs: 4
; NumVgprs: 0
; NumAgprs: 0
; TotalNumVgprs: 0
; ScratchSize: 0
; MemoryBound: 0
; FloatMode: 240
; IeeeMode: 1
; LDSByteSize: 0 bytes/workgroup (compile time only)
; SGPRBlocks: 0
; VGPRBlocks: 0
; NumSGPRsForWavesPerEU: 4
; NumVGPRsForWavesPerEU: 1
; AccumOffset: 4
; Occupancy: 8
; WaveLimiterHint : 0
; COMPUTE_PGM_RSRC2:SCRATCH_EN: 0
; COMPUTE_PGM_RSRC2:USER_SGPR: 6
; COMPUTE_PGM_RSRC2:TRAP_HANDLER: 0
; COMPUTE_PGM_RSRC2:TGID_X_EN: 1
; COMPUTE_PGM_RSRC2:TGID_Y_EN: 0
; COMPUTE_PGM_RSRC2:TGID_Z_EN: 0
; COMPUTE_PGM_RSRC2:TIDIG_COMP_CNT: 0
; COMPUTE_PGM_RSRC3_GFX90A:ACCUM_OFFSET: 0
; COMPUTE_PGM_RSRC3_GFX90A:TG_SPLIT: 0
	.section	.text._ZN7rocprim17ROCPRIM_400000_NS6detail17trampoline_kernelINS0_14default_configENS1_22reduce_config_selectorIN6thrust23THRUST_200600_302600_NS5tupleIblNS6_9null_typeES8_S8_S8_S8_S8_S8_S8_EEEEZNS1_11reduce_implILb1ES3_NS6_12zip_iteratorINS7_INS6_11hip_rocprim26transform_input_iterator_tIbNSD_35transform_pair_of_input_iterators_tIbNS6_6detail15normal_iteratorINS6_10device_ptrIKdEEEESL_NS6_8equal_toIdEEEENSG_9not_fun_tINSD_8identityEEEEENSD_19counting_iterator_tIlEES8_S8_S8_S8_S8_S8_S8_S8_EEEEPS9_S9_NSD_9__find_if7functorIS9_EEEE10hipError_tPvRmT1_T2_T3_mT4_P12ihipStream_tbEUlT_E1_NS1_11comp_targetILNS1_3genE2ELNS1_11target_archE906ELNS1_3gpuE6ELNS1_3repE0EEENS1_30default_config_static_selectorELNS0_4arch9wavefront6targetE1EEEvS14_,"axG",@progbits,_ZN7rocprim17ROCPRIM_400000_NS6detail17trampoline_kernelINS0_14default_configENS1_22reduce_config_selectorIN6thrust23THRUST_200600_302600_NS5tupleIblNS6_9null_typeES8_S8_S8_S8_S8_S8_S8_EEEEZNS1_11reduce_implILb1ES3_NS6_12zip_iteratorINS7_INS6_11hip_rocprim26transform_input_iterator_tIbNSD_35transform_pair_of_input_iterators_tIbNS6_6detail15normal_iteratorINS6_10device_ptrIKdEEEESL_NS6_8equal_toIdEEEENSG_9not_fun_tINSD_8identityEEEEENSD_19counting_iterator_tIlEES8_S8_S8_S8_S8_S8_S8_S8_EEEEPS9_S9_NSD_9__find_if7functorIS9_EEEE10hipError_tPvRmT1_T2_T3_mT4_P12ihipStream_tbEUlT_E1_NS1_11comp_targetILNS1_3genE2ELNS1_11target_archE906ELNS1_3gpuE6ELNS1_3repE0EEENS1_30default_config_static_selectorELNS0_4arch9wavefront6targetE1EEEvS14_,comdat
	.protected	_ZN7rocprim17ROCPRIM_400000_NS6detail17trampoline_kernelINS0_14default_configENS1_22reduce_config_selectorIN6thrust23THRUST_200600_302600_NS5tupleIblNS6_9null_typeES8_S8_S8_S8_S8_S8_S8_EEEEZNS1_11reduce_implILb1ES3_NS6_12zip_iteratorINS7_INS6_11hip_rocprim26transform_input_iterator_tIbNSD_35transform_pair_of_input_iterators_tIbNS6_6detail15normal_iteratorINS6_10device_ptrIKdEEEESL_NS6_8equal_toIdEEEENSG_9not_fun_tINSD_8identityEEEEENSD_19counting_iterator_tIlEES8_S8_S8_S8_S8_S8_S8_S8_EEEEPS9_S9_NSD_9__find_if7functorIS9_EEEE10hipError_tPvRmT1_T2_T3_mT4_P12ihipStream_tbEUlT_E1_NS1_11comp_targetILNS1_3genE2ELNS1_11target_archE906ELNS1_3gpuE6ELNS1_3repE0EEENS1_30default_config_static_selectorELNS0_4arch9wavefront6targetE1EEEvS14_ ; -- Begin function _ZN7rocprim17ROCPRIM_400000_NS6detail17trampoline_kernelINS0_14default_configENS1_22reduce_config_selectorIN6thrust23THRUST_200600_302600_NS5tupleIblNS6_9null_typeES8_S8_S8_S8_S8_S8_S8_EEEEZNS1_11reduce_implILb1ES3_NS6_12zip_iteratorINS7_INS6_11hip_rocprim26transform_input_iterator_tIbNSD_35transform_pair_of_input_iterators_tIbNS6_6detail15normal_iteratorINS6_10device_ptrIKdEEEESL_NS6_8equal_toIdEEEENSG_9not_fun_tINSD_8identityEEEEENSD_19counting_iterator_tIlEES8_S8_S8_S8_S8_S8_S8_S8_EEEEPS9_S9_NSD_9__find_if7functorIS9_EEEE10hipError_tPvRmT1_T2_T3_mT4_P12ihipStream_tbEUlT_E1_NS1_11comp_targetILNS1_3genE2ELNS1_11target_archE906ELNS1_3gpuE6ELNS1_3repE0EEENS1_30default_config_static_selectorELNS0_4arch9wavefront6targetE1EEEvS14_
	.globl	_ZN7rocprim17ROCPRIM_400000_NS6detail17trampoline_kernelINS0_14default_configENS1_22reduce_config_selectorIN6thrust23THRUST_200600_302600_NS5tupleIblNS6_9null_typeES8_S8_S8_S8_S8_S8_S8_EEEEZNS1_11reduce_implILb1ES3_NS6_12zip_iteratorINS7_INS6_11hip_rocprim26transform_input_iterator_tIbNSD_35transform_pair_of_input_iterators_tIbNS6_6detail15normal_iteratorINS6_10device_ptrIKdEEEESL_NS6_8equal_toIdEEEENSG_9not_fun_tINSD_8identityEEEEENSD_19counting_iterator_tIlEES8_S8_S8_S8_S8_S8_S8_S8_EEEEPS9_S9_NSD_9__find_if7functorIS9_EEEE10hipError_tPvRmT1_T2_T3_mT4_P12ihipStream_tbEUlT_E1_NS1_11comp_targetILNS1_3genE2ELNS1_11target_archE906ELNS1_3gpuE6ELNS1_3repE0EEENS1_30default_config_static_selectorELNS0_4arch9wavefront6targetE1EEEvS14_
	.p2align	8
	.type	_ZN7rocprim17ROCPRIM_400000_NS6detail17trampoline_kernelINS0_14default_configENS1_22reduce_config_selectorIN6thrust23THRUST_200600_302600_NS5tupleIblNS6_9null_typeES8_S8_S8_S8_S8_S8_S8_EEEEZNS1_11reduce_implILb1ES3_NS6_12zip_iteratorINS7_INS6_11hip_rocprim26transform_input_iterator_tIbNSD_35transform_pair_of_input_iterators_tIbNS6_6detail15normal_iteratorINS6_10device_ptrIKdEEEESL_NS6_8equal_toIdEEEENSG_9not_fun_tINSD_8identityEEEEENSD_19counting_iterator_tIlEES8_S8_S8_S8_S8_S8_S8_S8_EEEEPS9_S9_NSD_9__find_if7functorIS9_EEEE10hipError_tPvRmT1_T2_T3_mT4_P12ihipStream_tbEUlT_E1_NS1_11comp_targetILNS1_3genE2ELNS1_11target_archE906ELNS1_3gpuE6ELNS1_3repE0EEENS1_30default_config_static_selectorELNS0_4arch9wavefront6targetE1EEEvS14_,@function
_ZN7rocprim17ROCPRIM_400000_NS6detail17trampoline_kernelINS0_14default_configENS1_22reduce_config_selectorIN6thrust23THRUST_200600_302600_NS5tupleIblNS6_9null_typeES8_S8_S8_S8_S8_S8_S8_EEEEZNS1_11reduce_implILb1ES3_NS6_12zip_iteratorINS7_INS6_11hip_rocprim26transform_input_iterator_tIbNSD_35transform_pair_of_input_iterators_tIbNS6_6detail15normal_iteratorINS6_10device_ptrIKdEEEESL_NS6_8equal_toIdEEEENSG_9not_fun_tINSD_8identityEEEEENSD_19counting_iterator_tIlEES8_S8_S8_S8_S8_S8_S8_S8_EEEEPS9_S9_NSD_9__find_if7functorIS9_EEEE10hipError_tPvRmT1_T2_T3_mT4_P12ihipStream_tbEUlT_E1_NS1_11comp_targetILNS1_3genE2ELNS1_11target_archE906ELNS1_3gpuE6ELNS1_3repE0EEENS1_30default_config_static_selectorELNS0_4arch9wavefront6targetE1EEEvS14_: ; @_ZN7rocprim17ROCPRIM_400000_NS6detail17trampoline_kernelINS0_14default_configENS1_22reduce_config_selectorIN6thrust23THRUST_200600_302600_NS5tupleIblNS6_9null_typeES8_S8_S8_S8_S8_S8_S8_EEEEZNS1_11reduce_implILb1ES3_NS6_12zip_iteratorINS7_INS6_11hip_rocprim26transform_input_iterator_tIbNSD_35transform_pair_of_input_iterators_tIbNS6_6detail15normal_iteratorINS6_10device_ptrIKdEEEESL_NS6_8equal_toIdEEEENSG_9not_fun_tINSD_8identityEEEEENSD_19counting_iterator_tIlEES8_S8_S8_S8_S8_S8_S8_S8_EEEEPS9_S9_NSD_9__find_if7functorIS9_EEEE10hipError_tPvRmT1_T2_T3_mT4_P12ihipStream_tbEUlT_E1_NS1_11comp_targetILNS1_3genE2ELNS1_11target_archE906ELNS1_3gpuE6ELNS1_3repE0EEENS1_30default_config_static_selectorELNS0_4arch9wavefront6targetE1EEEvS14_
; %bb.0:
	.section	.rodata,"a",@progbits
	.p2align	6, 0x0
	.amdhsa_kernel _ZN7rocprim17ROCPRIM_400000_NS6detail17trampoline_kernelINS0_14default_configENS1_22reduce_config_selectorIN6thrust23THRUST_200600_302600_NS5tupleIblNS6_9null_typeES8_S8_S8_S8_S8_S8_S8_EEEEZNS1_11reduce_implILb1ES3_NS6_12zip_iteratorINS7_INS6_11hip_rocprim26transform_input_iterator_tIbNSD_35transform_pair_of_input_iterators_tIbNS6_6detail15normal_iteratorINS6_10device_ptrIKdEEEESL_NS6_8equal_toIdEEEENSG_9not_fun_tINSD_8identityEEEEENSD_19counting_iterator_tIlEES8_S8_S8_S8_S8_S8_S8_S8_EEEEPS9_S9_NSD_9__find_if7functorIS9_EEEE10hipError_tPvRmT1_T2_T3_mT4_P12ihipStream_tbEUlT_E1_NS1_11comp_targetILNS1_3genE2ELNS1_11target_archE906ELNS1_3gpuE6ELNS1_3repE0EEENS1_30default_config_static_selectorELNS0_4arch9wavefront6targetE1EEEvS14_
		.amdhsa_group_segment_fixed_size 0
		.amdhsa_private_segment_fixed_size 0
		.amdhsa_kernarg_size 88
		.amdhsa_user_sgpr_count 6
		.amdhsa_user_sgpr_private_segment_buffer 1
		.amdhsa_user_sgpr_dispatch_ptr 0
		.amdhsa_user_sgpr_queue_ptr 0
		.amdhsa_user_sgpr_kernarg_segment_ptr 1
		.amdhsa_user_sgpr_dispatch_id 0
		.amdhsa_user_sgpr_flat_scratch_init 0
		.amdhsa_user_sgpr_kernarg_preload_length 0
		.amdhsa_user_sgpr_kernarg_preload_offset 0
		.amdhsa_user_sgpr_private_segment_size 0
		.amdhsa_uses_dynamic_stack 0
		.amdhsa_system_sgpr_private_segment_wavefront_offset 0
		.amdhsa_system_sgpr_workgroup_id_x 1
		.amdhsa_system_sgpr_workgroup_id_y 0
		.amdhsa_system_sgpr_workgroup_id_z 0
		.amdhsa_system_sgpr_workgroup_info 0
		.amdhsa_system_vgpr_workitem_id 0
		.amdhsa_next_free_vgpr 1
		.amdhsa_next_free_sgpr 0
		.amdhsa_accum_offset 4
		.amdhsa_reserve_vcc 0
		.amdhsa_reserve_flat_scratch 0
		.amdhsa_float_round_mode_32 0
		.amdhsa_float_round_mode_16_64 0
		.amdhsa_float_denorm_mode_32 3
		.amdhsa_float_denorm_mode_16_64 3
		.amdhsa_dx10_clamp 1
		.amdhsa_ieee_mode 1
		.amdhsa_fp16_overflow 0
		.amdhsa_tg_split 0
		.amdhsa_exception_fp_ieee_invalid_op 0
		.amdhsa_exception_fp_denorm_src 0
		.amdhsa_exception_fp_ieee_div_zero 0
		.amdhsa_exception_fp_ieee_overflow 0
		.amdhsa_exception_fp_ieee_underflow 0
		.amdhsa_exception_fp_ieee_inexact 0
		.amdhsa_exception_int_div_zero 0
	.end_amdhsa_kernel
	.section	.text._ZN7rocprim17ROCPRIM_400000_NS6detail17trampoline_kernelINS0_14default_configENS1_22reduce_config_selectorIN6thrust23THRUST_200600_302600_NS5tupleIblNS6_9null_typeES8_S8_S8_S8_S8_S8_S8_EEEEZNS1_11reduce_implILb1ES3_NS6_12zip_iteratorINS7_INS6_11hip_rocprim26transform_input_iterator_tIbNSD_35transform_pair_of_input_iterators_tIbNS6_6detail15normal_iteratorINS6_10device_ptrIKdEEEESL_NS6_8equal_toIdEEEENSG_9not_fun_tINSD_8identityEEEEENSD_19counting_iterator_tIlEES8_S8_S8_S8_S8_S8_S8_S8_EEEEPS9_S9_NSD_9__find_if7functorIS9_EEEE10hipError_tPvRmT1_T2_T3_mT4_P12ihipStream_tbEUlT_E1_NS1_11comp_targetILNS1_3genE2ELNS1_11target_archE906ELNS1_3gpuE6ELNS1_3repE0EEENS1_30default_config_static_selectorELNS0_4arch9wavefront6targetE1EEEvS14_,"axG",@progbits,_ZN7rocprim17ROCPRIM_400000_NS6detail17trampoline_kernelINS0_14default_configENS1_22reduce_config_selectorIN6thrust23THRUST_200600_302600_NS5tupleIblNS6_9null_typeES8_S8_S8_S8_S8_S8_S8_EEEEZNS1_11reduce_implILb1ES3_NS6_12zip_iteratorINS7_INS6_11hip_rocprim26transform_input_iterator_tIbNSD_35transform_pair_of_input_iterators_tIbNS6_6detail15normal_iteratorINS6_10device_ptrIKdEEEESL_NS6_8equal_toIdEEEENSG_9not_fun_tINSD_8identityEEEEENSD_19counting_iterator_tIlEES8_S8_S8_S8_S8_S8_S8_S8_EEEEPS9_S9_NSD_9__find_if7functorIS9_EEEE10hipError_tPvRmT1_T2_T3_mT4_P12ihipStream_tbEUlT_E1_NS1_11comp_targetILNS1_3genE2ELNS1_11target_archE906ELNS1_3gpuE6ELNS1_3repE0EEENS1_30default_config_static_selectorELNS0_4arch9wavefront6targetE1EEEvS14_,comdat
.Lfunc_end50:
	.size	_ZN7rocprim17ROCPRIM_400000_NS6detail17trampoline_kernelINS0_14default_configENS1_22reduce_config_selectorIN6thrust23THRUST_200600_302600_NS5tupleIblNS6_9null_typeES8_S8_S8_S8_S8_S8_S8_EEEEZNS1_11reduce_implILb1ES3_NS6_12zip_iteratorINS7_INS6_11hip_rocprim26transform_input_iterator_tIbNSD_35transform_pair_of_input_iterators_tIbNS6_6detail15normal_iteratorINS6_10device_ptrIKdEEEESL_NS6_8equal_toIdEEEENSG_9not_fun_tINSD_8identityEEEEENSD_19counting_iterator_tIlEES8_S8_S8_S8_S8_S8_S8_S8_EEEEPS9_S9_NSD_9__find_if7functorIS9_EEEE10hipError_tPvRmT1_T2_T3_mT4_P12ihipStream_tbEUlT_E1_NS1_11comp_targetILNS1_3genE2ELNS1_11target_archE906ELNS1_3gpuE6ELNS1_3repE0EEENS1_30default_config_static_selectorELNS0_4arch9wavefront6targetE1EEEvS14_, .Lfunc_end50-_ZN7rocprim17ROCPRIM_400000_NS6detail17trampoline_kernelINS0_14default_configENS1_22reduce_config_selectorIN6thrust23THRUST_200600_302600_NS5tupleIblNS6_9null_typeES8_S8_S8_S8_S8_S8_S8_EEEEZNS1_11reduce_implILb1ES3_NS6_12zip_iteratorINS7_INS6_11hip_rocprim26transform_input_iterator_tIbNSD_35transform_pair_of_input_iterators_tIbNS6_6detail15normal_iteratorINS6_10device_ptrIKdEEEESL_NS6_8equal_toIdEEEENSG_9not_fun_tINSD_8identityEEEEENSD_19counting_iterator_tIlEES8_S8_S8_S8_S8_S8_S8_S8_EEEEPS9_S9_NSD_9__find_if7functorIS9_EEEE10hipError_tPvRmT1_T2_T3_mT4_P12ihipStream_tbEUlT_E1_NS1_11comp_targetILNS1_3genE2ELNS1_11target_archE906ELNS1_3gpuE6ELNS1_3repE0EEENS1_30default_config_static_selectorELNS0_4arch9wavefront6targetE1EEEvS14_
                                        ; -- End function
	.section	.AMDGPU.csdata,"",@progbits
; Kernel info:
; codeLenInByte = 0
; NumSgprs: 4
; NumVgprs: 0
; NumAgprs: 0
; TotalNumVgprs: 0
; ScratchSize: 0
; MemoryBound: 0
; FloatMode: 240
; IeeeMode: 1
; LDSByteSize: 0 bytes/workgroup (compile time only)
; SGPRBlocks: 0
; VGPRBlocks: 0
; NumSGPRsForWavesPerEU: 4
; NumVGPRsForWavesPerEU: 1
; AccumOffset: 4
; Occupancy: 8
; WaveLimiterHint : 0
; COMPUTE_PGM_RSRC2:SCRATCH_EN: 0
; COMPUTE_PGM_RSRC2:USER_SGPR: 6
; COMPUTE_PGM_RSRC2:TRAP_HANDLER: 0
; COMPUTE_PGM_RSRC2:TGID_X_EN: 1
; COMPUTE_PGM_RSRC2:TGID_Y_EN: 0
; COMPUTE_PGM_RSRC2:TGID_Z_EN: 0
; COMPUTE_PGM_RSRC2:TIDIG_COMP_CNT: 0
; COMPUTE_PGM_RSRC3_GFX90A:ACCUM_OFFSET: 0
; COMPUTE_PGM_RSRC3_GFX90A:TG_SPLIT: 0
	.section	.text._ZN7rocprim17ROCPRIM_400000_NS6detail17trampoline_kernelINS0_14default_configENS1_22reduce_config_selectorIN6thrust23THRUST_200600_302600_NS5tupleIblNS6_9null_typeES8_S8_S8_S8_S8_S8_S8_EEEEZNS1_11reduce_implILb1ES3_NS6_12zip_iteratorINS7_INS6_11hip_rocprim26transform_input_iterator_tIbNSD_35transform_pair_of_input_iterators_tIbNS6_6detail15normal_iteratorINS6_10device_ptrIKdEEEESL_NS6_8equal_toIdEEEENSG_9not_fun_tINSD_8identityEEEEENSD_19counting_iterator_tIlEES8_S8_S8_S8_S8_S8_S8_S8_EEEEPS9_S9_NSD_9__find_if7functorIS9_EEEE10hipError_tPvRmT1_T2_T3_mT4_P12ihipStream_tbEUlT_E1_NS1_11comp_targetILNS1_3genE10ELNS1_11target_archE1201ELNS1_3gpuE5ELNS1_3repE0EEENS1_30default_config_static_selectorELNS0_4arch9wavefront6targetE1EEEvS14_,"axG",@progbits,_ZN7rocprim17ROCPRIM_400000_NS6detail17trampoline_kernelINS0_14default_configENS1_22reduce_config_selectorIN6thrust23THRUST_200600_302600_NS5tupleIblNS6_9null_typeES8_S8_S8_S8_S8_S8_S8_EEEEZNS1_11reduce_implILb1ES3_NS6_12zip_iteratorINS7_INS6_11hip_rocprim26transform_input_iterator_tIbNSD_35transform_pair_of_input_iterators_tIbNS6_6detail15normal_iteratorINS6_10device_ptrIKdEEEESL_NS6_8equal_toIdEEEENSG_9not_fun_tINSD_8identityEEEEENSD_19counting_iterator_tIlEES8_S8_S8_S8_S8_S8_S8_S8_EEEEPS9_S9_NSD_9__find_if7functorIS9_EEEE10hipError_tPvRmT1_T2_T3_mT4_P12ihipStream_tbEUlT_E1_NS1_11comp_targetILNS1_3genE10ELNS1_11target_archE1201ELNS1_3gpuE5ELNS1_3repE0EEENS1_30default_config_static_selectorELNS0_4arch9wavefront6targetE1EEEvS14_,comdat
	.protected	_ZN7rocprim17ROCPRIM_400000_NS6detail17trampoline_kernelINS0_14default_configENS1_22reduce_config_selectorIN6thrust23THRUST_200600_302600_NS5tupleIblNS6_9null_typeES8_S8_S8_S8_S8_S8_S8_EEEEZNS1_11reduce_implILb1ES3_NS6_12zip_iteratorINS7_INS6_11hip_rocprim26transform_input_iterator_tIbNSD_35transform_pair_of_input_iterators_tIbNS6_6detail15normal_iteratorINS6_10device_ptrIKdEEEESL_NS6_8equal_toIdEEEENSG_9not_fun_tINSD_8identityEEEEENSD_19counting_iterator_tIlEES8_S8_S8_S8_S8_S8_S8_S8_EEEEPS9_S9_NSD_9__find_if7functorIS9_EEEE10hipError_tPvRmT1_T2_T3_mT4_P12ihipStream_tbEUlT_E1_NS1_11comp_targetILNS1_3genE10ELNS1_11target_archE1201ELNS1_3gpuE5ELNS1_3repE0EEENS1_30default_config_static_selectorELNS0_4arch9wavefront6targetE1EEEvS14_ ; -- Begin function _ZN7rocprim17ROCPRIM_400000_NS6detail17trampoline_kernelINS0_14default_configENS1_22reduce_config_selectorIN6thrust23THRUST_200600_302600_NS5tupleIblNS6_9null_typeES8_S8_S8_S8_S8_S8_S8_EEEEZNS1_11reduce_implILb1ES3_NS6_12zip_iteratorINS7_INS6_11hip_rocprim26transform_input_iterator_tIbNSD_35transform_pair_of_input_iterators_tIbNS6_6detail15normal_iteratorINS6_10device_ptrIKdEEEESL_NS6_8equal_toIdEEEENSG_9not_fun_tINSD_8identityEEEEENSD_19counting_iterator_tIlEES8_S8_S8_S8_S8_S8_S8_S8_EEEEPS9_S9_NSD_9__find_if7functorIS9_EEEE10hipError_tPvRmT1_T2_T3_mT4_P12ihipStream_tbEUlT_E1_NS1_11comp_targetILNS1_3genE10ELNS1_11target_archE1201ELNS1_3gpuE5ELNS1_3repE0EEENS1_30default_config_static_selectorELNS0_4arch9wavefront6targetE1EEEvS14_
	.globl	_ZN7rocprim17ROCPRIM_400000_NS6detail17trampoline_kernelINS0_14default_configENS1_22reduce_config_selectorIN6thrust23THRUST_200600_302600_NS5tupleIblNS6_9null_typeES8_S8_S8_S8_S8_S8_S8_EEEEZNS1_11reduce_implILb1ES3_NS6_12zip_iteratorINS7_INS6_11hip_rocprim26transform_input_iterator_tIbNSD_35transform_pair_of_input_iterators_tIbNS6_6detail15normal_iteratorINS6_10device_ptrIKdEEEESL_NS6_8equal_toIdEEEENSG_9not_fun_tINSD_8identityEEEEENSD_19counting_iterator_tIlEES8_S8_S8_S8_S8_S8_S8_S8_EEEEPS9_S9_NSD_9__find_if7functorIS9_EEEE10hipError_tPvRmT1_T2_T3_mT4_P12ihipStream_tbEUlT_E1_NS1_11comp_targetILNS1_3genE10ELNS1_11target_archE1201ELNS1_3gpuE5ELNS1_3repE0EEENS1_30default_config_static_selectorELNS0_4arch9wavefront6targetE1EEEvS14_
	.p2align	8
	.type	_ZN7rocprim17ROCPRIM_400000_NS6detail17trampoline_kernelINS0_14default_configENS1_22reduce_config_selectorIN6thrust23THRUST_200600_302600_NS5tupleIblNS6_9null_typeES8_S8_S8_S8_S8_S8_S8_EEEEZNS1_11reduce_implILb1ES3_NS6_12zip_iteratorINS7_INS6_11hip_rocprim26transform_input_iterator_tIbNSD_35transform_pair_of_input_iterators_tIbNS6_6detail15normal_iteratorINS6_10device_ptrIKdEEEESL_NS6_8equal_toIdEEEENSG_9not_fun_tINSD_8identityEEEEENSD_19counting_iterator_tIlEES8_S8_S8_S8_S8_S8_S8_S8_EEEEPS9_S9_NSD_9__find_if7functorIS9_EEEE10hipError_tPvRmT1_T2_T3_mT4_P12ihipStream_tbEUlT_E1_NS1_11comp_targetILNS1_3genE10ELNS1_11target_archE1201ELNS1_3gpuE5ELNS1_3repE0EEENS1_30default_config_static_selectorELNS0_4arch9wavefront6targetE1EEEvS14_,@function
_ZN7rocprim17ROCPRIM_400000_NS6detail17trampoline_kernelINS0_14default_configENS1_22reduce_config_selectorIN6thrust23THRUST_200600_302600_NS5tupleIblNS6_9null_typeES8_S8_S8_S8_S8_S8_S8_EEEEZNS1_11reduce_implILb1ES3_NS6_12zip_iteratorINS7_INS6_11hip_rocprim26transform_input_iterator_tIbNSD_35transform_pair_of_input_iterators_tIbNS6_6detail15normal_iteratorINS6_10device_ptrIKdEEEESL_NS6_8equal_toIdEEEENSG_9not_fun_tINSD_8identityEEEEENSD_19counting_iterator_tIlEES8_S8_S8_S8_S8_S8_S8_S8_EEEEPS9_S9_NSD_9__find_if7functorIS9_EEEE10hipError_tPvRmT1_T2_T3_mT4_P12ihipStream_tbEUlT_E1_NS1_11comp_targetILNS1_3genE10ELNS1_11target_archE1201ELNS1_3gpuE5ELNS1_3repE0EEENS1_30default_config_static_selectorELNS0_4arch9wavefront6targetE1EEEvS14_: ; @_ZN7rocprim17ROCPRIM_400000_NS6detail17trampoline_kernelINS0_14default_configENS1_22reduce_config_selectorIN6thrust23THRUST_200600_302600_NS5tupleIblNS6_9null_typeES8_S8_S8_S8_S8_S8_S8_EEEEZNS1_11reduce_implILb1ES3_NS6_12zip_iteratorINS7_INS6_11hip_rocprim26transform_input_iterator_tIbNSD_35transform_pair_of_input_iterators_tIbNS6_6detail15normal_iteratorINS6_10device_ptrIKdEEEESL_NS6_8equal_toIdEEEENSG_9not_fun_tINSD_8identityEEEEENSD_19counting_iterator_tIlEES8_S8_S8_S8_S8_S8_S8_S8_EEEEPS9_S9_NSD_9__find_if7functorIS9_EEEE10hipError_tPvRmT1_T2_T3_mT4_P12ihipStream_tbEUlT_E1_NS1_11comp_targetILNS1_3genE10ELNS1_11target_archE1201ELNS1_3gpuE5ELNS1_3repE0EEENS1_30default_config_static_selectorELNS0_4arch9wavefront6targetE1EEEvS14_
; %bb.0:
	.section	.rodata,"a",@progbits
	.p2align	6, 0x0
	.amdhsa_kernel _ZN7rocprim17ROCPRIM_400000_NS6detail17trampoline_kernelINS0_14default_configENS1_22reduce_config_selectorIN6thrust23THRUST_200600_302600_NS5tupleIblNS6_9null_typeES8_S8_S8_S8_S8_S8_S8_EEEEZNS1_11reduce_implILb1ES3_NS6_12zip_iteratorINS7_INS6_11hip_rocprim26transform_input_iterator_tIbNSD_35transform_pair_of_input_iterators_tIbNS6_6detail15normal_iteratorINS6_10device_ptrIKdEEEESL_NS6_8equal_toIdEEEENSG_9not_fun_tINSD_8identityEEEEENSD_19counting_iterator_tIlEES8_S8_S8_S8_S8_S8_S8_S8_EEEEPS9_S9_NSD_9__find_if7functorIS9_EEEE10hipError_tPvRmT1_T2_T3_mT4_P12ihipStream_tbEUlT_E1_NS1_11comp_targetILNS1_3genE10ELNS1_11target_archE1201ELNS1_3gpuE5ELNS1_3repE0EEENS1_30default_config_static_selectorELNS0_4arch9wavefront6targetE1EEEvS14_
		.amdhsa_group_segment_fixed_size 0
		.amdhsa_private_segment_fixed_size 0
		.amdhsa_kernarg_size 88
		.amdhsa_user_sgpr_count 6
		.amdhsa_user_sgpr_private_segment_buffer 1
		.amdhsa_user_sgpr_dispatch_ptr 0
		.amdhsa_user_sgpr_queue_ptr 0
		.amdhsa_user_sgpr_kernarg_segment_ptr 1
		.amdhsa_user_sgpr_dispatch_id 0
		.amdhsa_user_sgpr_flat_scratch_init 0
		.amdhsa_user_sgpr_kernarg_preload_length 0
		.amdhsa_user_sgpr_kernarg_preload_offset 0
		.amdhsa_user_sgpr_private_segment_size 0
		.amdhsa_uses_dynamic_stack 0
		.amdhsa_system_sgpr_private_segment_wavefront_offset 0
		.amdhsa_system_sgpr_workgroup_id_x 1
		.amdhsa_system_sgpr_workgroup_id_y 0
		.amdhsa_system_sgpr_workgroup_id_z 0
		.amdhsa_system_sgpr_workgroup_info 0
		.amdhsa_system_vgpr_workitem_id 0
		.amdhsa_next_free_vgpr 1
		.amdhsa_next_free_sgpr 0
		.amdhsa_accum_offset 4
		.amdhsa_reserve_vcc 0
		.amdhsa_reserve_flat_scratch 0
		.amdhsa_float_round_mode_32 0
		.amdhsa_float_round_mode_16_64 0
		.amdhsa_float_denorm_mode_32 3
		.amdhsa_float_denorm_mode_16_64 3
		.amdhsa_dx10_clamp 1
		.amdhsa_ieee_mode 1
		.amdhsa_fp16_overflow 0
		.amdhsa_tg_split 0
		.amdhsa_exception_fp_ieee_invalid_op 0
		.amdhsa_exception_fp_denorm_src 0
		.amdhsa_exception_fp_ieee_div_zero 0
		.amdhsa_exception_fp_ieee_overflow 0
		.amdhsa_exception_fp_ieee_underflow 0
		.amdhsa_exception_fp_ieee_inexact 0
		.amdhsa_exception_int_div_zero 0
	.end_amdhsa_kernel
	.section	.text._ZN7rocprim17ROCPRIM_400000_NS6detail17trampoline_kernelINS0_14default_configENS1_22reduce_config_selectorIN6thrust23THRUST_200600_302600_NS5tupleIblNS6_9null_typeES8_S8_S8_S8_S8_S8_S8_EEEEZNS1_11reduce_implILb1ES3_NS6_12zip_iteratorINS7_INS6_11hip_rocprim26transform_input_iterator_tIbNSD_35transform_pair_of_input_iterators_tIbNS6_6detail15normal_iteratorINS6_10device_ptrIKdEEEESL_NS6_8equal_toIdEEEENSG_9not_fun_tINSD_8identityEEEEENSD_19counting_iterator_tIlEES8_S8_S8_S8_S8_S8_S8_S8_EEEEPS9_S9_NSD_9__find_if7functorIS9_EEEE10hipError_tPvRmT1_T2_T3_mT4_P12ihipStream_tbEUlT_E1_NS1_11comp_targetILNS1_3genE10ELNS1_11target_archE1201ELNS1_3gpuE5ELNS1_3repE0EEENS1_30default_config_static_selectorELNS0_4arch9wavefront6targetE1EEEvS14_,"axG",@progbits,_ZN7rocprim17ROCPRIM_400000_NS6detail17trampoline_kernelINS0_14default_configENS1_22reduce_config_selectorIN6thrust23THRUST_200600_302600_NS5tupleIblNS6_9null_typeES8_S8_S8_S8_S8_S8_S8_EEEEZNS1_11reduce_implILb1ES3_NS6_12zip_iteratorINS7_INS6_11hip_rocprim26transform_input_iterator_tIbNSD_35transform_pair_of_input_iterators_tIbNS6_6detail15normal_iteratorINS6_10device_ptrIKdEEEESL_NS6_8equal_toIdEEEENSG_9not_fun_tINSD_8identityEEEEENSD_19counting_iterator_tIlEES8_S8_S8_S8_S8_S8_S8_S8_EEEEPS9_S9_NSD_9__find_if7functorIS9_EEEE10hipError_tPvRmT1_T2_T3_mT4_P12ihipStream_tbEUlT_E1_NS1_11comp_targetILNS1_3genE10ELNS1_11target_archE1201ELNS1_3gpuE5ELNS1_3repE0EEENS1_30default_config_static_selectorELNS0_4arch9wavefront6targetE1EEEvS14_,comdat
.Lfunc_end51:
	.size	_ZN7rocprim17ROCPRIM_400000_NS6detail17trampoline_kernelINS0_14default_configENS1_22reduce_config_selectorIN6thrust23THRUST_200600_302600_NS5tupleIblNS6_9null_typeES8_S8_S8_S8_S8_S8_S8_EEEEZNS1_11reduce_implILb1ES3_NS6_12zip_iteratorINS7_INS6_11hip_rocprim26transform_input_iterator_tIbNSD_35transform_pair_of_input_iterators_tIbNS6_6detail15normal_iteratorINS6_10device_ptrIKdEEEESL_NS6_8equal_toIdEEEENSG_9not_fun_tINSD_8identityEEEEENSD_19counting_iterator_tIlEES8_S8_S8_S8_S8_S8_S8_S8_EEEEPS9_S9_NSD_9__find_if7functorIS9_EEEE10hipError_tPvRmT1_T2_T3_mT4_P12ihipStream_tbEUlT_E1_NS1_11comp_targetILNS1_3genE10ELNS1_11target_archE1201ELNS1_3gpuE5ELNS1_3repE0EEENS1_30default_config_static_selectorELNS0_4arch9wavefront6targetE1EEEvS14_, .Lfunc_end51-_ZN7rocprim17ROCPRIM_400000_NS6detail17trampoline_kernelINS0_14default_configENS1_22reduce_config_selectorIN6thrust23THRUST_200600_302600_NS5tupleIblNS6_9null_typeES8_S8_S8_S8_S8_S8_S8_EEEEZNS1_11reduce_implILb1ES3_NS6_12zip_iteratorINS7_INS6_11hip_rocprim26transform_input_iterator_tIbNSD_35transform_pair_of_input_iterators_tIbNS6_6detail15normal_iteratorINS6_10device_ptrIKdEEEESL_NS6_8equal_toIdEEEENSG_9not_fun_tINSD_8identityEEEEENSD_19counting_iterator_tIlEES8_S8_S8_S8_S8_S8_S8_S8_EEEEPS9_S9_NSD_9__find_if7functorIS9_EEEE10hipError_tPvRmT1_T2_T3_mT4_P12ihipStream_tbEUlT_E1_NS1_11comp_targetILNS1_3genE10ELNS1_11target_archE1201ELNS1_3gpuE5ELNS1_3repE0EEENS1_30default_config_static_selectorELNS0_4arch9wavefront6targetE1EEEvS14_
                                        ; -- End function
	.section	.AMDGPU.csdata,"",@progbits
; Kernel info:
; codeLenInByte = 0
; NumSgprs: 4
; NumVgprs: 0
; NumAgprs: 0
; TotalNumVgprs: 0
; ScratchSize: 0
; MemoryBound: 0
; FloatMode: 240
; IeeeMode: 1
; LDSByteSize: 0 bytes/workgroup (compile time only)
; SGPRBlocks: 0
; VGPRBlocks: 0
; NumSGPRsForWavesPerEU: 4
; NumVGPRsForWavesPerEU: 1
; AccumOffset: 4
; Occupancy: 8
; WaveLimiterHint : 0
; COMPUTE_PGM_RSRC2:SCRATCH_EN: 0
; COMPUTE_PGM_RSRC2:USER_SGPR: 6
; COMPUTE_PGM_RSRC2:TRAP_HANDLER: 0
; COMPUTE_PGM_RSRC2:TGID_X_EN: 1
; COMPUTE_PGM_RSRC2:TGID_Y_EN: 0
; COMPUTE_PGM_RSRC2:TGID_Z_EN: 0
; COMPUTE_PGM_RSRC2:TIDIG_COMP_CNT: 0
; COMPUTE_PGM_RSRC3_GFX90A:ACCUM_OFFSET: 0
; COMPUTE_PGM_RSRC3_GFX90A:TG_SPLIT: 0
	.section	.text._ZN7rocprim17ROCPRIM_400000_NS6detail17trampoline_kernelINS0_14default_configENS1_22reduce_config_selectorIN6thrust23THRUST_200600_302600_NS5tupleIblNS6_9null_typeES8_S8_S8_S8_S8_S8_S8_EEEEZNS1_11reduce_implILb1ES3_NS6_12zip_iteratorINS7_INS6_11hip_rocprim26transform_input_iterator_tIbNSD_35transform_pair_of_input_iterators_tIbNS6_6detail15normal_iteratorINS6_10device_ptrIKdEEEESL_NS6_8equal_toIdEEEENSG_9not_fun_tINSD_8identityEEEEENSD_19counting_iterator_tIlEES8_S8_S8_S8_S8_S8_S8_S8_EEEEPS9_S9_NSD_9__find_if7functorIS9_EEEE10hipError_tPvRmT1_T2_T3_mT4_P12ihipStream_tbEUlT_E1_NS1_11comp_targetILNS1_3genE10ELNS1_11target_archE1200ELNS1_3gpuE4ELNS1_3repE0EEENS1_30default_config_static_selectorELNS0_4arch9wavefront6targetE1EEEvS14_,"axG",@progbits,_ZN7rocprim17ROCPRIM_400000_NS6detail17trampoline_kernelINS0_14default_configENS1_22reduce_config_selectorIN6thrust23THRUST_200600_302600_NS5tupleIblNS6_9null_typeES8_S8_S8_S8_S8_S8_S8_EEEEZNS1_11reduce_implILb1ES3_NS6_12zip_iteratorINS7_INS6_11hip_rocprim26transform_input_iterator_tIbNSD_35transform_pair_of_input_iterators_tIbNS6_6detail15normal_iteratorINS6_10device_ptrIKdEEEESL_NS6_8equal_toIdEEEENSG_9not_fun_tINSD_8identityEEEEENSD_19counting_iterator_tIlEES8_S8_S8_S8_S8_S8_S8_S8_EEEEPS9_S9_NSD_9__find_if7functorIS9_EEEE10hipError_tPvRmT1_T2_T3_mT4_P12ihipStream_tbEUlT_E1_NS1_11comp_targetILNS1_3genE10ELNS1_11target_archE1200ELNS1_3gpuE4ELNS1_3repE0EEENS1_30default_config_static_selectorELNS0_4arch9wavefront6targetE1EEEvS14_,comdat
	.protected	_ZN7rocprim17ROCPRIM_400000_NS6detail17trampoline_kernelINS0_14default_configENS1_22reduce_config_selectorIN6thrust23THRUST_200600_302600_NS5tupleIblNS6_9null_typeES8_S8_S8_S8_S8_S8_S8_EEEEZNS1_11reduce_implILb1ES3_NS6_12zip_iteratorINS7_INS6_11hip_rocprim26transform_input_iterator_tIbNSD_35transform_pair_of_input_iterators_tIbNS6_6detail15normal_iteratorINS6_10device_ptrIKdEEEESL_NS6_8equal_toIdEEEENSG_9not_fun_tINSD_8identityEEEEENSD_19counting_iterator_tIlEES8_S8_S8_S8_S8_S8_S8_S8_EEEEPS9_S9_NSD_9__find_if7functorIS9_EEEE10hipError_tPvRmT1_T2_T3_mT4_P12ihipStream_tbEUlT_E1_NS1_11comp_targetILNS1_3genE10ELNS1_11target_archE1200ELNS1_3gpuE4ELNS1_3repE0EEENS1_30default_config_static_selectorELNS0_4arch9wavefront6targetE1EEEvS14_ ; -- Begin function _ZN7rocprim17ROCPRIM_400000_NS6detail17trampoline_kernelINS0_14default_configENS1_22reduce_config_selectorIN6thrust23THRUST_200600_302600_NS5tupleIblNS6_9null_typeES8_S8_S8_S8_S8_S8_S8_EEEEZNS1_11reduce_implILb1ES3_NS6_12zip_iteratorINS7_INS6_11hip_rocprim26transform_input_iterator_tIbNSD_35transform_pair_of_input_iterators_tIbNS6_6detail15normal_iteratorINS6_10device_ptrIKdEEEESL_NS6_8equal_toIdEEEENSG_9not_fun_tINSD_8identityEEEEENSD_19counting_iterator_tIlEES8_S8_S8_S8_S8_S8_S8_S8_EEEEPS9_S9_NSD_9__find_if7functorIS9_EEEE10hipError_tPvRmT1_T2_T3_mT4_P12ihipStream_tbEUlT_E1_NS1_11comp_targetILNS1_3genE10ELNS1_11target_archE1200ELNS1_3gpuE4ELNS1_3repE0EEENS1_30default_config_static_selectorELNS0_4arch9wavefront6targetE1EEEvS14_
	.globl	_ZN7rocprim17ROCPRIM_400000_NS6detail17trampoline_kernelINS0_14default_configENS1_22reduce_config_selectorIN6thrust23THRUST_200600_302600_NS5tupleIblNS6_9null_typeES8_S8_S8_S8_S8_S8_S8_EEEEZNS1_11reduce_implILb1ES3_NS6_12zip_iteratorINS7_INS6_11hip_rocprim26transform_input_iterator_tIbNSD_35transform_pair_of_input_iterators_tIbNS6_6detail15normal_iteratorINS6_10device_ptrIKdEEEESL_NS6_8equal_toIdEEEENSG_9not_fun_tINSD_8identityEEEEENSD_19counting_iterator_tIlEES8_S8_S8_S8_S8_S8_S8_S8_EEEEPS9_S9_NSD_9__find_if7functorIS9_EEEE10hipError_tPvRmT1_T2_T3_mT4_P12ihipStream_tbEUlT_E1_NS1_11comp_targetILNS1_3genE10ELNS1_11target_archE1200ELNS1_3gpuE4ELNS1_3repE0EEENS1_30default_config_static_selectorELNS0_4arch9wavefront6targetE1EEEvS14_
	.p2align	8
	.type	_ZN7rocprim17ROCPRIM_400000_NS6detail17trampoline_kernelINS0_14default_configENS1_22reduce_config_selectorIN6thrust23THRUST_200600_302600_NS5tupleIblNS6_9null_typeES8_S8_S8_S8_S8_S8_S8_EEEEZNS1_11reduce_implILb1ES3_NS6_12zip_iteratorINS7_INS6_11hip_rocprim26transform_input_iterator_tIbNSD_35transform_pair_of_input_iterators_tIbNS6_6detail15normal_iteratorINS6_10device_ptrIKdEEEESL_NS6_8equal_toIdEEEENSG_9not_fun_tINSD_8identityEEEEENSD_19counting_iterator_tIlEES8_S8_S8_S8_S8_S8_S8_S8_EEEEPS9_S9_NSD_9__find_if7functorIS9_EEEE10hipError_tPvRmT1_T2_T3_mT4_P12ihipStream_tbEUlT_E1_NS1_11comp_targetILNS1_3genE10ELNS1_11target_archE1200ELNS1_3gpuE4ELNS1_3repE0EEENS1_30default_config_static_selectorELNS0_4arch9wavefront6targetE1EEEvS14_,@function
_ZN7rocprim17ROCPRIM_400000_NS6detail17trampoline_kernelINS0_14default_configENS1_22reduce_config_selectorIN6thrust23THRUST_200600_302600_NS5tupleIblNS6_9null_typeES8_S8_S8_S8_S8_S8_S8_EEEEZNS1_11reduce_implILb1ES3_NS6_12zip_iteratorINS7_INS6_11hip_rocprim26transform_input_iterator_tIbNSD_35transform_pair_of_input_iterators_tIbNS6_6detail15normal_iteratorINS6_10device_ptrIKdEEEESL_NS6_8equal_toIdEEEENSG_9not_fun_tINSD_8identityEEEEENSD_19counting_iterator_tIlEES8_S8_S8_S8_S8_S8_S8_S8_EEEEPS9_S9_NSD_9__find_if7functorIS9_EEEE10hipError_tPvRmT1_T2_T3_mT4_P12ihipStream_tbEUlT_E1_NS1_11comp_targetILNS1_3genE10ELNS1_11target_archE1200ELNS1_3gpuE4ELNS1_3repE0EEENS1_30default_config_static_selectorELNS0_4arch9wavefront6targetE1EEEvS14_: ; @_ZN7rocprim17ROCPRIM_400000_NS6detail17trampoline_kernelINS0_14default_configENS1_22reduce_config_selectorIN6thrust23THRUST_200600_302600_NS5tupleIblNS6_9null_typeES8_S8_S8_S8_S8_S8_S8_EEEEZNS1_11reduce_implILb1ES3_NS6_12zip_iteratorINS7_INS6_11hip_rocprim26transform_input_iterator_tIbNSD_35transform_pair_of_input_iterators_tIbNS6_6detail15normal_iteratorINS6_10device_ptrIKdEEEESL_NS6_8equal_toIdEEEENSG_9not_fun_tINSD_8identityEEEEENSD_19counting_iterator_tIlEES8_S8_S8_S8_S8_S8_S8_S8_EEEEPS9_S9_NSD_9__find_if7functorIS9_EEEE10hipError_tPvRmT1_T2_T3_mT4_P12ihipStream_tbEUlT_E1_NS1_11comp_targetILNS1_3genE10ELNS1_11target_archE1200ELNS1_3gpuE4ELNS1_3repE0EEENS1_30default_config_static_selectorELNS0_4arch9wavefront6targetE1EEEvS14_
; %bb.0:
	.section	.rodata,"a",@progbits
	.p2align	6, 0x0
	.amdhsa_kernel _ZN7rocprim17ROCPRIM_400000_NS6detail17trampoline_kernelINS0_14default_configENS1_22reduce_config_selectorIN6thrust23THRUST_200600_302600_NS5tupleIblNS6_9null_typeES8_S8_S8_S8_S8_S8_S8_EEEEZNS1_11reduce_implILb1ES3_NS6_12zip_iteratorINS7_INS6_11hip_rocprim26transform_input_iterator_tIbNSD_35transform_pair_of_input_iterators_tIbNS6_6detail15normal_iteratorINS6_10device_ptrIKdEEEESL_NS6_8equal_toIdEEEENSG_9not_fun_tINSD_8identityEEEEENSD_19counting_iterator_tIlEES8_S8_S8_S8_S8_S8_S8_S8_EEEEPS9_S9_NSD_9__find_if7functorIS9_EEEE10hipError_tPvRmT1_T2_T3_mT4_P12ihipStream_tbEUlT_E1_NS1_11comp_targetILNS1_3genE10ELNS1_11target_archE1200ELNS1_3gpuE4ELNS1_3repE0EEENS1_30default_config_static_selectorELNS0_4arch9wavefront6targetE1EEEvS14_
		.amdhsa_group_segment_fixed_size 0
		.amdhsa_private_segment_fixed_size 0
		.amdhsa_kernarg_size 88
		.amdhsa_user_sgpr_count 6
		.amdhsa_user_sgpr_private_segment_buffer 1
		.amdhsa_user_sgpr_dispatch_ptr 0
		.amdhsa_user_sgpr_queue_ptr 0
		.amdhsa_user_sgpr_kernarg_segment_ptr 1
		.amdhsa_user_sgpr_dispatch_id 0
		.amdhsa_user_sgpr_flat_scratch_init 0
		.amdhsa_user_sgpr_kernarg_preload_length 0
		.amdhsa_user_sgpr_kernarg_preload_offset 0
		.amdhsa_user_sgpr_private_segment_size 0
		.amdhsa_uses_dynamic_stack 0
		.amdhsa_system_sgpr_private_segment_wavefront_offset 0
		.amdhsa_system_sgpr_workgroup_id_x 1
		.amdhsa_system_sgpr_workgroup_id_y 0
		.amdhsa_system_sgpr_workgroup_id_z 0
		.amdhsa_system_sgpr_workgroup_info 0
		.amdhsa_system_vgpr_workitem_id 0
		.amdhsa_next_free_vgpr 1
		.amdhsa_next_free_sgpr 0
		.amdhsa_accum_offset 4
		.amdhsa_reserve_vcc 0
		.amdhsa_reserve_flat_scratch 0
		.amdhsa_float_round_mode_32 0
		.amdhsa_float_round_mode_16_64 0
		.amdhsa_float_denorm_mode_32 3
		.amdhsa_float_denorm_mode_16_64 3
		.amdhsa_dx10_clamp 1
		.amdhsa_ieee_mode 1
		.amdhsa_fp16_overflow 0
		.amdhsa_tg_split 0
		.amdhsa_exception_fp_ieee_invalid_op 0
		.amdhsa_exception_fp_denorm_src 0
		.amdhsa_exception_fp_ieee_div_zero 0
		.amdhsa_exception_fp_ieee_overflow 0
		.amdhsa_exception_fp_ieee_underflow 0
		.amdhsa_exception_fp_ieee_inexact 0
		.amdhsa_exception_int_div_zero 0
	.end_amdhsa_kernel
	.section	.text._ZN7rocprim17ROCPRIM_400000_NS6detail17trampoline_kernelINS0_14default_configENS1_22reduce_config_selectorIN6thrust23THRUST_200600_302600_NS5tupleIblNS6_9null_typeES8_S8_S8_S8_S8_S8_S8_EEEEZNS1_11reduce_implILb1ES3_NS6_12zip_iteratorINS7_INS6_11hip_rocprim26transform_input_iterator_tIbNSD_35transform_pair_of_input_iterators_tIbNS6_6detail15normal_iteratorINS6_10device_ptrIKdEEEESL_NS6_8equal_toIdEEEENSG_9not_fun_tINSD_8identityEEEEENSD_19counting_iterator_tIlEES8_S8_S8_S8_S8_S8_S8_S8_EEEEPS9_S9_NSD_9__find_if7functorIS9_EEEE10hipError_tPvRmT1_T2_T3_mT4_P12ihipStream_tbEUlT_E1_NS1_11comp_targetILNS1_3genE10ELNS1_11target_archE1200ELNS1_3gpuE4ELNS1_3repE0EEENS1_30default_config_static_selectorELNS0_4arch9wavefront6targetE1EEEvS14_,"axG",@progbits,_ZN7rocprim17ROCPRIM_400000_NS6detail17trampoline_kernelINS0_14default_configENS1_22reduce_config_selectorIN6thrust23THRUST_200600_302600_NS5tupleIblNS6_9null_typeES8_S8_S8_S8_S8_S8_S8_EEEEZNS1_11reduce_implILb1ES3_NS6_12zip_iteratorINS7_INS6_11hip_rocprim26transform_input_iterator_tIbNSD_35transform_pair_of_input_iterators_tIbNS6_6detail15normal_iteratorINS6_10device_ptrIKdEEEESL_NS6_8equal_toIdEEEENSG_9not_fun_tINSD_8identityEEEEENSD_19counting_iterator_tIlEES8_S8_S8_S8_S8_S8_S8_S8_EEEEPS9_S9_NSD_9__find_if7functorIS9_EEEE10hipError_tPvRmT1_T2_T3_mT4_P12ihipStream_tbEUlT_E1_NS1_11comp_targetILNS1_3genE10ELNS1_11target_archE1200ELNS1_3gpuE4ELNS1_3repE0EEENS1_30default_config_static_selectorELNS0_4arch9wavefront6targetE1EEEvS14_,comdat
.Lfunc_end52:
	.size	_ZN7rocprim17ROCPRIM_400000_NS6detail17trampoline_kernelINS0_14default_configENS1_22reduce_config_selectorIN6thrust23THRUST_200600_302600_NS5tupleIblNS6_9null_typeES8_S8_S8_S8_S8_S8_S8_EEEEZNS1_11reduce_implILb1ES3_NS6_12zip_iteratorINS7_INS6_11hip_rocprim26transform_input_iterator_tIbNSD_35transform_pair_of_input_iterators_tIbNS6_6detail15normal_iteratorINS6_10device_ptrIKdEEEESL_NS6_8equal_toIdEEEENSG_9not_fun_tINSD_8identityEEEEENSD_19counting_iterator_tIlEES8_S8_S8_S8_S8_S8_S8_S8_EEEEPS9_S9_NSD_9__find_if7functorIS9_EEEE10hipError_tPvRmT1_T2_T3_mT4_P12ihipStream_tbEUlT_E1_NS1_11comp_targetILNS1_3genE10ELNS1_11target_archE1200ELNS1_3gpuE4ELNS1_3repE0EEENS1_30default_config_static_selectorELNS0_4arch9wavefront6targetE1EEEvS14_, .Lfunc_end52-_ZN7rocprim17ROCPRIM_400000_NS6detail17trampoline_kernelINS0_14default_configENS1_22reduce_config_selectorIN6thrust23THRUST_200600_302600_NS5tupleIblNS6_9null_typeES8_S8_S8_S8_S8_S8_S8_EEEEZNS1_11reduce_implILb1ES3_NS6_12zip_iteratorINS7_INS6_11hip_rocprim26transform_input_iterator_tIbNSD_35transform_pair_of_input_iterators_tIbNS6_6detail15normal_iteratorINS6_10device_ptrIKdEEEESL_NS6_8equal_toIdEEEENSG_9not_fun_tINSD_8identityEEEEENSD_19counting_iterator_tIlEES8_S8_S8_S8_S8_S8_S8_S8_EEEEPS9_S9_NSD_9__find_if7functorIS9_EEEE10hipError_tPvRmT1_T2_T3_mT4_P12ihipStream_tbEUlT_E1_NS1_11comp_targetILNS1_3genE10ELNS1_11target_archE1200ELNS1_3gpuE4ELNS1_3repE0EEENS1_30default_config_static_selectorELNS0_4arch9wavefront6targetE1EEEvS14_
                                        ; -- End function
	.section	.AMDGPU.csdata,"",@progbits
; Kernel info:
; codeLenInByte = 0
; NumSgprs: 4
; NumVgprs: 0
; NumAgprs: 0
; TotalNumVgprs: 0
; ScratchSize: 0
; MemoryBound: 0
; FloatMode: 240
; IeeeMode: 1
; LDSByteSize: 0 bytes/workgroup (compile time only)
; SGPRBlocks: 0
; VGPRBlocks: 0
; NumSGPRsForWavesPerEU: 4
; NumVGPRsForWavesPerEU: 1
; AccumOffset: 4
; Occupancy: 8
; WaveLimiterHint : 0
; COMPUTE_PGM_RSRC2:SCRATCH_EN: 0
; COMPUTE_PGM_RSRC2:USER_SGPR: 6
; COMPUTE_PGM_RSRC2:TRAP_HANDLER: 0
; COMPUTE_PGM_RSRC2:TGID_X_EN: 1
; COMPUTE_PGM_RSRC2:TGID_Y_EN: 0
; COMPUTE_PGM_RSRC2:TGID_Z_EN: 0
; COMPUTE_PGM_RSRC2:TIDIG_COMP_CNT: 0
; COMPUTE_PGM_RSRC3_GFX90A:ACCUM_OFFSET: 0
; COMPUTE_PGM_RSRC3_GFX90A:TG_SPLIT: 0
	.section	.text._ZN7rocprim17ROCPRIM_400000_NS6detail17trampoline_kernelINS0_14default_configENS1_22reduce_config_selectorIN6thrust23THRUST_200600_302600_NS5tupleIblNS6_9null_typeES8_S8_S8_S8_S8_S8_S8_EEEEZNS1_11reduce_implILb1ES3_NS6_12zip_iteratorINS7_INS6_11hip_rocprim26transform_input_iterator_tIbNSD_35transform_pair_of_input_iterators_tIbNS6_6detail15normal_iteratorINS6_10device_ptrIKdEEEESL_NS6_8equal_toIdEEEENSG_9not_fun_tINSD_8identityEEEEENSD_19counting_iterator_tIlEES8_S8_S8_S8_S8_S8_S8_S8_EEEEPS9_S9_NSD_9__find_if7functorIS9_EEEE10hipError_tPvRmT1_T2_T3_mT4_P12ihipStream_tbEUlT_E1_NS1_11comp_targetILNS1_3genE9ELNS1_11target_archE1100ELNS1_3gpuE3ELNS1_3repE0EEENS1_30default_config_static_selectorELNS0_4arch9wavefront6targetE1EEEvS14_,"axG",@progbits,_ZN7rocprim17ROCPRIM_400000_NS6detail17trampoline_kernelINS0_14default_configENS1_22reduce_config_selectorIN6thrust23THRUST_200600_302600_NS5tupleIblNS6_9null_typeES8_S8_S8_S8_S8_S8_S8_EEEEZNS1_11reduce_implILb1ES3_NS6_12zip_iteratorINS7_INS6_11hip_rocprim26transform_input_iterator_tIbNSD_35transform_pair_of_input_iterators_tIbNS6_6detail15normal_iteratorINS6_10device_ptrIKdEEEESL_NS6_8equal_toIdEEEENSG_9not_fun_tINSD_8identityEEEEENSD_19counting_iterator_tIlEES8_S8_S8_S8_S8_S8_S8_S8_EEEEPS9_S9_NSD_9__find_if7functorIS9_EEEE10hipError_tPvRmT1_T2_T3_mT4_P12ihipStream_tbEUlT_E1_NS1_11comp_targetILNS1_3genE9ELNS1_11target_archE1100ELNS1_3gpuE3ELNS1_3repE0EEENS1_30default_config_static_selectorELNS0_4arch9wavefront6targetE1EEEvS14_,comdat
	.protected	_ZN7rocprim17ROCPRIM_400000_NS6detail17trampoline_kernelINS0_14default_configENS1_22reduce_config_selectorIN6thrust23THRUST_200600_302600_NS5tupleIblNS6_9null_typeES8_S8_S8_S8_S8_S8_S8_EEEEZNS1_11reduce_implILb1ES3_NS6_12zip_iteratorINS7_INS6_11hip_rocprim26transform_input_iterator_tIbNSD_35transform_pair_of_input_iterators_tIbNS6_6detail15normal_iteratorINS6_10device_ptrIKdEEEESL_NS6_8equal_toIdEEEENSG_9not_fun_tINSD_8identityEEEEENSD_19counting_iterator_tIlEES8_S8_S8_S8_S8_S8_S8_S8_EEEEPS9_S9_NSD_9__find_if7functorIS9_EEEE10hipError_tPvRmT1_T2_T3_mT4_P12ihipStream_tbEUlT_E1_NS1_11comp_targetILNS1_3genE9ELNS1_11target_archE1100ELNS1_3gpuE3ELNS1_3repE0EEENS1_30default_config_static_selectorELNS0_4arch9wavefront6targetE1EEEvS14_ ; -- Begin function _ZN7rocprim17ROCPRIM_400000_NS6detail17trampoline_kernelINS0_14default_configENS1_22reduce_config_selectorIN6thrust23THRUST_200600_302600_NS5tupleIblNS6_9null_typeES8_S8_S8_S8_S8_S8_S8_EEEEZNS1_11reduce_implILb1ES3_NS6_12zip_iteratorINS7_INS6_11hip_rocprim26transform_input_iterator_tIbNSD_35transform_pair_of_input_iterators_tIbNS6_6detail15normal_iteratorINS6_10device_ptrIKdEEEESL_NS6_8equal_toIdEEEENSG_9not_fun_tINSD_8identityEEEEENSD_19counting_iterator_tIlEES8_S8_S8_S8_S8_S8_S8_S8_EEEEPS9_S9_NSD_9__find_if7functorIS9_EEEE10hipError_tPvRmT1_T2_T3_mT4_P12ihipStream_tbEUlT_E1_NS1_11comp_targetILNS1_3genE9ELNS1_11target_archE1100ELNS1_3gpuE3ELNS1_3repE0EEENS1_30default_config_static_selectorELNS0_4arch9wavefront6targetE1EEEvS14_
	.globl	_ZN7rocprim17ROCPRIM_400000_NS6detail17trampoline_kernelINS0_14default_configENS1_22reduce_config_selectorIN6thrust23THRUST_200600_302600_NS5tupleIblNS6_9null_typeES8_S8_S8_S8_S8_S8_S8_EEEEZNS1_11reduce_implILb1ES3_NS6_12zip_iteratorINS7_INS6_11hip_rocprim26transform_input_iterator_tIbNSD_35transform_pair_of_input_iterators_tIbNS6_6detail15normal_iteratorINS6_10device_ptrIKdEEEESL_NS6_8equal_toIdEEEENSG_9not_fun_tINSD_8identityEEEEENSD_19counting_iterator_tIlEES8_S8_S8_S8_S8_S8_S8_S8_EEEEPS9_S9_NSD_9__find_if7functorIS9_EEEE10hipError_tPvRmT1_T2_T3_mT4_P12ihipStream_tbEUlT_E1_NS1_11comp_targetILNS1_3genE9ELNS1_11target_archE1100ELNS1_3gpuE3ELNS1_3repE0EEENS1_30default_config_static_selectorELNS0_4arch9wavefront6targetE1EEEvS14_
	.p2align	8
	.type	_ZN7rocprim17ROCPRIM_400000_NS6detail17trampoline_kernelINS0_14default_configENS1_22reduce_config_selectorIN6thrust23THRUST_200600_302600_NS5tupleIblNS6_9null_typeES8_S8_S8_S8_S8_S8_S8_EEEEZNS1_11reduce_implILb1ES3_NS6_12zip_iteratorINS7_INS6_11hip_rocprim26transform_input_iterator_tIbNSD_35transform_pair_of_input_iterators_tIbNS6_6detail15normal_iteratorINS6_10device_ptrIKdEEEESL_NS6_8equal_toIdEEEENSG_9not_fun_tINSD_8identityEEEEENSD_19counting_iterator_tIlEES8_S8_S8_S8_S8_S8_S8_S8_EEEEPS9_S9_NSD_9__find_if7functorIS9_EEEE10hipError_tPvRmT1_T2_T3_mT4_P12ihipStream_tbEUlT_E1_NS1_11comp_targetILNS1_3genE9ELNS1_11target_archE1100ELNS1_3gpuE3ELNS1_3repE0EEENS1_30default_config_static_selectorELNS0_4arch9wavefront6targetE1EEEvS14_,@function
_ZN7rocprim17ROCPRIM_400000_NS6detail17trampoline_kernelINS0_14default_configENS1_22reduce_config_selectorIN6thrust23THRUST_200600_302600_NS5tupleIblNS6_9null_typeES8_S8_S8_S8_S8_S8_S8_EEEEZNS1_11reduce_implILb1ES3_NS6_12zip_iteratorINS7_INS6_11hip_rocprim26transform_input_iterator_tIbNSD_35transform_pair_of_input_iterators_tIbNS6_6detail15normal_iteratorINS6_10device_ptrIKdEEEESL_NS6_8equal_toIdEEEENSG_9not_fun_tINSD_8identityEEEEENSD_19counting_iterator_tIlEES8_S8_S8_S8_S8_S8_S8_S8_EEEEPS9_S9_NSD_9__find_if7functorIS9_EEEE10hipError_tPvRmT1_T2_T3_mT4_P12ihipStream_tbEUlT_E1_NS1_11comp_targetILNS1_3genE9ELNS1_11target_archE1100ELNS1_3gpuE3ELNS1_3repE0EEENS1_30default_config_static_selectorELNS0_4arch9wavefront6targetE1EEEvS14_: ; @_ZN7rocprim17ROCPRIM_400000_NS6detail17trampoline_kernelINS0_14default_configENS1_22reduce_config_selectorIN6thrust23THRUST_200600_302600_NS5tupleIblNS6_9null_typeES8_S8_S8_S8_S8_S8_S8_EEEEZNS1_11reduce_implILb1ES3_NS6_12zip_iteratorINS7_INS6_11hip_rocprim26transform_input_iterator_tIbNSD_35transform_pair_of_input_iterators_tIbNS6_6detail15normal_iteratorINS6_10device_ptrIKdEEEESL_NS6_8equal_toIdEEEENSG_9not_fun_tINSD_8identityEEEEENSD_19counting_iterator_tIlEES8_S8_S8_S8_S8_S8_S8_S8_EEEEPS9_S9_NSD_9__find_if7functorIS9_EEEE10hipError_tPvRmT1_T2_T3_mT4_P12ihipStream_tbEUlT_E1_NS1_11comp_targetILNS1_3genE9ELNS1_11target_archE1100ELNS1_3gpuE3ELNS1_3repE0EEENS1_30default_config_static_selectorELNS0_4arch9wavefront6targetE1EEEvS14_
; %bb.0:
	.section	.rodata,"a",@progbits
	.p2align	6, 0x0
	.amdhsa_kernel _ZN7rocprim17ROCPRIM_400000_NS6detail17trampoline_kernelINS0_14default_configENS1_22reduce_config_selectorIN6thrust23THRUST_200600_302600_NS5tupleIblNS6_9null_typeES8_S8_S8_S8_S8_S8_S8_EEEEZNS1_11reduce_implILb1ES3_NS6_12zip_iteratorINS7_INS6_11hip_rocprim26transform_input_iterator_tIbNSD_35transform_pair_of_input_iterators_tIbNS6_6detail15normal_iteratorINS6_10device_ptrIKdEEEESL_NS6_8equal_toIdEEEENSG_9not_fun_tINSD_8identityEEEEENSD_19counting_iterator_tIlEES8_S8_S8_S8_S8_S8_S8_S8_EEEEPS9_S9_NSD_9__find_if7functorIS9_EEEE10hipError_tPvRmT1_T2_T3_mT4_P12ihipStream_tbEUlT_E1_NS1_11comp_targetILNS1_3genE9ELNS1_11target_archE1100ELNS1_3gpuE3ELNS1_3repE0EEENS1_30default_config_static_selectorELNS0_4arch9wavefront6targetE1EEEvS14_
		.amdhsa_group_segment_fixed_size 0
		.amdhsa_private_segment_fixed_size 0
		.amdhsa_kernarg_size 88
		.amdhsa_user_sgpr_count 6
		.amdhsa_user_sgpr_private_segment_buffer 1
		.amdhsa_user_sgpr_dispatch_ptr 0
		.amdhsa_user_sgpr_queue_ptr 0
		.amdhsa_user_sgpr_kernarg_segment_ptr 1
		.amdhsa_user_sgpr_dispatch_id 0
		.amdhsa_user_sgpr_flat_scratch_init 0
		.amdhsa_user_sgpr_kernarg_preload_length 0
		.amdhsa_user_sgpr_kernarg_preload_offset 0
		.amdhsa_user_sgpr_private_segment_size 0
		.amdhsa_uses_dynamic_stack 0
		.amdhsa_system_sgpr_private_segment_wavefront_offset 0
		.amdhsa_system_sgpr_workgroup_id_x 1
		.amdhsa_system_sgpr_workgroup_id_y 0
		.amdhsa_system_sgpr_workgroup_id_z 0
		.amdhsa_system_sgpr_workgroup_info 0
		.amdhsa_system_vgpr_workitem_id 0
		.amdhsa_next_free_vgpr 1
		.amdhsa_next_free_sgpr 0
		.amdhsa_accum_offset 4
		.amdhsa_reserve_vcc 0
		.amdhsa_reserve_flat_scratch 0
		.amdhsa_float_round_mode_32 0
		.amdhsa_float_round_mode_16_64 0
		.amdhsa_float_denorm_mode_32 3
		.amdhsa_float_denorm_mode_16_64 3
		.amdhsa_dx10_clamp 1
		.amdhsa_ieee_mode 1
		.amdhsa_fp16_overflow 0
		.amdhsa_tg_split 0
		.amdhsa_exception_fp_ieee_invalid_op 0
		.amdhsa_exception_fp_denorm_src 0
		.amdhsa_exception_fp_ieee_div_zero 0
		.amdhsa_exception_fp_ieee_overflow 0
		.amdhsa_exception_fp_ieee_underflow 0
		.amdhsa_exception_fp_ieee_inexact 0
		.amdhsa_exception_int_div_zero 0
	.end_amdhsa_kernel
	.section	.text._ZN7rocprim17ROCPRIM_400000_NS6detail17trampoline_kernelINS0_14default_configENS1_22reduce_config_selectorIN6thrust23THRUST_200600_302600_NS5tupleIblNS6_9null_typeES8_S8_S8_S8_S8_S8_S8_EEEEZNS1_11reduce_implILb1ES3_NS6_12zip_iteratorINS7_INS6_11hip_rocprim26transform_input_iterator_tIbNSD_35transform_pair_of_input_iterators_tIbNS6_6detail15normal_iteratorINS6_10device_ptrIKdEEEESL_NS6_8equal_toIdEEEENSG_9not_fun_tINSD_8identityEEEEENSD_19counting_iterator_tIlEES8_S8_S8_S8_S8_S8_S8_S8_EEEEPS9_S9_NSD_9__find_if7functorIS9_EEEE10hipError_tPvRmT1_T2_T3_mT4_P12ihipStream_tbEUlT_E1_NS1_11comp_targetILNS1_3genE9ELNS1_11target_archE1100ELNS1_3gpuE3ELNS1_3repE0EEENS1_30default_config_static_selectorELNS0_4arch9wavefront6targetE1EEEvS14_,"axG",@progbits,_ZN7rocprim17ROCPRIM_400000_NS6detail17trampoline_kernelINS0_14default_configENS1_22reduce_config_selectorIN6thrust23THRUST_200600_302600_NS5tupleIblNS6_9null_typeES8_S8_S8_S8_S8_S8_S8_EEEEZNS1_11reduce_implILb1ES3_NS6_12zip_iteratorINS7_INS6_11hip_rocprim26transform_input_iterator_tIbNSD_35transform_pair_of_input_iterators_tIbNS6_6detail15normal_iteratorINS6_10device_ptrIKdEEEESL_NS6_8equal_toIdEEEENSG_9not_fun_tINSD_8identityEEEEENSD_19counting_iterator_tIlEES8_S8_S8_S8_S8_S8_S8_S8_EEEEPS9_S9_NSD_9__find_if7functorIS9_EEEE10hipError_tPvRmT1_T2_T3_mT4_P12ihipStream_tbEUlT_E1_NS1_11comp_targetILNS1_3genE9ELNS1_11target_archE1100ELNS1_3gpuE3ELNS1_3repE0EEENS1_30default_config_static_selectorELNS0_4arch9wavefront6targetE1EEEvS14_,comdat
.Lfunc_end53:
	.size	_ZN7rocprim17ROCPRIM_400000_NS6detail17trampoline_kernelINS0_14default_configENS1_22reduce_config_selectorIN6thrust23THRUST_200600_302600_NS5tupleIblNS6_9null_typeES8_S8_S8_S8_S8_S8_S8_EEEEZNS1_11reduce_implILb1ES3_NS6_12zip_iteratorINS7_INS6_11hip_rocprim26transform_input_iterator_tIbNSD_35transform_pair_of_input_iterators_tIbNS6_6detail15normal_iteratorINS6_10device_ptrIKdEEEESL_NS6_8equal_toIdEEEENSG_9not_fun_tINSD_8identityEEEEENSD_19counting_iterator_tIlEES8_S8_S8_S8_S8_S8_S8_S8_EEEEPS9_S9_NSD_9__find_if7functorIS9_EEEE10hipError_tPvRmT1_T2_T3_mT4_P12ihipStream_tbEUlT_E1_NS1_11comp_targetILNS1_3genE9ELNS1_11target_archE1100ELNS1_3gpuE3ELNS1_3repE0EEENS1_30default_config_static_selectorELNS0_4arch9wavefront6targetE1EEEvS14_, .Lfunc_end53-_ZN7rocprim17ROCPRIM_400000_NS6detail17trampoline_kernelINS0_14default_configENS1_22reduce_config_selectorIN6thrust23THRUST_200600_302600_NS5tupleIblNS6_9null_typeES8_S8_S8_S8_S8_S8_S8_EEEEZNS1_11reduce_implILb1ES3_NS6_12zip_iteratorINS7_INS6_11hip_rocprim26transform_input_iterator_tIbNSD_35transform_pair_of_input_iterators_tIbNS6_6detail15normal_iteratorINS6_10device_ptrIKdEEEESL_NS6_8equal_toIdEEEENSG_9not_fun_tINSD_8identityEEEEENSD_19counting_iterator_tIlEES8_S8_S8_S8_S8_S8_S8_S8_EEEEPS9_S9_NSD_9__find_if7functorIS9_EEEE10hipError_tPvRmT1_T2_T3_mT4_P12ihipStream_tbEUlT_E1_NS1_11comp_targetILNS1_3genE9ELNS1_11target_archE1100ELNS1_3gpuE3ELNS1_3repE0EEENS1_30default_config_static_selectorELNS0_4arch9wavefront6targetE1EEEvS14_
                                        ; -- End function
	.section	.AMDGPU.csdata,"",@progbits
; Kernel info:
; codeLenInByte = 0
; NumSgprs: 4
; NumVgprs: 0
; NumAgprs: 0
; TotalNumVgprs: 0
; ScratchSize: 0
; MemoryBound: 0
; FloatMode: 240
; IeeeMode: 1
; LDSByteSize: 0 bytes/workgroup (compile time only)
; SGPRBlocks: 0
; VGPRBlocks: 0
; NumSGPRsForWavesPerEU: 4
; NumVGPRsForWavesPerEU: 1
; AccumOffset: 4
; Occupancy: 8
; WaveLimiterHint : 0
; COMPUTE_PGM_RSRC2:SCRATCH_EN: 0
; COMPUTE_PGM_RSRC2:USER_SGPR: 6
; COMPUTE_PGM_RSRC2:TRAP_HANDLER: 0
; COMPUTE_PGM_RSRC2:TGID_X_EN: 1
; COMPUTE_PGM_RSRC2:TGID_Y_EN: 0
; COMPUTE_PGM_RSRC2:TGID_Z_EN: 0
; COMPUTE_PGM_RSRC2:TIDIG_COMP_CNT: 0
; COMPUTE_PGM_RSRC3_GFX90A:ACCUM_OFFSET: 0
; COMPUTE_PGM_RSRC3_GFX90A:TG_SPLIT: 0
	.section	.text._ZN7rocprim17ROCPRIM_400000_NS6detail17trampoline_kernelINS0_14default_configENS1_22reduce_config_selectorIN6thrust23THRUST_200600_302600_NS5tupleIblNS6_9null_typeES8_S8_S8_S8_S8_S8_S8_EEEEZNS1_11reduce_implILb1ES3_NS6_12zip_iteratorINS7_INS6_11hip_rocprim26transform_input_iterator_tIbNSD_35transform_pair_of_input_iterators_tIbNS6_6detail15normal_iteratorINS6_10device_ptrIKdEEEESL_NS6_8equal_toIdEEEENSG_9not_fun_tINSD_8identityEEEEENSD_19counting_iterator_tIlEES8_S8_S8_S8_S8_S8_S8_S8_EEEEPS9_S9_NSD_9__find_if7functorIS9_EEEE10hipError_tPvRmT1_T2_T3_mT4_P12ihipStream_tbEUlT_E1_NS1_11comp_targetILNS1_3genE8ELNS1_11target_archE1030ELNS1_3gpuE2ELNS1_3repE0EEENS1_30default_config_static_selectorELNS0_4arch9wavefront6targetE1EEEvS14_,"axG",@progbits,_ZN7rocprim17ROCPRIM_400000_NS6detail17trampoline_kernelINS0_14default_configENS1_22reduce_config_selectorIN6thrust23THRUST_200600_302600_NS5tupleIblNS6_9null_typeES8_S8_S8_S8_S8_S8_S8_EEEEZNS1_11reduce_implILb1ES3_NS6_12zip_iteratorINS7_INS6_11hip_rocprim26transform_input_iterator_tIbNSD_35transform_pair_of_input_iterators_tIbNS6_6detail15normal_iteratorINS6_10device_ptrIKdEEEESL_NS6_8equal_toIdEEEENSG_9not_fun_tINSD_8identityEEEEENSD_19counting_iterator_tIlEES8_S8_S8_S8_S8_S8_S8_S8_EEEEPS9_S9_NSD_9__find_if7functorIS9_EEEE10hipError_tPvRmT1_T2_T3_mT4_P12ihipStream_tbEUlT_E1_NS1_11comp_targetILNS1_3genE8ELNS1_11target_archE1030ELNS1_3gpuE2ELNS1_3repE0EEENS1_30default_config_static_selectorELNS0_4arch9wavefront6targetE1EEEvS14_,comdat
	.protected	_ZN7rocprim17ROCPRIM_400000_NS6detail17trampoline_kernelINS0_14default_configENS1_22reduce_config_selectorIN6thrust23THRUST_200600_302600_NS5tupleIblNS6_9null_typeES8_S8_S8_S8_S8_S8_S8_EEEEZNS1_11reduce_implILb1ES3_NS6_12zip_iteratorINS7_INS6_11hip_rocprim26transform_input_iterator_tIbNSD_35transform_pair_of_input_iterators_tIbNS6_6detail15normal_iteratorINS6_10device_ptrIKdEEEESL_NS6_8equal_toIdEEEENSG_9not_fun_tINSD_8identityEEEEENSD_19counting_iterator_tIlEES8_S8_S8_S8_S8_S8_S8_S8_EEEEPS9_S9_NSD_9__find_if7functorIS9_EEEE10hipError_tPvRmT1_T2_T3_mT4_P12ihipStream_tbEUlT_E1_NS1_11comp_targetILNS1_3genE8ELNS1_11target_archE1030ELNS1_3gpuE2ELNS1_3repE0EEENS1_30default_config_static_selectorELNS0_4arch9wavefront6targetE1EEEvS14_ ; -- Begin function _ZN7rocprim17ROCPRIM_400000_NS6detail17trampoline_kernelINS0_14default_configENS1_22reduce_config_selectorIN6thrust23THRUST_200600_302600_NS5tupleIblNS6_9null_typeES8_S8_S8_S8_S8_S8_S8_EEEEZNS1_11reduce_implILb1ES3_NS6_12zip_iteratorINS7_INS6_11hip_rocprim26transform_input_iterator_tIbNSD_35transform_pair_of_input_iterators_tIbNS6_6detail15normal_iteratorINS6_10device_ptrIKdEEEESL_NS6_8equal_toIdEEEENSG_9not_fun_tINSD_8identityEEEEENSD_19counting_iterator_tIlEES8_S8_S8_S8_S8_S8_S8_S8_EEEEPS9_S9_NSD_9__find_if7functorIS9_EEEE10hipError_tPvRmT1_T2_T3_mT4_P12ihipStream_tbEUlT_E1_NS1_11comp_targetILNS1_3genE8ELNS1_11target_archE1030ELNS1_3gpuE2ELNS1_3repE0EEENS1_30default_config_static_selectorELNS0_4arch9wavefront6targetE1EEEvS14_
	.globl	_ZN7rocprim17ROCPRIM_400000_NS6detail17trampoline_kernelINS0_14default_configENS1_22reduce_config_selectorIN6thrust23THRUST_200600_302600_NS5tupleIblNS6_9null_typeES8_S8_S8_S8_S8_S8_S8_EEEEZNS1_11reduce_implILb1ES3_NS6_12zip_iteratorINS7_INS6_11hip_rocprim26transform_input_iterator_tIbNSD_35transform_pair_of_input_iterators_tIbNS6_6detail15normal_iteratorINS6_10device_ptrIKdEEEESL_NS6_8equal_toIdEEEENSG_9not_fun_tINSD_8identityEEEEENSD_19counting_iterator_tIlEES8_S8_S8_S8_S8_S8_S8_S8_EEEEPS9_S9_NSD_9__find_if7functorIS9_EEEE10hipError_tPvRmT1_T2_T3_mT4_P12ihipStream_tbEUlT_E1_NS1_11comp_targetILNS1_3genE8ELNS1_11target_archE1030ELNS1_3gpuE2ELNS1_3repE0EEENS1_30default_config_static_selectorELNS0_4arch9wavefront6targetE1EEEvS14_
	.p2align	8
	.type	_ZN7rocprim17ROCPRIM_400000_NS6detail17trampoline_kernelINS0_14default_configENS1_22reduce_config_selectorIN6thrust23THRUST_200600_302600_NS5tupleIblNS6_9null_typeES8_S8_S8_S8_S8_S8_S8_EEEEZNS1_11reduce_implILb1ES3_NS6_12zip_iteratorINS7_INS6_11hip_rocprim26transform_input_iterator_tIbNSD_35transform_pair_of_input_iterators_tIbNS6_6detail15normal_iteratorINS6_10device_ptrIKdEEEESL_NS6_8equal_toIdEEEENSG_9not_fun_tINSD_8identityEEEEENSD_19counting_iterator_tIlEES8_S8_S8_S8_S8_S8_S8_S8_EEEEPS9_S9_NSD_9__find_if7functorIS9_EEEE10hipError_tPvRmT1_T2_T3_mT4_P12ihipStream_tbEUlT_E1_NS1_11comp_targetILNS1_3genE8ELNS1_11target_archE1030ELNS1_3gpuE2ELNS1_3repE0EEENS1_30default_config_static_selectorELNS0_4arch9wavefront6targetE1EEEvS14_,@function
_ZN7rocprim17ROCPRIM_400000_NS6detail17trampoline_kernelINS0_14default_configENS1_22reduce_config_selectorIN6thrust23THRUST_200600_302600_NS5tupleIblNS6_9null_typeES8_S8_S8_S8_S8_S8_S8_EEEEZNS1_11reduce_implILb1ES3_NS6_12zip_iteratorINS7_INS6_11hip_rocprim26transform_input_iterator_tIbNSD_35transform_pair_of_input_iterators_tIbNS6_6detail15normal_iteratorINS6_10device_ptrIKdEEEESL_NS6_8equal_toIdEEEENSG_9not_fun_tINSD_8identityEEEEENSD_19counting_iterator_tIlEES8_S8_S8_S8_S8_S8_S8_S8_EEEEPS9_S9_NSD_9__find_if7functorIS9_EEEE10hipError_tPvRmT1_T2_T3_mT4_P12ihipStream_tbEUlT_E1_NS1_11comp_targetILNS1_3genE8ELNS1_11target_archE1030ELNS1_3gpuE2ELNS1_3repE0EEENS1_30default_config_static_selectorELNS0_4arch9wavefront6targetE1EEEvS14_: ; @_ZN7rocprim17ROCPRIM_400000_NS6detail17trampoline_kernelINS0_14default_configENS1_22reduce_config_selectorIN6thrust23THRUST_200600_302600_NS5tupleIblNS6_9null_typeES8_S8_S8_S8_S8_S8_S8_EEEEZNS1_11reduce_implILb1ES3_NS6_12zip_iteratorINS7_INS6_11hip_rocprim26transform_input_iterator_tIbNSD_35transform_pair_of_input_iterators_tIbNS6_6detail15normal_iteratorINS6_10device_ptrIKdEEEESL_NS6_8equal_toIdEEEENSG_9not_fun_tINSD_8identityEEEEENSD_19counting_iterator_tIlEES8_S8_S8_S8_S8_S8_S8_S8_EEEEPS9_S9_NSD_9__find_if7functorIS9_EEEE10hipError_tPvRmT1_T2_T3_mT4_P12ihipStream_tbEUlT_E1_NS1_11comp_targetILNS1_3genE8ELNS1_11target_archE1030ELNS1_3gpuE2ELNS1_3repE0EEENS1_30default_config_static_selectorELNS0_4arch9wavefront6targetE1EEEvS14_
; %bb.0:
	.section	.rodata,"a",@progbits
	.p2align	6, 0x0
	.amdhsa_kernel _ZN7rocprim17ROCPRIM_400000_NS6detail17trampoline_kernelINS0_14default_configENS1_22reduce_config_selectorIN6thrust23THRUST_200600_302600_NS5tupleIblNS6_9null_typeES8_S8_S8_S8_S8_S8_S8_EEEEZNS1_11reduce_implILb1ES3_NS6_12zip_iteratorINS7_INS6_11hip_rocprim26transform_input_iterator_tIbNSD_35transform_pair_of_input_iterators_tIbNS6_6detail15normal_iteratorINS6_10device_ptrIKdEEEESL_NS6_8equal_toIdEEEENSG_9not_fun_tINSD_8identityEEEEENSD_19counting_iterator_tIlEES8_S8_S8_S8_S8_S8_S8_S8_EEEEPS9_S9_NSD_9__find_if7functorIS9_EEEE10hipError_tPvRmT1_T2_T3_mT4_P12ihipStream_tbEUlT_E1_NS1_11comp_targetILNS1_3genE8ELNS1_11target_archE1030ELNS1_3gpuE2ELNS1_3repE0EEENS1_30default_config_static_selectorELNS0_4arch9wavefront6targetE1EEEvS14_
		.amdhsa_group_segment_fixed_size 0
		.amdhsa_private_segment_fixed_size 0
		.amdhsa_kernarg_size 88
		.amdhsa_user_sgpr_count 6
		.amdhsa_user_sgpr_private_segment_buffer 1
		.amdhsa_user_sgpr_dispatch_ptr 0
		.amdhsa_user_sgpr_queue_ptr 0
		.amdhsa_user_sgpr_kernarg_segment_ptr 1
		.amdhsa_user_sgpr_dispatch_id 0
		.amdhsa_user_sgpr_flat_scratch_init 0
		.amdhsa_user_sgpr_kernarg_preload_length 0
		.amdhsa_user_sgpr_kernarg_preload_offset 0
		.amdhsa_user_sgpr_private_segment_size 0
		.amdhsa_uses_dynamic_stack 0
		.amdhsa_system_sgpr_private_segment_wavefront_offset 0
		.amdhsa_system_sgpr_workgroup_id_x 1
		.amdhsa_system_sgpr_workgroup_id_y 0
		.amdhsa_system_sgpr_workgroup_id_z 0
		.amdhsa_system_sgpr_workgroup_info 0
		.amdhsa_system_vgpr_workitem_id 0
		.amdhsa_next_free_vgpr 1
		.amdhsa_next_free_sgpr 0
		.amdhsa_accum_offset 4
		.amdhsa_reserve_vcc 0
		.amdhsa_reserve_flat_scratch 0
		.amdhsa_float_round_mode_32 0
		.amdhsa_float_round_mode_16_64 0
		.amdhsa_float_denorm_mode_32 3
		.amdhsa_float_denorm_mode_16_64 3
		.amdhsa_dx10_clamp 1
		.amdhsa_ieee_mode 1
		.amdhsa_fp16_overflow 0
		.amdhsa_tg_split 0
		.amdhsa_exception_fp_ieee_invalid_op 0
		.amdhsa_exception_fp_denorm_src 0
		.amdhsa_exception_fp_ieee_div_zero 0
		.amdhsa_exception_fp_ieee_overflow 0
		.amdhsa_exception_fp_ieee_underflow 0
		.amdhsa_exception_fp_ieee_inexact 0
		.amdhsa_exception_int_div_zero 0
	.end_amdhsa_kernel
	.section	.text._ZN7rocprim17ROCPRIM_400000_NS6detail17trampoline_kernelINS0_14default_configENS1_22reduce_config_selectorIN6thrust23THRUST_200600_302600_NS5tupleIblNS6_9null_typeES8_S8_S8_S8_S8_S8_S8_EEEEZNS1_11reduce_implILb1ES3_NS6_12zip_iteratorINS7_INS6_11hip_rocprim26transform_input_iterator_tIbNSD_35transform_pair_of_input_iterators_tIbNS6_6detail15normal_iteratorINS6_10device_ptrIKdEEEESL_NS6_8equal_toIdEEEENSG_9not_fun_tINSD_8identityEEEEENSD_19counting_iterator_tIlEES8_S8_S8_S8_S8_S8_S8_S8_EEEEPS9_S9_NSD_9__find_if7functorIS9_EEEE10hipError_tPvRmT1_T2_T3_mT4_P12ihipStream_tbEUlT_E1_NS1_11comp_targetILNS1_3genE8ELNS1_11target_archE1030ELNS1_3gpuE2ELNS1_3repE0EEENS1_30default_config_static_selectorELNS0_4arch9wavefront6targetE1EEEvS14_,"axG",@progbits,_ZN7rocprim17ROCPRIM_400000_NS6detail17trampoline_kernelINS0_14default_configENS1_22reduce_config_selectorIN6thrust23THRUST_200600_302600_NS5tupleIblNS6_9null_typeES8_S8_S8_S8_S8_S8_S8_EEEEZNS1_11reduce_implILb1ES3_NS6_12zip_iteratorINS7_INS6_11hip_rocprim26transform_input_iterator_tIbNSD_35transform_pair_of_input_iterators_tIbNS6_6detail15normal_iteratorINS6_10device_ptrIKdEEEESL_NS6_8equal_toIdEEEENSG_9not_fun_tINSD_8identityEEEEENSD_19counting_iterator_tIlEES8_S8_S8_S8_S8_S8_S8_S8_EEEEPS9_S9_NSD_9__find_if7functorIS9_EEEE10hipError_tPvRmT1_T2_T3_mT4_P12ihipStream_tbEUlT_E1_NS1_11comp_targetILNS1_3genE8ELNS1_11target_archE1030ELNS1_3gpuE2ELNS1_3repE0EEENS1_30default_config_static_selectorELNS0_4arch9wavefront6targetE1EEEvS14_,comdat
.Lfunc_end54:
	.size	_ZN7rocprim17ROCPRIM_400000_NS6detail17trampoline_kernelINS0_14default_configENS1_22reduce_config_selectorIN6thrust23THRUST_200600_302600_NS5tupleIblNS6_9null_typeES8_S8_S8_S8_S8_S8_S8_EEEEZNS1_11reduce_implILb1ES3_NS6_12zip_iteratorINS7_INS6_11hip_rocprim26transform_input_iterator_tIbNSD_35transform_pair_of_input_iterators_tIbNS6_6detail15normal_iteratorINS6_10device_ptrIKdEEEESL_NS6_8equal_toIdEEEENSG_9not_fun_tINSD_8identityEEEEENSD_19counting_iterator_tIlEES8_S8_S8_S8_S8_S8_S8_S8_EEEEPS9_S9_NSD_9__find_if7functorIS9_EEEE10hipError_tPvRmT1_T2_T3_mT4_P12ihipStream_tbEUlT_E1_NS1_11comp_targetILNS1_3genE8ELNS1_11target_archE1030ELNS1_3gpuE2ELNS1_3repE0EEENS1_30default_config_static_selectorELNS0_4arch9wavefront6targetE1EEEvS14_, .Lfunc_end54-_ZN7rocprim17ROCPRIM_400000_NS6detail17trampoline_kernelINS0_14default_configENS1_22reduce_config_selectorIN6thrust23THRUST_200600_302600_NS5tupleIblNS6_9null_typeES8_S8_S8_S8_S8_S8_S8_EEEEZNS1_11reduce_implILb1ES3_NS6_12zip_iteratorINS7_INS6_11hip_rocprim26transform_input_iterator_tIbNSD_35transform_pair_of_input_iterators_tIbNS6_6detail15normal_iteratorINS6_10device_ptrIKdEEEESL_NS6_8equal_toIdEEEENSG_9not_fun_tINSD_8identityEEEEENSD_19counting_iterator_tIlEES8_S8_S8_S8_S8_S8_S8_S8_EEEEPS9_S9_NSD_9__find_if7functorIS9_EEEE10hipError_tPvRmT1_T2_T3_mT4_P12ihipStream_tbEUlT_E1_NS1_11comp_targetILNS1_3genE8ELNS1_11target_archE1030ELNS1_3gpuE2ELNS1_3repE0EEENS1_30default_config_static_selectorELNS0_4arch9wavefront6targetE1EEEvS14_
                                        ; -- End function
	.section	.AMDGPU.csdata,"",@progbits
; Kernel info:
; codeLenInByte = 0
; NumSgprs: 4
; NumVgprs: 0
; NumAgprs: 0
; TotalNumVgprs: 0
; ScratchSize: 0
; MemoryBound: 0
; FloatMode: 240
; IeeeMode: 1
; LDSByteSize: 0 bytes/workgroup (compile time only)
; SGPRBlocks: 0
; VGPRBlocks: 0
; NumSGPRsForWavesPerEU: 4
; NumVGPRsForWavesPerEU: 1
; AccumOffset: 4
; Occupancy: 8
; WaveLimiterHint : 0
; COMPUTE_PGM_RSRC2:SCRATCH_EN: 0
; COMPUTE_PGM_RSRC2:USER_SGPR: 6
; COMPUTE_PGM_RSRC2:TRAP_HANDLER: 0
; COMPUTE_PGM_RSRC2:TGID_X_EN: 1
; COMPUTE_PGM_RSRC2:TGID_Y_EN: 0
; COMPUTE_PGM_RSRC2:TGID_Z_EN: 0
; COMPUTE_PGM_RSRC2:TIDIG_COMP_CNT: 0
; COMPUTE_PGM_RSRC3_GFX90A:ACCUM_OFFSET: 0
; COMPUTE_PGM_RSRC3_GFX90A:TG_SPLIT: 0
	.section	.text._ZN6thrust23THRUST_200600_302600_NS11hip_rocprim14__parallel_for6kernelILj256ENS1_10for_each_fINS0_7pointerINS0_5tupleIblNS0_9null_typeES7_S7_S7_S7_S7_S7_S7_EENS1_3tagENS0_11use_defaultESA_EENS0_6detail16wrapped_functionINSC_23allocator_traits_detail24construct1_via_allocatorINSC_18no_throw_allocatorINSC_19temporary_allocatorIS8_S9_EEEEEEvEEEEmLj1EEEvT0_T1_SO_,"axG",@progbits,_ZN6thrust23THRUST_200600_302600_NS11hip_rocprim14__parallel_for6kernelILj256ENS1_10for_each_fINS0_7pointerINS0_5tupleIblNS0_9null_typeES7_S7_S7_S7_S7_S7_S7_EENS1_3tagENS0_11use_defaultESA_EENS0_6detail16wrapped_functionINSC_23allocator_traits_detail24construct1_via_allocatorINSC_18no_throw_allocatorINSC_19temporary_allocatorIS8_S9_EEEEEEvEEEEmLj1EEEvT0_T1_SO_,comdat
	.protected	_ZN6thrust23THRUST_200600_302600_NS11hip_rocprim14__parallel_for6kernelILj256ENS1_10for_each_fINS0_7pointerINS0_5tupleIblNS0_9null_typeES7_S7_S7_S7_S7_S7_S7_EENS1_3tagENS0_11use_defaultESA_EENS0_6detail16wrapped_functionINSC_23allocator_traits_detail24construct1_via_allocatorINSC_18no_throw_allocatorINSC_19temporary_allocatorIS8_S9_EEEEEEvEEEEmLj1EEEvT0_T1_SO_ ; -- Begin function _ZN6thrust23THRUST_200600_302600_NS11hip_rocprim14__parallel_for6kernelILj256ENS1_10for_each_fINS0_7pointerINS0_5tupleIblNS0_9null_typeES7_S7_S7_S7_S7_S7_S7_EENS1_3tagENS0_11use_defaultESA_EENS0_6detail16wrapped_functionINSC_23allocator_traits_detail24construct1_via_allocatorINSC_18no_throw_allocatorINSC_19temporary_allocatorIS8_S9_EEEEEEvEEEEmLj1EEEvT0_T1_SO_
	.globl	_ZN6thrust23THRUST_200600_302600_NS11hip_rocprim14__parallel_for6kernelILj256ENS1_10for_each_fINS0_7pointerINS0_5tupleIblNS0_9null_typeES7_S7_S7_S7_S7_S7_S7_EENS1_3tagENS0_11use_defaultESA_EENS0_6detail16wrapped_functionINSC_23allocator_traits_detail24construct1_via_allocatorINSC_18no_throw_allocatorINSC_19temporary_allocatorIS8_S9_EEEEEEvEEEEmLj1EEEvT0_T1_SO_
	.p2align	8
	.type	_ZN6thrust23THRUST_200600_302600_NS11hip_rocprim14__parallel_for6kernelILj256ENS1_10for_each_fINS0_7pointerINS0_5tupleIblNS0_9null_typeES7_S7_S7_S7_S7_S7_S7_EENS1_3tagENS0_11use_defaultESA_EENS0_6detail16wrapped_functionINSC_23allocator_traits_detail24construct1_via_allocatorINSC_18no_throw_allocatorINSC_19temporary_allocatorIS8_S9_EEEEEEvEEEEmLj1EEEvT0_T1_SO_,@function
_ZN6thrust23THRUST_200600_302600_NS11hip_rocprim14__parallel_for6kernelILj256ENS1_10for_each_fINS0_7pointerINS0_5tupleIblNS0_9null_typeES7_S7_S7_S7_S7_S7_S7_EENS1_3tagENS0_11use_defaultESA_EENS0_6detail16wrapped_functionINSC_23allocator_traits_detail24construct1_via_allocatorINSC_18no_throw_allocatorINSC_19temporary_allocatorIS8_S9_EEEEEEvEEEEmLj1EEEvT0_T1_SO_: ; @_ZN6thrust23THRUST_200600_302600_NS11hip_rocprim14__parallel_for6kernelILj256ENS1_10for_each_fINS0_7pointerINS0_5tupleIblNS0_9null_typeES7_S7_S7_S7_S7_S7_S7_EENS1_3tagENS0_11use_defaultESA_EENS0_6detail16wrapped_functionINSC_23allocator_traits_detail24construct1_via_allocatorINSC_18no_throw_allocatorINSC_19temporary_allocatorIS8_S9_EEEEEEvEEEEmLj1EEEvT0_T1_SO_
; %bb.0:
	s_load_dwordx4 s[8:11], s[4:5], 0x10
	s_load_dwordx2 s[0:1], s[4:5], 0x0
	s_lshl_b32 s2, s6, 8
	v_mov_b32_e32 v2, 0x100
	v_mov_b32_e32 v3, 0
	s_waitcnt lgkmcnt(0)
	s_add_u32 s4, s2, s10
	s_addc_u32 s5, 0, s11
	s_sub_u32 s2, s8, s4
	s_subb_u32 s3, s9, s5
	v_cmp_lt_u64_e32 vcc, s[2:3], v[2:3]
	s_cbranch_vccz .LBB55_4
; %bb.1:
	v_cmp_gt_u32_e32 vcc, s2, v0
	s_mov_b64 s[6:7], 0
	s_mov_b64 s[2:3], 0
                                        ; implicit-def: $vgpr2_vgpr3
	s_and_saveexec_b64 s[8:9], vcc
	s_xor_b64 s[8:9], exec, s[8:9]
; %bb.2:
	s_lshl_b64 s[10:11], s[4:5], 4
	s_add_u32 s10, s0, s10
	s_addc_u32 s11, s1, s11
	v_lshlrev_b32_e32 v1, 4, v0
	v_mov_b32_e32 v3, s11
	v_add_co_u32_e32 v2, vcc, s10, v1
	s_mov_b64 s[2:3], exec
	v_addc_co_u32_e32 v3, vcc, 0, v3, vcc
; %bb.3:
	s_or_b64 exec, exec, s[8:9]
	s_and_b64 vcc, exec, s[6:7]
	s_cbranch_vccnz .LBB55_5
	s_branch .LBB55_6
.LBB55_4:
	s_mov_b64 s[2:3], 0
                                        ; implicit-def: $vgpr2_vgpr3
	s_cbranch_execz .LBB55_6
.LBB55_5:
	s_lshl_b64 s[4:5], s[4:5], 4
	s_add_u32 s0, s0, s4
	s_addc_u32 s1, s1, s5
	v_lshlrev_b32_e32 v0, 4, v0
	v_mov_b32_e32 v1, s1
	v_add_co_u32_e32 v2, vcc, s0, v0
	v_addc_co_u32_e32 v3, vcc, 0, v1, vcc
	s_or_b64 s[2:3], s[2:3], exec
.LBB55_6:
	s_and_saveexec_b64 s[0:1], s[2:3]
	s_cbranch_execnz .LBB55_8
; %bb.7:
	s_endpgm
.LBB55_8:
	v_mov_b32_e32 v0, 0
	v_mov_b32_e32 v1, v0
	flat_store_byte v[2:3], v0
	flat_store_dwordx2 v[2:3], v[0:1] offset:8
	s_endpgm
	.section	.rodata,"a",@progbits
	.p2align	6, 0x0
	.amdhsa_kernel _ZN6thrust23THRUST_200600_302600_NS11hip_rocprim14__parallel_for6kernelILj256ENS1_10for_each_fINS0_7pointerINS0_5tupleIblNS0_9null_typeES7_S7_S7_S7_S7_S7_S7_EENS1_3tagENS0_11use_defaultESA_EENS0_6detail16wrapped_functionINSC_23allocator_traits_detail24construct1_via_allocatorINSC_18no_throw_allocatorINSC_19temporary_allocatorIS8_S9_EEEEEEvEEEEmLj1EEEvT0_T1_SO_
		.amdhsa_group_segment_fixed_size 0
		.amdhsa_private_segment_fixed_size 0
		.amdhsa_kernarg_size 32
		.amdhsa_user_sgpr_count 6
		.amdhsa_user_sgpr_private_segment_buffer 1
		.amdhsa_user_sgpr_dispatch_ptr 0
		.amdhsa_user_sgpr_queue_ptr 0
		.amdhsa_user_sgpr_kernarg_segment_ptr 1
		.amdhsa_user_sgpr_dispatch_id 0
		.amdhsa_user_sgpr_flat_scratch_init 0
		.amdhsa_user_sgpr_kernarg_preload_length 0
		.amdhsa_user_sgpr_kernarg_preload_offset 0
		.amdhsa_user_sgpr_private_segment_size 0
		.amdhsa_uses_dynamic_stack 0
		.amdhsa_system_sgpr_private_segment_wavefront_offset 0
		.amdhsa_system_sgpr_workgroup_id_x 1
		.amdhsa_system_sgpr_workgroup_id_y 0
		.amdhsa_system_sgpr_workgroup_id_z 0
		.amdhsa_system_sgpr_workgroup_info 0
		.amdhsa_system_vgpr_workitem_id 0
		.amdhsa_next_free_vgpr 4
		.amdhsa_next_free_sgpr 12
		.amdhsa_accum_offset 4
		.amdhsa_reserve_vcc 1
		.amdhsa_reserve_flat_scratch 0
		.amdhsa_float_round_mode_32 0
		.amdhsa_float_round_mode_16_64 0
		.amdhsa_float_denorm_mode_32 3
		.amdhsa_float_denorm_mode_16_64 3
		.amdhsa_dx10_clamp 1
		.amdhsa_ieee_mode 1
		.amdhsa_fp16_overflow 0
		.amdhsa_tg_split 0
		.amdhsa_exception_fp_ieee_invalid_op 0
		.amdhsa_exception_fp_denorm_src 0
		.amdhsa_exception_fp_ieee_div_zero 0
		.amdhsa_exception_fp_ieee_overflow 0
		.amdhsa_exception_fp_ieee_underflow 0
		.amdhsa_exception_fp_ieee_inexact 0
		.amdhsa_exception_int_div_zero 0
	.end_amdhsa_kernel
	.section	.text._ZN6thrust23THRUST_200600_302600_NS11hip_rocprim14__parallel_for6kernelILj256ENS1_10for_each_fINS0_7pointerINS0_5tupleIblNS0_9null_typeES7_S7_S7_S7_S7_S7_S7_EENS1_3tagENS0_11use_defaultESA_EENS0_6detail16wrapped_functionINSC_23allocator_traits_detail24construct1_via_allocatorINSC_18no_throw_allocatorINSC_19temporary_allocatorIS8_S9_EEEEEEvEEEEmLj1EEEvT0_T1_SO_,"axG",@progbits,_ZN6thrust23THRUST_200600_302600_NS11hip_rocprim14__parallel_for6kernelILj256ENS1_10for_each_fINS0_7pointerINS0_5tupleIblNS0_9null_typeES7_S7_S7_S7_S7_S7_S7_EENS1_3tagENS0_11use_defaultESA_EENS0_6detail16wrapped_functionINSC_23allocator_traits_detail24construct1_via_allocatorINSC_18no_throw_allocatorINSC_19temporary_allocatorIS8_S9_EEEEEEvEEEEmLj1EEEvT0_T1_SO_,comdat
.Lfunc_end55:
	.size	_ZN6thrust23THRUST_200600_302600_NS11hip_rocprim14__parallel_for6kernelILj256ENS1_10for_each_fINS0_7pointerINS0_5tupleIblNS0_9null_typeES7_S7_S7_S7_S7_S7_S7_EENS1_3tagENS0_11use_defaultESA_EENS0_6detail16wrapped_functionINSC_23allocator_traits_detail24construct1_via_allocatorINSC_18no_throw_allocatorINSC_19temporary_allocatorIS8_S9_EEEEEEvEEEEmLj1EEEvT0_T1_SO_, .Lfunc_end55-_ZN6thrust23THRUST_200600_302600_NS11hip_rocprim14__parallel_for6kernelILj256ENS1_10for_each_fINS0_7pointerINS0_5tupleIblNS0_9null_typeES7_S7_S7_S7_S7_S7_S7_EENS1_3tagENS0_11use_defaultESA_EENS0_6detail16wrapped_functionINSC_23allocator_traits_detail24construct1_via_allocatorINSC_18no_throw_allocatorINSC_19temporary_allocatorIS8_S9_EEEEEEvEEEEmLj1EEEvT0_T1_SO_
                                        ; -- End function
	.section	.AMDGPU.csdata,"",@progbits
; Kernel info:
; codeLenInByte = 208
; NumSgprs: 16
; NumVgprs: 4
; NumAgprs: 0
; TotalNumVgprs: 4
; ScratchSize: 0
; MemoryBound: 0
; FloatMode: 240
; IeeeMode: 1
; LDSByteSize: 0 bytes/workgroup (compile time only)
; SGPRBlocks: 1
; VGPRBlocks: 0
; NumSGPRsForWavesPerEU: 16
; NumVGPRsForWavesPerEU: 4
; AccumOffset: 4
; Occupancy: 8
; WaveLimiterHint : 0
; COMPUTE_PGM_RSRC2:SCRATCH_EN: 0
; COMPUTE_PGM_RSRC2:USER_SGPR: 6
; COMPUTE_PGM_RSRC2:TRAP_HANDLER: 0
; COMPUTE_PGM_RSRC2:TGID_X_EN: 1
; COMPUTE_PGM_RSRC2:TGID_Y_EN: 0
; COMPUTE_PGM_RSRC2:TGID_Z_EN: 0
; COMPUTE_PGM_RSRC2:TIDIG_COMP_CNT: 0
; COMPUTE_PGM_RSRC3_GFX90A:ACCUM_OFFSET: 0
; COMPUTE_PGM_RSRC3_GFX90A:TG_SPLIT: 0
	.section	.text._ZN6thrust23THRUST_200600_302600_NS11hip_rocprim14__parallel_for6kernelILj256ENS1_10for_each_fINS0_7pointerINS0_5tupleIblNS0_9null_typeES7_S7_S7_S7_S7_S7_S7_EENS1_3tagENS0_11use_defaultESA_EENS0_6detail16wrapped_functionINSC_23allocator_traits_detail5gozerEvEEEElLj1EEEvT0_T1_SJ_,"axG",@progbits,_ZN6thrust23THRUST_200600_302600_NS11hip_rocprim14__parallel_for6kernelILj256ENS1_10for_each_fINS0_7pointerINS0_5tupleIblNS0_9null_typeES7_S7_S7_S7_S7_S7_S7_EENS1_3tagENS0_11use_defaultESA_EENS0_6detail16wrapped_functionINSC_23allocator_traits_detail5gozerEvEEEElLj1EEEvT0_T1_SJ_,comdat
	.protected	_ZN6thrust23THRUST_200600_302600_NS11hip_rocprim14__parallel_for6kernelILj256ENS1_10for_each_fINS0_7pointerINS0_5tupleIblNS0_9null_typeES7_S7_S7_S7_S7_S7_S7_EENS1_3tagENS0_11use_defaultESA_EENS0_6detail16wrapped_functionINSC_23allocator_traits_detail5gozerEvEEEElLj1EEEvT0_T1_SJ_ ; -- Begin function _ZN6thrust23THRUST_200600_302600_NS11hip_rocprim14__parallel_for6kernelILj256ENS1_10for_each_fINS0_7pointerINS0_5tupleIblNS0_9null_typeES7_S7_S7_S7_S7_S7_S7_EENS1_3tagENS0_11use_defaultESA_EENS0_6detail16wrapped_functionINSC_23allocator_traits_detail5gozerEvEEEElLj1EEEvT0_T1_SJ_
	.globl	_ZN6thrust23THRUST_200600_302600_NS11hip_rocprim14__parallel_for6kernelILj256ENS1_10for_each_fINS0_7pointerINS0_5tupleIblNS0_9null_typeES7_S7_S7_S7_S7_S7_S7_EENS1_3tagENS0_11use_defaultESA_EENS0_6detail16wrapped_functionINSC_23allocator_traits_detail5gozerEvEEEElLj1EEEvT0_T1_SJ_
	.p2align	8
	.type	_ZN6thrust23THRUST_200600_302600_NS11hip_rocprim14__parallel_for6kernelILj256ENS1_10for_each_fINS0_7pointerINS0_5tupleIblNS0_9null_typeES7_S7_S7_S7_S7_S7_S7_EENS1_3tagENS0_11use_defaultESA_EENS0_6detail16wrapped_functionINSC_23allocator_traits_detail5gozerEvEEEElLj1EEEvT0_T1_SJ_,@function
_ZN6thrust23THRUST_200600_302600_NS11hip_rocprim14__parallel_for6kernelILj256ENS1_10for_each_fINS0_7pointerINS0_5tupleIblNS0_9null_typeES7_S7_S7_S7_S7_S7_S7_EENS1_3tagENS0_11use_defaultESA_EENS0_6detail16wrapped_functionINSC_23allocator_traits_detail5gozerEvEEEElLj1EEEvT0_T1_SJ_: ; @_ZN6thrust23THRUST_200600_302600_NS11hip_rocprim14__parallel_for6kernelILj256ENS1_10for_each_fINS0_7pointerINS0_5tupleIblNS0_9null_typeES7_S7_S7_S7_S7_S7_S7_EENS1_3tagENS0_11use_defaultESA_EENS0_6detail16wrapped_functionINSC_23allocator_traits_detail5gozerEvEEEElLj1EEEvT0_T1_SJ_
; %bb.0:
	s_endpgm
	.section	.rodata,"a",@progbits
	.p2align	6, 0x0
	.amdhsa_kernel _ZN6thrust23THRUST_200600_302600_NS11hip_rocprim14__parallel_for6kernelILj256ENS1_10for_each_fINS0_7pointerINS0_5tupleIblNS0_9null_typeES7_S7_S7_S7_S7_S7_S7_EENS1_3tagENS0_11use_defaultESA_EENS0_6detail16wrapped_functionINSC_23allocator_traits_detail5gozerEvEEEElLj1EEEvT0_T1_SJ_
		.amdhsa_group_segment_fixed_size 0
		.amdhsa_private_segment_fixed_size 0
		.amdhsa_kernarg_size 32
		.amdhsa_user_sgpr_count 6
		.amdhsa_user_sgpr_private_segment_buffer 1
		.amdhsa_user_sgpr_dispatch_ptr 0
		.amdhsa_user_sgpr_queue_ptr 0
		.amdhsa_user_sgpr_kernarg_segment_ptr 1
		.amdhsa_user_sgpr_dispatch_id 0
		.amdhsa_user_sgpr_flat_scratch_init 0
		.amdhsa_user_sgpr_kernarg_preload_length 0
		.amdhsa_user_sgpr_kernarg_preload_offset 0
		.amdhsa_user_sgpr_private_segment_size 0
		.amdhsa_uses_dynamic_stack 0
		.amdhsa_system_sgpr_private_segment_wavefront_offset 0
		.amdhsa_system_sgpr_workgroup_id_x 1
		.amdhsa_system_sgpr_workgroup_id_y 0
		.amdhsa_system_sgpr_workgroup_id_z 0
		.amdhsa_system_sgpr_workgroup_info 0
		.amdhsa_system_vgpr_workitem_id 0
		.amdhsa_next_free_vgpr 1
		.amdhsa_next_free_sgpr 0
		.amdhsa_accum_offset 4
		.amdhsa_reserve_vcc 0
		.amdhsa_reserve_flat_scratch 0
		.amdhsa_float_round_mode_32 0
		.amdhsa_float_round_mode_16_64 0
		.amdhsa_float_denorm_mode_32 3
		.amdhsa_float_denorm_mode_16_64 3
		.amdhsa_dx10_clamp 1
		.amdhsa_ieee_mode 1
		.amdhsa_fp16_overflow 0
		.amdhsa_tg_split 0
		.amdhsa_exception_fp_ieee_invalid_op 0
		.amdhsa_exception_fp_denorm_src 0
		.amdhsa_exception_fp_ieee_div_zero 0
		.amdhsa_exception_fp_ieee_overflow 0
		.amdhsa_exception_fp_ieee_underflow 0
		.amdhsa_exception_fp_ieee_inexact 0
		.amdhsa_exception_int_div_zero 0
	.end_amdhsa_kernel
	.section	.text._ZN6thrust23THRUST_200600_302600_NS11hip_rocprim14__parallel_for6kernelILj256ENS1_10for_each_fINS0_7pointerINS0_5tupleIblNS0_9null_typeES7_S7_S7_S7_S7_S7_S7_EENS1_3tagENS0_11use_defaultESA_EENS0_6detail16wrapped_functionINSC_23allocator_traits_detail5gozerEvEEEElLj1EEEvT0_T1_SJ_,"axG",@progbits,_ZN6thrust23THRUST_200600_302600_NS11hip_rocprim14__parallel_for6kernelILj256ENS1_10for_each_fINS0_7pointerINS0_5tupleIblNS0_9null_typeES7_S7_S7_S7_S7_S7_S7_EENS1_3tagENS0_11use_defaultESA_EENS0_6detail16wrapped_functionINSC_23allocator_traits_detail5gozerEvEEEElLj1EEEvT0_T1_SJ_,comdat
.Lfunc_end56:
	.size	_ZN6thrust23THRUST_200600_302600_NS11hip_rocprim14__parallel_for6kernelILj256ENS1_10for_each_fINS0_7pointerINS0_5tupleIblNS0_9null_typeES7_S7_S7_S7_S7_S7_S7_EENS1_3tagENS0_11use_defaultESA_EENS0_6detail16wrapped_functionINSC_23allocator_traits_detail5gozerEvEEEElLj1EEEvT0_T1_SJ_, .Lfunc_end56-_ZN6thrust23THRUST_200600_302600_NS11hip_rocprim14__parallel_for6kernelILj256ENS1_10for_each_fINS0_7pointerINS0_5tupleIblNS0_9null_typeES7_S7_S7_S7_S7_S7_S7_EENS1_3tagENS0_11use_defaultESA_EENS0_6detail16wrapped_functionINSC_23allocator_traits_detail5gozerEvEEEElLj1EEEvT0_T1_SJ_
                                        ; -- End function
	.section	.AMDGPU.csdata,"",@progbits
; Kernel info:
; codeLenInByte = 4
; NumSgprs: 4
; NumVgprs: 0
; NumAgprs: 0
; TotalNumVgprs: 0
; ScratchSize: 0
; MemoryBound: 0
; FloatMode: 240
; IeeeMode: 1
; LDSByteSize: 0 bytes/workgroup (compile time only)
; SGPRBlocks: 0
; VGPRBlocks: 0
; NumSGPRsForWavesPerEU: 4
; NumVGPRsForWavesPerEU: 1
; AccumOffset: 4
; Occupancy: 8
; WaveLimiterHint : 0
; COMPUTE_PGM_RSRC2:SCRATCH_EN: 0
; COMPUTE_PGM_RSRC2:USER_SGPR: 6
; COMPUTE_PGM_RSRC2:TRAP_HANDLER: 0
; COMPUTE_PGM_RSRC2:TGID_X_EN: 1
; COMPUTE_PGM_RSRC2:TGID_Y_EN: 0
; COMPUTE_PGM_RSRC2:TGID_Z_EN: 0
; COMPUTE_PGM_RSRC2:TIDIG_COMP_CNT: 0
; COMPUTE_PGM_RSRC3_GFX90A:ACCUM_OFFSET: 0
; COMPUTE_PGM_RSRC3_GFX90A:TG_SPLIT: 0
	.section	.text._ZN6thrust23THRUST_200600_302600_NS11hip_rocprim14__parallel_for6kernelILj256ENS1_20__uninitialized_copy7functorIPNS0_5tupleIblNS0_9null_typeES7_S7_S7_S7_S7_S7_S7_EENS0_7pointerIS8_NS1_3tagENS0_11use_defaultESC_EEEEmLj1EEEvT0_T1_SG_,"axG",@progbits,_ZN6thrust23THRUST_200600_302600_NS11hip_rocprim14__parallel_for6kernelILj256ENS1_20__uninitialized_copy7functorIPNS0_5tupleIblNS0_9null_typeES7_S7_S7_S7_S7_S7_S7_EENS0_7pointerIS8_NS1_3tagENS0_11use_defaultESC_EEEEmLj1EEEvT0_T1_SG_,comdat
	.protected	_ZN6thrust23THRUST_200600_302600_NS11hip_rocprim14__parallel_for6kernelILj256ENS1_20__uninitialized_copy7functorIPNS0_5tupleIblNS0_9null_typeES7_S7_S7_S7_S7_S7_S7_EENS0_7pointerIS8_NS1_3tagENS0_11use_defaultESC_EEEEmLj1EEEvT0_T1_SG_ ; -- Begin function _ZN6thrust23THRUST_200600_302600_NS11hip_rocprim14__parallel_for6kernelILj256ENS1_20__uninitialized_copy7functorIPNS0_5tupleIblNS0_9null_typeES7_S7_S7_S7_S7_S7_S7_EENS0_7pointerIS8_NS1_3tagENS0_11use_defaultESC_EEEEmLj1EEEvT0_T1_SG_
	.globl	_ZN6thrust23THRUST_200600_302600_NS11hip_rocprim14__parallel_for6kernelILj256ENS1_20__uninitialized_copy7functorIPNS0_5tupleIblNS0_9null_typeES7_S7_S7_S7_S7_S7_S7_EENS0_7pointerIS8_NS1_3tagENS0_11use_defaultESC_EEEEmLj1EEEvT0_T1_SG_
	.p2align	8
	.type	_ZN6thrust23THRUST_200600_302600_NS11hip_rocprim14__parallel_for6kernelILj256ENS1_20__uninitialized_copy7functorIPNS0_5tupleIblNS0_9null_typeES7_S7_S7_S7_S7_S7_S7_EENS0_7pointerIS8_NS1_3tagENS0_11use_defaultESC_EEEEmLj1EEEvT0_T1_SG_,@function
_ZN6thrust23THRUST_200600_302600_NS11hip_rocprim14__parallel_for6kernelILj256ENS1_20__uninitialized_copy7functorIPNS0_5tupleIblNS0_9null_typeES7_S7_S7_S7_S7_S7_S7_EENS0_7pointerIS8_NS1_3tagENS0_11use_defaultESC_EEEEmLj1EEEvT0_T1_SG_: ; @_ZN6thrust23THRUST_200600_302600_NS11hip_rocprim14__parallel_for6kernelILj256ENS1_20__uninitialized_copy7functorIPNS0_5tupleIblNS0_9null_typeES7_S7_S7_S7_S7_S7_S7_EENS0_7pointerIS8_NS1_3tagENS0_11use_defaultESC_EEEEmLj1EEEvT0_T1_SG_
; %bb.0:
	s_load_dwordx8 s[8:15], s[4:5], 0x0
	s_lshl_b32 s0, s6, 8
	v_mov_b32_e32 v2, 0x100
	v_mov_b32_e32 v3, 0
	s_waitcnt lgkmcnt(0)
	s_add_u32 s4, s0, s14
	s_addc_u32 s5, 0, s15
	s_sub_u32 s2, s12, s4
	s_subb_u32 s3, s13, s5
	v_cmp_lt_u64_e32 vcc, s[2:3], v[2:3]
	s_mov_b64 s[0:1], -1
	s_cbranch_vccnz .LBB57_3
; %bb.1:
	s_andn2_b64 vcc, exec, s[0:1]
	s_cbranch_vccz .LBB57_6
.LBB57_2:
	s_endpgm
.LBB57_3:
	v_cmp_gt_u32_e32 vcc, s2, v0
	s_and_saveexec_b64 s[0:1], vcc
	s_cbranch_execz .LBB57_5
; %bb.4:
	v_mov_b32_e32 v1, s5
	v_add_co_u32_e32 v2, vcc, s4, v0
	v_addc_co_u32_e32 v3, vcc, 0, v1, vcc
	v_lshlrev_b64 v[6:7], 4, v[2:3]
	v_mov_b32_e32 v1, s9
	v_add_co_u32_e32 v2, vcc, s8, v6
	v_addc_co_u32_e32 v3, vcc, v1, v7, vcc
	global_load_dwordx4 v[2:5], v[2:3], off
	v_mov_b32_e32 v1, s11
	v_add_co_u32_e32 v6, vcc, s10, v6
	v_addc_co_u32_e32 v7, vcc, v1, v7, vcc
	s_waitcnt vmcnt(0)
	flat_store_dwordx4 v[6:7], v[2:5]
.LBB57_5:
	s_or_b64 exec, exec, s[0:1]
	s_cbranch_execnz .LBB57_2
.LBB57_6:
	v_mov_b32_e32 v1, s5
	v_add_co_u32_e32 v0, vcc, s4, v0
	v_addc_co_u32_e32 v1, vcc, 0, v1, vcc
	v_lshlrev_b64 v[4:5], 4, v[0:1]
	v_mov_b32_e32 v1, s9
	v_add_co_u32_e32 v0, vcc, s8, v4
	v_addc_co_u32_e32 v1, vcc, v1, v5, vcc
	global_load_dwordx4 v[0:3], v[0:1], off
	v_mov_b32_e32 v6, s11
	v_add_co_u32_e32 v4, vcc, s10, v4
	v_addc_co_u32_e32 v5, vcc, v6, v5, vcc
	s_waitcnt vmcnt(0)
	flat_store_dwordx4 v[4:5], v[0:3]
	s_endpgm
	.section	.rodata,"a",@progbits
	.p2align	6, 0x0
	.amdhsa_kernel _ZN6thrust23THRUST_200600_302600_NS11hip_rocprim14__parallel_for6kernelILj256ENS1_20__uninitialized_copy7functorIPNS0_5tupleIblNS0_9null_typeES7_S7_S7_S7_S7_S7_S7_EENS0_7pointerIS8_NS1_3tagENS0_11use_defaultESC_EEEEmLj1EEEvT0_T1_SG_
		.amdhsa_group_segment_fixed_size 0
		.amdhsa_private_segment_fixed_size 0
		.amdhsa_kernarg_size 32
		.amdhsa_user_sgpr_count 6
		.amdhsa_user_sgpr_private_segment_buffer 1
		.amdhsa_user_sgpr_dispatch_ptr 0
		.amdhsa_user_sgpr_queue_ptr 0
		.amdhsa_user_sgpr_kernarg_segment_ptr 1
		.amdhsa_user_sgpr_dispatch_id 0
		.amdhsa_user_sgpr_flat_scratch_init 0
		.amdhsa_user_sgpr_kernarg_preload_length 0
		.amdhsa_user_sgpr_kernarg_preload_offset 0
		.amdhsa_user_sgpr_private_segment_size 0
		.amdhsa_uses_dynamic_stack 0
		.amdhsa_system_sgpr_private_segment_wavefront_offset 0
		.amdhsa_system_sgpr_workgroup_id_x 1
		.amdhsa_system_sgpr_workgroup_id_y 0
		.amdhsa_system_sgpr_workgroup_id_z 0
		.amdhsa_system_sgpr_workgroup_info 0
		.amdhsa_system_vgpr_workitem_id 0
		.amdhsa_next_free_vgpr 8
		.amdhsa_next_free_sgpr 16
		.amdhsa_accum_offset 8
		.amdhsa_reserve_vcc 1
		.amdhsa_reserve_flat_scratch 0
		.amdhsa_float_round_mode_32 0
		.amdhsa_float_round_mode_16_64 0
		.amdhsa_float_denorm_mode_32 3
		.amdhsa_float_denorm_mode_16_64 3
		.amdhsa_dx10_clamp 1
		.amdhsa_ieee_mode 1
		.amdhsa_fp16_overflow 0
		.amdhsa_tg_split 0
		.amdhsa_exception_fp_ieee_invalid_op 0
		.amdhsa_exception_fp_denorm_src 0
		.amdhsa_exception_fp_ieee_div_zero 0
		.amdhsa_exception_fp_ieee_overflow 0
		.amdhsa_exception_fp_ieee_underflow 0
		.amdhsa_exception_fp_ieee_inexact 0
		.amdhsa_exception_int_div_zero 0
	.end_amdhsa_kernel
	.section	.text._ZN6thrust23THRUST_200600_302600_NS11hip_rocprim14__parallel_for6kernelILj256ENS1_20__uninitialized_copy7functorIPNS0_5tupleIblNS0_9null_typeES7_S7_S7_S7_S7_S7_S7_EENS0_7pointerIS8_NS1_3tagENS0_11use_defaultESC_EEEEmLj1EEEvT0_T1_SG_,"axG",@progbits,_ZN6thrust23THRUST_200600_302600_NS11hip_rocprim14__parallel_for6kernelILj256ENS1_20__uninitialized_copy7functorIPNS0_5tupleIblNS0_9null_typeES7_S7_S7_S7_S7_S7_S7_EENS0_7pointerIS8_NS1_3tagENS0_11use_defaultESC_EEEEmLj1EEEvT0_T1_SG_,comdat
.Lfunc_end57:
	.size	_ZN6thrust23THRUST_200600_302600_NS11hip_rocprim14__parallel_for6kernelILj256ENS1_20__uninitialized_copy7functorIPNS0_5tupleIblNS0_9null_typeES7_S7_S7_S7_S7_S7_S7_EENS0_7pointerIS8_NS1_3tagENS0_11use_defaultESC_EEEEmLj1EEEvT0_T1_SG_, .Lfunc_end57-_ZN6thrust23THRUST_200600_302600_NS11hip_rocprim14__parallel_for6kernelILj256ENS1_20__uninitialized_copy7functorIPNS0_5tupleIblNS0_9null_typeES7_S7_S7_S7_S7_S7_S7_EENS0_7pointerIS8_NS1_3tagENS0_11use_defaultESC_EEEEmLj1EEEvT0_T1_SG_
                                        ; -- End function
	.section	.AMDGPU.csdata,"",@progbits
; Kernel info:
; codeLenInByte = 220
; NumSgprs: 20
; NumVgprs: 8
; NumAgprs: 0
; TotalNumVgprs: 8
; ScratchSize: 0
; MemoryBound: 0
; FloatMode: 240
; IeeeMode: 1
; LDSByteSize: 0 bytes/workgroup (compile time only)
; SGPRBlocks: 2
; VGPRBlocks: 0
; NumSGPRsForWavesPerEU: 20
; NumVGPRsForWavesPerEU: 8
; AccumOffset: 8
; Occupancy: 8
; WaveLimiterHint : 0
; COMPUTE_PGM_RSRC2:SCRATCH_EN: 0
; COMPUTE_PGM_RSRC2:USER_SGPR: 6
; COMPUTE_PGM_RSRC2:TRAP_HANDLER: 0
; COMPUTE_PGM_RSRC2:TGID_X_EN: 1
; COMPUTE_PGM_RSRC2:TGID_Y_EN: 0
; COMPUTE_PGM_RSRC2:TGID_Z_EN: 0
; COMPUTE_PGM_RSRC2:TIDIG_COMP_CNT: 0
; COMPUTE_PGM_RSRC3_GFX90A:ACCUM_OFFSET: 1
; COMPUTE_PGM_RSRC3_GFX90A:TG_SPLIT: 0
	.section	.text._ZN6thrust23THRUST_200600_302600_NS11hip_rocprim14__parallel_for6kernelILj256ENS1_20__uninitialized_fill7functorINS0_10device_ptrIfEEfEEmLj1EEEvT0_T1_SA_,"axG",@progbits,_ZN6thrust23THRUST_200600_302600_NS11hip_rocprim14__parallel_for6kernelILj256ENS1_20__uninitialized_fill7functorINS0_10device_ptrIfEEfEEmLj1EEEvT0_T1_SA_,comdat
	.protected	_ZN6thrust23THRUST_200600_302600_NS11hip_rocprim14__parallel_for6kernelILj256ENS1_20__uninitialized_fill7functorINS0_10device_ptrIfEEfEEmLj1EEEvT0_T1_SA_ ; -- Begin function _ZN6thrust23THRUST_200600_302600_NS11hip_rocprim14__parallel_for6kernelILj256ENS1_20__uninitialized_fill7functorINS0_10device_ptrIfEEfEEmLj1EEEvT0_T1_SA_
	.globl	_ZN6thrust23THRUST_200600_302600_NS11hip_rocprim14__parallel_for6kernelILj256ENS1_20__uninitialized_fill7functorINS0_10device_ptrIfEEfEEmLj1EEEvT0_T1_SA_
	.p2align	8
	.type	_ZN6thrust23THRUST_200600_302600_NS11hip_rocprim14__parallel_for6kernelILj256ENS1_20__uninitialized_fill7functorINS0_10device_ptrIfEEfEEmLj1EEEvT0_T1_SA_,@function
_ZN6thrust23THRUST_200600_302600_NS11hip_rocprim14__parallel_for6kernelILj256ENS1_20__uninitialized_fill7functorINS0_10device_ptrIfEEfEEmLj1EEEvT0_T1_SA_: ; @_ZN6thrust23THRUST_200600_302600_NS11hip_rocprim14__parallel_for6kernelILj256ENS1_20__uninitialized_fill7functorINS0_10device_ptrIfEEfEEmLj1EEEvT0_T1_SA_
; %bb.0:
	s_load_dwordx4 s[8:11], s[4:5], 0x10
	s_lshl_b32 s0, s6, 8
	v_mov_b32_e32 v2, 0x100
	v_mov_b32_e32 v3, 0
	s_waitcnt lgkmcnt(0)
	s_add_u32 s0, s0, s10
	s_addc_u32 s1, 0, s11
	s_sub_u32 s2, s8, s0
	s_subb_u32 s3, s9, s1
	v_cmp_lt_u64_e32 vcc, s[2:3], v[2:3]
	s_cbranch_vccz .LBB58_2
; %bb.1:
	v_cmp_gt_u32_e32 vcc, s2, v0
	s_and_b64 s[2:3], vcc, exec
	s_cbranch_execz .LBB58_3
	s_branch .LBB58_4
.LBB58_2:
	s_mov_b64 s[2:3], 0
.LBB58_3:
	s_or_b64 s[2:3], s[2:3], exec
.LBB58_4:
	s_and_saveexec_b64 s[6:7], s[2:3]
	s_cbranch_execnz .LBB58_6
; %bb.5:
	s_endpgm
.LBB58_6:
	s_load_dwordx2 s[2:3], s[4:5], 0x0
	s_load_dword s6, s[4:5], 0x8
	s_lshl_b64 s[0:1], s[0:1], 2
	v_mov_b32_e32 v1, 0
	v_lshlrev_b64 v[0:1], 2, v[0:1]
	s_waitcnt lgkmcnt(0)
	s_add_u32 s0, s2, s0
	s_addc_u32 s1, s3, s1
	v_mov_b32_e32 v2, s1
	v_add_co_u32_e32 v0, vcc, s0, v0
	v_addc_co_u32_e32 v1, vcc, v2, v1, vcc
	v_mov_b32_e32 v2, s6
	flat_store_dword v[0:1], v2
	s_endpgm
	.section	.rodata,"a",@progbits
	.p2align	6, 0x0
	.amdhsa_kernel _ZN6thrust23THRUST_200600_302600_NS11hip_rocprim14__parallel_for6kernelILj256ENS1_20__uninitialized_fill7functorINS0_10device_ptrIfEEfEEmLj1EEEvT0_T1_SA_
		.amdhsa_group_segment_fixed_size 0
		.amdhsa_private_segment_fixed_size 0
		.amdhsa_kernarg_size 32
		.amdhsa_user_sgpr_count 6
		.amdhsa_user_sgpr_private_segment_buffer 1
		.amdhsa_user_sgpr_dispatch_ptr 0
		.amdhsa_user_sgpr_queue_ptr 0
		.amdhsa_user_sgpr_kernarg_segment_ptr 1
		.amdhsa_user_sgpr_dispatch_id 0
		.amdhsa_user_sgpr_flat_scratch_init 0
		.amdhsa_user_sgpr_kernarg_preload_length 0
		.amdhsa_user_sgpr_kernarg_preload_offset 0
		.amdhsa_user_sgpr_private_segment_size 0
		.amdhsa_uses_dynamic_stack 0
		.amdhsa_system_sgpr_private_segment_wavefront_offset 0
		.amdhsa_system_sgpr_workgroup_id_x 1
		.amdhsa_system_sgpr_workgroup_id_y 0
		.amdhsa_system_sgpr_workgroup_id_z 0
		.amdhsa_system_sgpr_workgroup_info 0
		.amdhsa_system_vgpr_workitem_id 0
		.amdhsa_next_free_vgpr 4
		.amdhsa_next_free_sgpr 12
		.amdhsa_accum_offset 4
		.amdhsa_reserve_vcc 1
		.amdhsa_reserve_flat_scratch 0
		.amdhsa_float_round_mode_32 0
		.amdhsa_float_round_mode_16_64 0
		.amdhsa_float_denorm_mode_32 3
		.amdhsa_float_denorm_mode_16_64 3
		.amdhsa_dx10_clamp 1
		.amdhsa_ieee_mode 1
		.amdhsa_fp16_overflow 0
		.amdhsa_tg_split 0
		.amdhsa_exception_fp_ieee_invalid_op 0
		.amdhsa_exception_fp_denorm_src 0
		.amdhsa_exception_fp_ieee_div_zero 0
		.amdhsa_exception_fp_ieee_overflow 0
		.amdhsa_exception_fp_ieee_underflow 0
		.amdhsa_exception_fp_ieee_inexact 0
		.amdhsa_exception_int_div_zero 0
	.end_amdhsa_kernel
	.section	.text._ZN6thrust23THRUST_200600_302600_NS11hip_rocprim14__parallel_for6kernelILj256ENS1_20__uninitialized_fill7functorINS0_10device_ptrIfEEfEEmLj1EEEvT0_T1_SA_,"axG",@progbits,_ZN6thrust23THRUST_200600_302600_NS11hip_rocprim14__parallel_for6kernelILj256ENS1_20__uninitialized_fill7functorINS0_10device_ptrIfEEfEEmLj1EEEvT0_T1_SA_,comdat
.Lfunc_end58:
	.size	_ZN6thrust23THRUST_200600_302600_NS11hip_rocprim14__parallel_for6kernelILj256ENS1_20__uninitialized_fill7functorINS0_10device_ptrIfEEfEEmLj1EEEvT0_T1_SA_, .Lfunc_end58-_ZN6thrust23THRUST_200600_302600_NS11hip_rocprim14__parallel_for6kernelILj256ENS1_20__uninitialized_fill7functorINS0_10device_ptrIfEEfEEmLj1EEEvT0_T1_SA_
                                        ; -- End function
	.section	.AMDGPU.csdata,"",@progbits
; Kernel info:
; codeLenInByte = 160
; NumSgprs: 16
; NumVgprs: 4
; NumAgprs: 0
; TotalNumVgprs: 4
; ScratchSize: 0
; MemoryBound: 0
; FloatMode: 240
; IeeeMode: 1
; LDSByteSize: 0 bytes/workgroup (compile time only)
; SGPRBlocks: 1
; VGPRBlocks: 0
; NumSGPRsForWavesPerEU: 16
; NumVGPRsForWavesPerEU: 4
; AccumOffset: 4
; Occupancy: 8
; WaveLimiterHint : 0
; COMPUTE_PGM_RSRC2:SCRATCH_EN: 0
; COMPUTE_PGM_RSRC2:USER_SGPR: 6
; COMPUTE_PGM_RSRC2:TRAP_HANDLER: 0
; COMPUTE_PGM_RSRC2:TGID_X_EN: 1
; COMPUTE_PGM_RSRC2:TGID_Y_EN: 0
; COMPUTE_PGM_RSRC2:TGID_Z_EN: 0
; COMPUTE_PGM_RSRC2:TIDIG_COMP_CNT: 0
; COMPUTE_PGM_RSRC3_GFX90A:ACCUM_OFFSET: 0
; COMPUTE_PGM_RSRC3_GFX90A:TG_SPLIT: 0
	.section	.text._ZN7rocprim17ROCPRIM_400000_NS6detail17trampoline_kernelINS0_14default_configENS1_21merge_config_selectorIfNS0_10empty_typeEEEZNS1_10merge_implIS3_N6thrust23THRUST_200600_302600_NS6detail15normal_iteratorINS9_10device_ptrIKfEEEESF_NSB_INSC_IfEEEEPS5_SI_SI_NS9_4lessIfEEEE10hipError_tPvRmT0_T1_T2_T3_T4_T5_mmT6_P12ihipStream_tbEUlT_E_NS1_11comp_targetILNS1_3genE0ELNS1_11target_archE4294967295ELNS1_3gpuE0ELNS1_3repE0EEENS1_30default_config_static_selectorELNS0_4arch9wavefront6targetE1EEEvSP_,"axG",@progbits,_ZN7rocprim17ROCPRIM_400000_NS6detail17trampoline_kernelINS0_14default_configENS1_21merge_config_selectorIfNS0_10empty_typeEEEZNS1_10merge_implIS3_N6thrust23THRUST_200600_302600_NS6detail15normal_iteratorINS9_10device_ptrIKfEEEESF_NSB_INSC_IfEEEEPS5_SI_SI_NS9_4lessIfEEEE10hipError_tPvRmT0_T1_T2_T3_T4_T5_mmT6_P12ihipStream_tbEUlT_E_NS1_11comp_targetILNS1_3genE0ELNS1_11target_archE4294967295ELNS1_3gpuE0ELNS1_3repE0EEENS1_30default_config_static_selectorELNS0_4arch9wavefront6targetE1EEEvSP_,comdat
	.protected	_ZN7rocprim17ROCPRIM_400000_NS6detail17trampoline_kernelINS0_14default_configENS1_21merge_config_selectorIfNS0_10empty_typeEEEZNS1_10merge_implIS3_N6thrust23THRUST_200600_302600_NS6detail15normal_iteratorINS9_10device_ptrIKfEEEESF_NSB_INSC_IfEEEEPS5_SI_SI_NS9_4lessIfEEEE10hipError_tPvRmT0_T1_T2_T3_T4_T5_mmT6_P12ihipStream_tbEUlT_E_NS1_11comp_targetILNS1_3genE0ELNS1_11target_archE4294967295ELNS1_3gpuE0ELNS1_3repE0EEENS1_30default_config_static_selectorELNS0_4arch9wavefront6targetE1EEEvSP_ ; -- Begin function _ZN7rocprim17ROCPRIM_400000_NS6detail17trampoline_kernelINS0_14default_configENS1_21merge_config_selectorIfNS0_10empty_typeEEEZNS1_10merge_implIS3_N6thrust23THRUST_200600_302600_NS6detail15normal_iteratorINS9_10device_ptrIKfEEEESF_NSB_INSC_IfEEEEPS5_SI_SI_NS9_4lessIfEEEE10hipError_tPvRmT0_T1_T2_T3_T4_T5_mmT6_P12ihipStream_tbEUlT_E_NS1_11comp_targetILNS1_3genE0ELNS1_11target_archE4294967295ELNS1_3gpuE0ELNS1_3repE0EEENS1_30default_config_static_selectorELNS0_4arch9wavefront6targetE1EEEvSP_
	.globl	_ZN7rocprim17ROCPRIM_400000_NS6detail17trampoline_kernelINS0_14default_configENS1_21merge_config_selectorIfNS0_10empty_typeEEEZNS1_10merge_implIS3_N6thrust23THRUST_200600_302600_NS6detail15normal_iteratorINS9_10device_ptrIKfEEEESF_NSB_INSC_IfEEEEPS5_SI_SI_NS9_4lessIfEEEE10hipError_tPvRmT0_T1_T2_T3_T4_T5_mmT6_P12ihipStream_tbEUlT_E_NS1_11comp_targetILNS1_3genE0ELNS1_11target_archE4294967295ELNS1_3gpuE0ELNS1_3repE0EEENS1_30default_config_static_selectorELNS0_4arch9wavefront6targetE1EEEvSP_
	.p2align	8
	.type	_ZN7rocprim17ROCPRIM_400000_NS6detail17trampoline_kernelINS0_14default_configENS1_21merge_config_selectorIfNS0_10empty_typeEEEZNS1_10merge_implIS3_N6thrust23THRUST_200600_302600_NS6detail15normal_iteratorINS9_10device_ptrIKfEEEESF_NSB_INSC_IfEEEEPS5_SI_SI_NS9_4lessIfEEEE10hipError_tPvRmT0_T1_T2_T3_T4_T5_mmT6_P12ihipStream_tbEUlT_E_NS1_11comp_targetILNS1_3genE0ELNS1_11target_archE4294967295ELNS1_3gpuE0ELNS1_3repE0EEENS1_30default_config_static_selectorELNS0_4arch9wavefront6targetE1EEEvSP_,@function
_ZN7rocprim17ROCPRIM_400000_NS6detail17trampoline_kernelINS0_14default_configENS1_21merge_config_selectorIfNS0_10empty_typeEEEZNS1_10merge_implIS3_N6thrust23THRUST_200600_302600_NS6detail15normal_iteratorINS9_10device_ptrIKfEEEESF_NSB_INSC_IfEEEEPS5_SI_SI_NS9_4lessIfEEEE10hipError_tPvRmT0_T1_T2_T3_T4_T5_mmT6_P12ihipStream_tbEUlT_E_NS1_11comp_targetILNS1_3genE0ELNS1_11target_archE4294967295ELNS1_3gpuE0ELNS1_3repE0EEENS1_30default_config_static_selectorELNS0_4arch9wavefront6targetE1EEEvSP_: ; @_ZN7rocprim17ROCPRIM_400000_NS6detail17trampoline_kernelINS0_14default_configENS1_21merge_config_selectorIfNS0_10empty_typeEEEZNS1_10merge_implIS3_N6thrust23THRUST_200600_302600_NS6detail15normal_iteratorINS9_10device_ptrIKfEEEESF_NSB_INSC_IfEEEEPS5_SI_SI_NS9_4lessIfEEEE10hipError_tPvRmT0_T1_T2_T3_T4_T5_mmT6_P12ihipStream_tbEUlT_E_NS1_11comp_targetILNS1_3genE0ELNS1_11target_archE4294967295ELNS1_3gpuE0ELNS1_3repE0EEENS1_30default_config_static_selectorELNS0_4arch9wavefront6targetE1EEEvSP_
; %bb.0:
	.section	.rodata,"a",@progbits
	.p2align	6, 0x0
	.amdhsa_kernel _ZN7rocprim17ROCPRIM_400000_NS6detail17trampoline_kernelINS0_14default_configENS1_21merge_config_selectorIfNS0_10empty_typeEEEZNS1_10merge_implIS3_N6thrust23THRUST_200600_302600_NS6detail15normal_iteratorINS9_10device_ptrIKfEEEESF_NSB_INSC_IfEEEEPS5_SI_SI_NS9_4lessIfEEEE10hipError_tPvRmT0_T1_T2_T3_T4_T5_mmT6_P12ihipStream_tbEUlT_E_NS1_11comp_targetILNS1_3genE0ELNS1_11target_archE4294967295ELNS1_3gpuE0ELNS1_3repE0EEENS1_30default_config_static_selectorELNS0_4arch9wavefront6targetE1EEEvSP_
		.amdhsa_group_segment_fixed_size 0
		.amdhsa_private_segment_fixed_size 0
		.amdhsa_kernarg_size 48
		.amdhsa_user_sgpr_count 6
		.amdhsa_user_sgpr_private_segment_buffer 1
		.amdhsa_user_sgpr_dispatch_ptr 0
		.amdhsa_user_sgpr_queue_ptr 0
		.amdhsa_user_sgpr_kernarg_segment_ptr 1
		.amdhsa_user_sgpr_dispatch_id 0
		.amdhsa_user_sgpr_flat_scratch_init 0
		.amdhsa_user_sgpr_kernarg_preload_length 0
		.amdhsa_user_sgpr_kernarg_preload_offset 0
		.amdhsa_user_sgpr_private_segment_size 0
		.amdhsa_uses_dynamic_stack 0
		.amdhsa_system_sgpr_private_segment_wavefront_offset 0
		.amdhsa_system_sgpr_workgroup_id_x 1
		.amdhsa_system_sgpr_workgroup_id_y 0
		.amdhsa_system_sgpr_workgroup_id_z 0
		.amdhsa_system_sgpr_workgroup_info 0
		.amdhsa_system_vgpr_workitem_id 0
		.amdhsa_next_free_vgpr 1
		.amdhsa_next_free_sgpr 0
		.amdhsa_accum_offset 4
		.amdhsa_reserve_vcc 0
		.amdhsa_reserve_flat_scratch 0
		.amdhsa_float_round_mode_32 0
		.amdhsa_float_round_mode_16_64 0
		.amdhsa_float_denorm_mode_32 3
		.amdhsa_float_denorm_mode_16_64 3
		.amdhsa_dx10_clamp 1
		.amdhsa_ieee_mode 1
		.amdhsa_fp16_overflow 0
		.amdhsa_tg_split 0
		.amdhsa_exception_fp_ieee_invalid_op 0
		.amdhsa_exception_fp_denorm_src 0
		.amdhsa_exception_fp_ieee_div_zero 0
		.amdhsa_exception_fp_ieee_overflow 0
		.amdhsa_exception_fp_ieee_underflow 0
		.amdhsa_exception_fp_ieee_inexact 0
		.amdhsa_exception_int_div_zero 0
	.end_amdhsa_kernel
	.section	.text._ZN7rocprim17ROCPRIM_400000_NS6detail17trampoline_kernelINS0_14default_configENS1_21merge_config_selectorIfNS0_10empty_typeEEEZNS1_10merge_implIS3_N6thrust23THRUST_200600_302600_NS6detail15normal_iteratorINS9_10device_ptrIKfEEEESF_NSB_INSC_IfEEEEPS5_SI_SI_NS9_4lessIfEEEE10hipError_tPvRmT0_T1_T2_T3_T4_T5_mmT6_P12ihipStream_tbEUlT_E_NS1_11comp_targetILNS1_3genE0ELNS1_11target_archE4294967295ELNS1_3gpuE0ELNS1_3repE0EEENS1_30default_config_static_selectorELNS0_4arch9wavefront6targetE1EEEvSP_,"axG",@progbits,_ZN7rocprim17ROCPRIM_400000_NS6detail17trampoline_kernelINS0_14default_configENS1_21merge_config_selectorIfNS0_10empty_typeEEEZNS1_10merge_implIS3_N6thrust23THRUST_200600_302600_NS6detail15normal_iteratorINS9_10device_ptrIKfEEEESF_NSB_INSC_IfEEEEPS5_SI_SI_NS9_4lessIfEEEE10hipError_tPvRmT0_T1_T2_T3_T4_T5_mmT6_P12ihipStream_tbEUlT_E_NS1_11comp_targetILNS1_3genE0ELNS1_11target_archE4294967295ELNS1_3gpuE0ELNS1_3repE0EEENS1_30default_config_static_selectorELNS0_4arch9wavefront6targetE1EEEvSP_,comdat
.Lfunc_end59:
	.size	_ZN7rocprim17ROCPRIM_400000_NS6detail17trampoline_kernelINS0_14default_configENS1_21merge_config_selectorIfNS0_10empty_typeEEEZNS1_10merge_implIS3_N6thrust23THRUST_200600_302600_NS6detail15normal_iteratorINS9_10device_ptrIKfEEEESF_NSB_INSC_IfEEEEPS5_SI_SI_NS9_4lessIfEEEE10hipError_tPvRmT0_T1_T2_T3_T4_T5_mmT6_P12ihipStream_tbEUlT_E_NS1_11comp_targetILNS1_3genE0ELNS1_11target_archE4294967295ELNS1_3gpuE0ELNS1_3repE0EEENS1_30default_config_static_selectorELNS0_4arch9wavefront6targetE1EEEvSP_, .Lfunc_end59-_ZN7rocprim17ROCPRIM_400000_NS6detail17trampoline_kernelINS0_14default_configENS1_21merge_config_selectorIfNS0_10empty_typeEEEZNS1_10merge_implIS3_N6thrust23THRUST_200600_302600_NS6detail15normal_iteratorINS9_10device_ptrIKfEEEESF_NSB_INSC_IfEEEEPS5_SI_SI_NS9_4lessIfEEEE10hipError_tPvRmT0_T1_T2_T3_T4_T5_mmT6_P12ihipStream_tbEUlT_E_NS1_11comp_targetILNS1_3genE0ELNS1_11target_archE4294967295ELNS1_3gpuE0ELNS1_3repE0EEENS1_30default_config_static_selectorELNS0_4arch9wavefront6targetE1EEEvSP_
                                        ; -- End function
	.section	.AMDGPU.csdata,"",@progbits
; Kernel info:
; codeLenInByte = 0
; NumSgprs: 4
; NumVgprs: 0
; NumAgprs: 0
; TotalNumVgprs: 0
; ScratchSize: 0
; MemoryBound: 0
; FloatMode: 240
; IeeeMode: 1
; LDSByteSize: 0 bytes/workgroup (compile time only)
; SGPRBlocks: 0
; VGPRBlocks: 0
; NumSGPRsForWavesPerEU: 4
; NumVGPRsForWavesPerEU: 1
; AccumOffset: 4
; Occupancy: 8
; WaveLimiterHint : 0
; COMPUTE_PGM_RSRC2:SCRATCH_EN: 0
; COMPUTE_PGM_RSRC2:USER_SGPR: 6
; COMPUTE_PGM_RSRC2:TRAP_HANDLER: 0
; COMPUTE_PGM_RSRC2:TGID_X_EN: 1
; COMPUTE_PGM_RSRC2:TGID_Y_EN: 0
; COMPUTE_PGM_RSRC2:TGID_Z_EN: 0
; COMPUTE_PGM_RSRC2:TIDIG_COMP_CNT: 0
; COMPUTE_PGM_RSRC3_GFX90A:ACCUM_OFFSET: 0
; COMPUTE_PGM_RSRC3_GFX90A:TG_SPLIT: 0
	.section	.text._ZN7rocprim17ROCPRIM_400000_NS6detail17trampoline_kernelINS0_14default_configENS1_21merge_config_selectorIfNS0_10empty_typeEEEZNS1_10merge_implIS3_N6thrust23THRUST_200600_302600_NS6detail15normal_iteratorINS9_10device_ptrIKfEEEESF_NSB_INSC_IfEEEEPS5_SI_SI_NS9_4lessIfEEEE10hipError_tPvRmT0_T1_T2_T3_T4_T5_mmT6_P12ihipStream_tbEUlT_E_NS1_11comp_targetILNS1_3genE5ELNS1_11target_archE942ELNS1_3gpuE9ELNS1_3repE0EEENS1_30default_config_static_selectorELNS0_4arch9wavefront6targetE1EEEvSP_,"axG",@progbits,_ZN7rocprim17ROCPRIM_400000_NS6detail17trampoline_kernelINS0_14default_configENS1_21merge_config_selectorIfNS0_10empty_typeEEEZNS1_10merge_implIS3_N6thrust23THRUST_200600_302600_NS6detail15normal_iteratorINS9_10device_ptrIKfEEEESF_NSB_INSC_IfEEEEPS5_SI_SI_NS9_4lessIfEEEE10hipError_tPvRmT0_T1_T2_T3_T4_T5_mmT6_P12ihipStream_tbEUlT_E_NS1_11comp_targetILNS1_3genE5ELNS1_11target_archE942ELNS1_3gpuE9ELNS1_3repE0EEENS1_30default_config_static_selectorELNS0_4arch9wavefront6targetE1EEEvSP_,comdat
	.protected	_ZN7rocprim17ROCPRIM_400000_NS6detail17trampoline_kernelINS0_14default_configENS1_21merge_config_selectorIfNS0_10empty_typeEEEZNS1_10merge_implIS3_N6thrust23THRUST_200600_302600_NS6detail15normal_iteratorINS9_10device_ptrIKfEEEESF_NSB_INSC_IfEEEEPS5_SI_SI_NS9_4lessIfEEEE10hipError_tPvRmT0_T1_T2_T3_T4_T5_mmT6_P12ihipStream_tbEUlT_E_NS1_11comp_targetILNS1_3genE5ELNS1_11target_archE942ELNS1_3gpuE9ELNS1_3repE0EEENS1_30default_config_static_selectorELNS0_4arch9wavefront6targetE1EEEvSP_ ; -- Begin function _ZN7rocprim17ROCPRIM_400000_NS6detail17trampoline_kernelINS0_14default_configENS1_21merge_config_selectorIfNS0_10empty_typeEEEZNS1_10merge_implIS3_N6thrust23THRUST_200600_302600_NS6detail15normal_iteratorINS9_10device_ptrIKfEEEESF_NSB_INSC_IfEEEEPS5_SI_SI_NS9_4lessIfEEEE10hipError_tPvRmT0_T1_T2_T3_T4_T5_mmT6_P12ihipStream_tbEUlT_E_NS1_11comp_targetILNS1_3genE5ELNS1_11target_archE942ELNS1_3gpuE9ELNS1_3repE0EEENS1_30default_config_static_selectorELNS0_4arch9wavefront6targetE1EEEvSP_
	.globl	_ZN7rocprim17ROCPRIM_400000_NS6detail17trampoline_kernelINS0_14default_configENS1_21merge_config_selectorIfNS0_10empty_typeEEEZNS1_10merge_implIS3_N6thrust23THRUST_200600_302600_NS6detail15normal_iteratorINS9_10device_ptrIKfEEEESF_NSB_INSC_IfEEEEPS5_SI_SI_NS9_4lessIfEEEE10hipError_tPvRmT0_T1_T2_T3_T4_T5_mmT6_P12ihipStream_tbEUlT_E_NS1_11comp_targetILNS1_3genE5ELNS1_11target_archE942ELNS1_3gpuE9ELNS1_3repE0EEENS1_30default_config_static_selectorELNS0_4arch9wavefront6targetE1EEEvSP_
	.p2align	8
	.type	_ZN7rocprim17ROCPRIM_400000_NS6detail17trampoline_kernelINS0_14default_configENS1_21merge_config_selectorIfNS0_10empty_typeEEEZNS1_10merge_implIS3_N6thrust23THRUST_200600_302600_NS6detail15normal_iteratorINS9_10device_ptrIKfEEEESF_NSB_INSC_IfEEEEPS5_SI_SI_NS9_4lessIfEEEE10hipError_tPvRmT0_T1_T2_T3_T4_T5_mmT6_P12ihipStream_tbEUlT_E_NS1_11comp_targetILNS1_3genE5ELNS1_11target_archE942ELNS1_3gpuE9ELNS1_3repE0EEENS1_30default_config_static_selectorELNS0_4arch9wavefront6targetE1EEEvSP_,@function
_ZN7rocprim17ROCPRIM_400000_NS6detail17trampoline_kernelINS0_14default_configENS1_21merge_config_selectorIfNS0_10empty_typeEEEZNS1_10merge_implIS3_N6thrust23THRUST_200600_302600_NS6detail15normal_iteratorINS9_10device_ptrIKfEEEESF_NSB_INSC_IfEEEEPS5_SI_SI_NS9_4lessIfEEEE10hipError_tPvRmT0_T1_T2_T3_T4_T5_mmT6_P12ihipStream_tbEUlT_E_NS1_11comp_targetILNS1_3genE5ELNS1_11target_archE942ELNS1_3gpuE9ELNS1_3repE0EEENS1_30default_config_static_selectorELNS0_4arch9wavefront6targetE1EEEvSP_: ; @_ZN7rocprim17ROCPRIM_400000_NS6detail17trampoline_kernelINS0_14default_configENS1_21merge_config_selectorIfNS0_10empty_typeEEEZNS1_10merge_implIS3_N6thrust23THRUST_200600_302600_NS6detail15normal_iteratorINS9_10device_ptrIKfEEEESF_NSB_INSC_IfEEEEPS5_SI_SI_NS9_4lessIfEEEE10hipError_tPvRmT0_T1_T2_T3_T4_T5_mmT6_P12ihipStream_tbEUlT_E_NS1_11comp_targetILNS1_3genE5ELNS1_11target_archE942ELNS1_3gpuE9ELNS1_3repE0EEENS1_30default_config_static_selectorELNS0_4arch9wavefront6targetE1EEEvSP_
; %bb.0:
	.section	.rodata,"a",@progbits
	.p2align	6, 0x0
	.amdhsa_kernel _ZN7rocprim17ROCPRIM_400000_NS6detail17trampoline_kernelINS0_14default_configENS1_21merge_config_selectorIfNS0_10empty_typeEEEZNS1_10merge_implIS3_N6thrust23THRUST_200600_302600_NS6detail15normal_iteratorINS9_10device_ptrIKfEEEESF_NSB_INSC_IfEEEEPS5_SI_SI_NS9_4lessIfEEEE10hipError_tPvRmT0_T1_T2_T3_T4_T5_mmT6_P12ihipStream_tbEUlT_E_NS1_11comp_targetILNS1_3genE5ELNS1_11target_archE942ELNS1_3gpuE9ELNS1_3repE0EEENS1_30default_config_static_selectorELNS0_4arch9wavefront6targetE1EEEvSP_
		.amdhsa_group_segment_fixed_size 0
		.amdhsa_private_segment_fixed_size 0
		.amdhsa_kernarg_size 48
		.amdhsa_user_sgpr_count 6
		.amdhsa_user_sgpr_private_segment_buffer 1
		.amdhsa_user_sgpr_dispatch_ptr 0
		.amdhsa_user_sgpr_queue_ptr 0
		.amdhsa_user_sgpr_kernarg_segment_ptr 1
		.amdhsa_user_sgpr_dispatch_id 0
		.amdhsa_user_sgpr_flat_scratch_init 0
		.amdhsa_user_sgpr_kernarg_preload_length 0
		.amdhsa_user_sgpr_kernarg_preload_offset 0
		.amdhsa_user_sgpr_private_segment_size 0
		.amdhsa_uses_dynamic_stack 0
		.amdhsa_system_sgpr_private_segment_wavefront_offset 0
		.amdhsa_system_sgpr_workgroup_id_x 1
		.amdhsa_system_sgpr_workgroup_id_y 0
		.amdhsa_system_sgpr_workgroup_id_z 0
		.amdhsa_system_sgpr_workgroup_info 0
		.amdhsa_system_vgpr_workitem_id 0
		.amdhsa_next_free_vgpr 1
		.amdhsa_next_free_sgpr 0
		.amdhsa_accum_offset 4
		.amdhsa_reserve_vcc 0
		.amdhsa_reserve_flat_scratch 0
		.amdhsa_float_round_mode_32 0
		.amdhsa_float_round_mode_16_64 0
		.amdhsa_float_denorm_mode_32 3
		.amdhsa_float_denorm_mode_16_64 3
		.amdhsa_dx10_clamp 1
		.amdhsa_ieee_mode 1
		.amdhsa_fp16_overflow 0
		.amdhsa_tg_split 0
		.amdhsa_exception_fp_ieee_invalid_op 0
		.amdhsa_exception_fp_denorm_src 0
		.amdhsa_exception_fp_ieee_div_zero 0
		.amdhsa_exception_fp_ieee_overflow 0
		.amdhsa_exception_fp_ieee_underflow 0
		.amdhsa_exception_fp_ieee_inexact 0
		.amdhsa_exception_int_div_zero 0
	.end_amdhsa_kernel
	.section	.text._ZN7rocprim17ROCPRIM_400000_NS6detail17trampoline_kernelINS0_14default_configENS1_21merge_config_selectorIfNS0_10empty_typeEEEZNS1_10merge_implIS3_N6thrust23THRUST_200600_302600_NS6detail15normal_iteratorINS9_10device_ptrIKfEEEESF_NSB_INSC_IfEEEEPS5_SI_SI_NS9_4lessIfEEEE10hipError_tPvRmT0_T1_T2_T3_T4_T5_mmT6_P12ihipStream_tbEUlT_E_NS1_11comp_targetILNS1_3genE5ELNS1_11target_archE942ELNS1_3gpuE9ELNS1_3repE0EEENS1_30default_config_static_selectorELNS0_4arch9wavefront6targetE1EEEvSP_,"axG",@progbits,_ZN7rocprim17ROCPRIM_400000_NS6detail17trampoline_kernelINS0_14default_configENS1_21merge_config_selectorIfNS0_10empty_typeEEEZNS1_10merge_implIS3_N6thrust23THRUST_200600_302600_NS6detail15normal_iteratorINS9_10device_ptrIKfEEEESF_NSB_INSC_IfEEEEPS5_SI_SI_NS9_4lessIfEEEE10hipError_tPvRmT0_T1_T2_T3_T4_T5_mmT6_P12ihipStream_tbEUlT_E_NS1_11comp_targetILNS1_3genE5ELNS1_11target_archE942ELNS1_3gpuE9ELNS1_3repE0EEENS1_30default_config_static_selectorELNS0_4arch9wavefront6targetE1EEEvSP_,comdat
.Lfunc_end60:
	.size	_ZN7rocprim17ROCPRIM_400000_NS6detail17trampoline_kernelINS0_14default_configENS1_21merge_config_selectorIfNS0_10empty_typeEEEZNS1_10merge_implIS3_N6thrust23THRUST_200600_302600_NS6detail15normal_iteratorINS9_10device_ptrIKfEEEESF_NSB_INSC_IfEEEEPS5_SI_SI_NS9_4lessIfEEEE10hipError_tPvRmT0_T1_T2_T3_T4_T5_mmT6_P12ihipStream_tbEUlT_E_NS1_11comp_targetILNS1_3genE5ELNS1_11target_archE942ELNS1_3gpuE9ELNS1_3repE0EEENS1_30default_config_static_selectorELNS0_4arch9wavefront6targetE1EEEvSP_, .Lfunc_end60-_ZN7rocprim17ROCPRIM_400000_NS6detail17trampoline_kernelINS0_14default_configENS1_21merge_config_selectorIfNS0_10empty_typeEEEZNS1_10merge_implIS3_N6thrust23THRUST_200600_302600_NS6detail15normal_iteratorINS9_10device_ptrIKfEEEESF_NSB_INSC_IfEEEEPS5_SI_SI_NS9_4lessIfEEEE10hipError_tPvRmT0_T1_T2_T3_T4_T5_mmT6_P12ihipStream_tbEUlT_E_NS1_11comp_targetILNS1_3genE5ELNS1_11target_archE942ELNS1_3gpuE9ELNS1_3repE0EEENS1_30default_config_static_selectorELNS0_4arch9wavefront6targetE1EEEvSP_
                                        ; -- End function
	.section	.AMDGPU.csdata,"",@progbits
; Kernel info:
; codeLenInByte = 0
; NumSgprs: 4
; NumVgprs: 0
; NumAgprs: 0
; TotalNumVgprs: 0
; ScratchSize: 0
; MemoryBound: 0
; FloatMode: 240
; IeeeMode: 1
; LDSByteSize: 0 bytes/workgroup (compile time only)
; SGPRBlocks: 0
; VGPRBlocks: 0
; NumSGPRsForWavesPerEU: 4
; NumVGPRsForWavesPerEU: 1
; AccumOffset: 4
; Occupancy: 8
; WaveLimiterHint : 0
; COMPUTE_PGM_RSRC2:SCRATCH_EN: 0
; COMPUTE_PGM_RSRC2:USER_SGPR: 6
; COMPUTE_PGM_RSRC2:TRAP_HANDLER: 0
; COMPUTE_PGM_RSRC2:TGID_X_EN: 1
; COMPUTE_PGM_RSRC2:TGID_Y_EN: 0
; COMPUTE_PGM_RSRC2:TGID_Z_EN: 0
; COMPUTE_PGM_RSRC2:TIDIG_COMP_CNT: 0
; COMPUTE_PGM_RSRC3_GFX90A:ACCUM_OFFSET: 0
; COMPUTE_PGM_RSRC3_GFX90A:TG_SPLIT: 0
	.section	.text._ZN7rocprim17ROCPRIM_400000_NS6detail17trampoline_kernelINS0_14default_configENS1_21merge_config_selectorIfNS0_10empty_typeEEEZNS1_10merge_implIS3_N6thrust23THRUST_200600_302600_NS6detail15normal_iteratorINS9_10device_ptrIKfEEEESF_NSB_INSC_IfEEEEPS5_SI_SI_NS9_4lessIfEEEE10hipError_tPvRmT0_T1_T2_T3_T4_T5_mmT6_P12ihipStream_tbEUlT_E_NS1_11comp_targetILNS1_3genE4ELNS1_11target_archE910ELNS1_3gpuE8ELNS1_3repE0EEENS1_30default_config_static_selectorELNS0_4arch9wavefront6targetE1EEEvSP_,"axG",@progbits,_ZN7rocprim17ROCPRIM_400000_NS6detail17trampoline_kernelINS0_14default_configENS1_21merge_config_selectorIfNS0_10empty_typeEEEZNS1_10merge_implIS3_N6thrust23THRUST_200600_302600_NS6detail15normal_iteratorINS9_10device_ptrIKfEEEESF_NSB_INSC_IfEEEEPS5_SI_SI_NS9_4lessIfEEEE10hipError_tPvRmT0_T1_T2_T3_T4_T5_mmT6_P12ihipStream_tbEUlT_E_NS1_11comp_targetILNS1_3genE4ELNS1_11target_archE910ELNS1_3gpuE8ELNS1_3repE0EEENS1_30default_config_static_selectorELNS0_4arch9wavefront6targetE1EEEvSP_,comdat
	.protected	_ZN7rocprim17ROCPRIM_400000_NS6detail17trampoline_kernelINS0_14default_configENS1_21merge_config_selectorIfNS0_10empty_typeEEEZNS1_10merge_implIS3_N6thrust23THRUST_200600_302600_NS6detail15normal_iteratorINS9_10device_ptrIKfEEEESF_NSB_INSC_IfEEEEPS5_SI_SI_NS9_4lessIfEEEE10hipError_tPvRmT0_T1_T2_T3_T4_T5_mmT6_P12ihipStream_tbEUlT_E_NS1_11comp_targetILNS1_3genE4ELNS1_11target_archE910ELNS1_3gpuE8ELNS1_3repE0EEENS1_30default_config_static_selectorELNS0_4arch9wavefront6targetE1EEEvSP_ ; -- Begin function _ZN7rocprim17ROCPRIM_400000_NS6detail17trampoline_kernelINS0_14default_configENS1_21merge_config_selectorIfNS0_10empty_typeEEEZNS1_10merge_implIS3_N6thrust23THRUST_200600_302600_NS6detail15normal_iteratorINS9_10device_ptrIKfEEEESF_NSB_INSC_IfEEEEPS5_SI_SI_NS9_4lessIfEEEE10hipError_tPvRmT0_T1_T2_T3_T4_T5_mmT6_P12ihipStream_tbEUlT_E_NS1_11comp_targetILNS1_3genE4ELNS1_11target_archE910ELNS1_3gpuE8ELNS1_3repE0EEENS1_30default_config_static_selectorELNS0_4arch9wavefront6targetE1EEEvSP_
	.globl	_ZN7rocprim17ROCPRIM_400000_NS6detail17trampoline_kernelINS0_14default_configENS1_21merge_config_selectorIfNS0_10empty_typeEEEZNS1_10merge_implIS3_N6thrust23THRUST_200600_302600_NS6detail15normal_iteratorINS9_10device_ptrIKfEEEESF_NSB_INSC_IfEEEEPS5_SI_SI_NS9_4lessIfEEEE10hipError_tPvRmT0_T1_T2_T3_T4_T5_mmT6_P12ihipStream_tbEUlT_E_NS1_11comp_targetILNS1_3genE4ELNS1_11target_archE910ELNS1_3gpuE8ELNS1_3repE0EEENS1_30default_config_static_selectorELNS0_4arch9wavefront6targetE1EEEvSP_
	.p2align	8
	.type	_ZN7rocprim17ROCPRIM_400000_NS6detail17trampoline_kernelINS0_14default_configENS1_21merge_config_selectorIfNS0_10empty_typeEEEZNS1_10merge_implIS3_N6thrust23THRUST_200600_302600_NS6detail15normal_iteratorINS9_10device_ptrIKfEEEESF_NSB_INSC_IfEEEEPS5_SI_SI_NS9_4lessIfEEEE10hipError_tPvRmT0_T1_T2_T3_T4_T5_mmT6_P12ihipStream_tbEUlT_E_NS1_11comp_targetILNS1_3genE4ELNS1_11target_archE910ELNS1_3gpuE8ELNS1_3repE0EEENS1_30default_config_static_selectorELNS0_4arch9wavefront6targetE1EEEvSP_,@function
_ZN7rocprim17ROCPRIM_400000_NS6detail17trampoline_kernelINS0_14default_configENS1_21merge_config_selectorIfNS0_10empty_typeEEEZNS1_10merge_implIS3_N6thrust23THRUST_200600_302600_NS6detail15normal_iteratorINS9_10device_ptrIKfEEEESF_NSB_INSC_IfEEEEPS5_SI_SI_NS9_4lessIfEEEE10hipError_tPvRmT0_T1_T2_T3_T4_T5_mmT6_P12ihipStream_tbEUlT_E_NS1_11comp_targetILNS1_3genE4ELNS1_11target_archE910ELNS1_3gpuE8ELNS1_3repE0EEENS1_30default_config_static_selectorELNS0_4arch9wavefront6targetE1EEEvSP_: ; @_ZN7rocprim17ROCPRIM_400000_NS6detail17trampoline_kernelINS0_14default_configENS1_21merge_config_selectorIfNS0_10empty_typeEEEZNS1_10merge_implIS3_N6thrust23THRUST_200600_302600_NS6detail15normal_iteratorINS9_10device_ptrIKfEEEESF_NSB_INSC_IfEEEEPS5_SI_SI_NS9_4lessIfEEEE10hipError_tPvRmT0_T1_T2_T3_T4_T5_mmT6_P12ihipStream_tbEUlT_E_NS1_11comp_targetILNS1_3genE4ELNS1_11target_archE910ELNS1_3gpuE8ELNS1_3repE0EEENS1_30default_config_static_selectorELNS0_4arch9wavefront6targetE1EEEvSP_
; %bb.0:
	s_load_dword s7, s[4:5], 0x28
	s_load_dword s0, s[4:5], 0x3c
	s_load_dwordx4 s[8:11], s[4:5], 0x18
	s_waitcnt lgkmcnt(0)
	v_cvt_f32_u32_e32 v1, s7
	s_and_b32 s0, s0, 0xffff
	s_add_u32 s12, s10, s8
	s_addc_u32 s13, s11, s9
	v_rcp_iflag_f32_e32 v1, v1
	s_sub_i32 s1, 0, s7
	s_mul_i32 s6, s6, s0
	s_add_i32 s0, s7, s12
	v_mul_f32_e32 v1, 0x4f7ffffe, v1
	v_cvt_u32_f32_e32 v1, v1
	s_add_i32 s0, s0, -1
	v_add_u32_e32 v0, s6, v0
	v_readfirstlane_b32 s2, v1
	s_mul_i32 s1, s1, s2
	s_mul_hi_u32 s1, s2, s1
	s_add_i32 s2, s2, s1
	s_mul_hi_u32 s1, s0, s2
	s_mul_i32 s2, s1, s7
	s_sub_i32 s0, s0, s2
	s_add_i32 s3, s1, 1
	s_sub_i32 s2, s0, s7
	s_cmp_ge_u32 s0, s7
	s_cselect_b32 s1, s3, s1
	s_cselect_b32 s0, s2, s0
	s_add_i32 s2, s1, 1
	s_cmp_ge_u32 s0, s7
	s_cselect_b32 s0, s2, s1
	v_cmp_ge_u32_e32 vcc, s0, v0
	s_and_saveexec_b64 s[0:1], vcc
	s_cbranch_execz .LBB61_6
; %bb.1:
	v_mul_lo_u32 v2, v0, s7
	v_mov_b32_e32 v3, 0
	v_mov_b32_e32 v1, s13
	v_cmp_gt_u64_e32 vcc, s[12:13], v[2:3]
	v_cndmask_b32_e64 v7, v1, 0, vcc
	v_mov_b32_e32 v1, s12
	v_cndmask_b32_e32 v6, v1, v2, vcc
	v_mov_b32_e32 v1, s11
	v_subrev_co_u32_e32 v2, vcc, s10, v6
	v_subb_co_u32_e32 v3, vcc, v7, v1, vcc
	s_load_dwordx4 s[0:3], s[4:5], 0x0
	v_cmp_gt_u64_e32 vcc, v[2:3], v[6:7]
	v_cndmask_b32_e64 v3, v3, 0, vcc
	v_cndmask_b32_e64 v2, v2, 0, vcc
	v_mov_b32_e32 v1, s9
	v_cmp_gt_u64_e32 vcc, s[8:9], v[6:7]
	v_cndmask_b32_e32 v5, v1, v7, vcc
	v_mov_b32_e32 v1, s8
	v_cndmask_b32_e32 v4, v1, v6, vcc
	v_cmp_lt_u64_e32 vcc, v[2:3], v[4:5]
	s_and_saveexec_b64 s[6:7], vcc
	s_cbranch_execz .LBB61_5
; %bb.2:
	s_load_dwordx2 s[4:5], s[4:5], 0x10
	v_lshlrev_b64 v[6:7], 2, v[6:7]
	s_waitcnt lgkmcnt(0)
	v_mov_b32_e32 v8, s5
	v_add_co_u32_e32 v1, vcc, s4, v6
	v_addc_co_u32_e32 v6, vcc, v8, v7, vcc
	s_mov_b64 s[4:5], 0
	v_mov_b32_e32 v7, s3
.LBB61_3:                               ; =>This Inner Loop Header: Depth=1
	v_add_co_u32_e32 v8, vcc, v4, v2
	v_addc_co_u32_e32 v9, vcc, v5, v3, vcc
	v_lshrrev_b64 v[8:9], 1, v[8:9]
	v_lshlrev_b64 v[12:13], 2, v[8:9]
	v_not_b32_e32 v11, v9
	v_not_b32_e32 v10, v8
	v_add_co_u32_e32 v12, vcc, s2, v12
	v_addc_co_u32_e32 v13, vcc, v7, v13, vcc
	v_lshlrev_b64 v[10:11], 2, v[10:11]
	v_add_co_u32_e32 v10, vcc, v1, v10
	v_addc_co_u32_e32 v11, vcc, v6, v11, vcc
	global_load_dword v12, v[12:13], off
	s_nop 0
	global_load_dword v10, v[10:11], off
	v_add_co_u32_e32 v11, vcc, 1, v8
	v_addc_co_u32_e32 v13, vcc, 0, v9, vcc
	s_waitcnt vmcnt(0)
	v_cmp_lt_f32_e32 vcc, v10, v12
	v_cndmask_b32_e32 v5, v5, v9, vcc
	v_cndmask_b32_e32 v4, v4, v8, vcc
	;; [unrolled: 1-line block ×4, first 2 shown]
	v_cmp_ge_u64_e32 vcc, v[2:3], v[4:5]
	s_or_b64 s[4:5], vcc, s[4:5]
	s_andn2_b64 exec, exec, s[4:5]
	s_cbranch_execnz .LBB61_3
; %bb.4:
	s_or_b64 exec, exec, s[4:5]
.LBB61_5:
	s_or_b64 exec, exec, s[6:7]
	v_mov_b32_e32 v1, 0
	v_lshlrev_b64 v[0:1], 2, v[0:1]
	s_waitcnt lgkmcnt(0)
	v_mov_b32_e32 v3, s1
	v_add_co_u32_e32 v0, vcc, s0, v0
	v_addc_co_u32_e32 v1, vcc, v3, v1, vcc
	global_store_dword v[0:1], v2, off
.LBB61_6:
	s_endpgm
	.section	.rodata,"a",@progbits
	.p2align	6, 0x0
	.amdhsa_kernel _ZN7rocprim17ROCPRIM_400000_NS6detail17trampoline_kernelINS0_14default_configENS1_21merge_config_selectorIfNS0_10empty_typeEEEZNS1_10merge_implIS3_N6thrust23THRUST_200600_302600_NS6detail15normal_iteratorINS9_10device_ptrIKfEEEESF_NSB_INSC_IfEEEEPS5_SI_SI_NS9_4lessIfEEEE10hipError_tPvRmT0_T1_T2_T3_T4_T5_mmT6_P12ihipStream_tbEUlT_E_NS1_11comp_targetILNS1_3genE4ELNS1_11target_archE910ELNS1_3gpuE8ELNS1_3repE0EEENS1_30default_config_static_selectorELNS0_4arch9wavefront6targetE1EEEvSP_
		.amdhsa_group_segment_fixed_size 0
		.amdhsa_private_segment_fixed_size 0
		.amdhsa_kernarg_size 304
		.amdhsa_user_sgpr_count 6
		.amdhsa_user_sgpr_private_segment_buffer 1
		.amdhsa_user_sgpr_dispatch_ptr 0
		.amdhsa_user_sgpr_queue_ptr 0
		.amdhsa_user_sgpr_kernarg_segment_ptr 1
		.amdhsa_user_sgpr_dispatch_id 0
		.amdhsa_user_sgpr_flat_scratch_init 0
		.amdhsa_user_sgpr_kernarg_preload_length 0
		.amdhsa_user_sgpr_kernarg_preload_offset 0
		.amdhsa_user_sgpr_private_segment_size 0
		.amdhsa_uses_dynamic_stack 0
		.amdhsa_system_sgpr_private_segment_wavefront_offset 0
		.amdhsa_system_sgpr_workgroup_id_x 1
		.amdhsa_system_sgpr_workgroup_id_y 0
		.amdhsa_system_sgpr_workgroup_id_z 0
		.amdhsa_system_sgpr_workgroup_info 0
		.amdhsa_system_vgpr_workitem_id 0
		.amdhsa_next_free_vgpr 14
		.amdhsa_next_free_sgpr 14
		.amdhsa_accum_offset 16
		.amdhsa_reserve_vcc 1
		.amdhsa_reserve_flat_scratch 0
		.amdhsa_float_round_mode_32 0
		.amdhsa_float_round_mode_16_64 0
		.amdhsa_float_denorm_mode_32 3
		.amdhsa_float_denorm_mode_16_64 3
		.amdhsa_dx10_clamp 1
		.amdhsa_ieee_mode 1
		.amdhsa_fp16_overflow 0
		.amdhsa_tg_split 0
		.amdhsa_exception_fp_ieee_invalid_op 0
		.amdhsa_exception_fp_denorm_src 0
		.amdhsa_exception_fp_ieee_div_zero 0
		.amdhsa_exception_fp_ieee_overflow 0
		.amdhsa_exception_fp_ieee_underflow 0
		.amdhsa_exception_fp_ieee_inexact 0
		.amdhsa_exception_int_div_zero 0
	.end_amdhsa_kernel
	.section	.text._ZN7rocprim17ROCPRIM_400000_NS6detail17trampoline_kernelINS0_14default_configENS1_21merge_config_selectorIfNS0_10empty_typeEEEZNS1_10merge_implIS3_N6thrust23THRUST_200600_302600_NS6detail15normal_iteratorINS9_10device_ptrIKfEEEESF_NSB_INSC_IfEEEEPS5_SI_SI_NS9_4lessIfEEEE10hipError_tPvRmT0_T1_T2_T3_T4_T5_mmT6_P12ihipStream_tbEUlT_E_NS1_11comp_targetILNS1_3genE4ELNS1_11target_archE910ELNS1_3gpuE8ELNS1_3repE0EEENS1_30default_config_static_selectorELNS0_4arch9wavefront6targetE1EEEvSP_,"axG",@progbits,_ZN7rocprim17ROCPRIM_400000_NS6detail17trampoline_kernelINS0_14default_configENS1_21merge_config_selectorIfNS0_10empty_typeEEEZNS1_10merge_implIS3_N6thrust23THRUST_200600_302600_NS6detail15normal_iteratorINS9_10device_ptrIKfEEEESF_NSB_INSC_IfEEEEPS5_SI_SI_NS9_4lessIfEEEE10hipError_tPvRmT0_T1_T2_T3_T4_T5_mmT6_P12ihipStream_tbEUlT_E_NS1_11comp_targetILNS1_3genE4ELNS1_11target_archE910ELNS1_3gpuE8ELNS1_3repE0EEENS1_30default_config_static_selectorELNS0_4arch9wavefront6targetE1EEEvSP_,comdat
.Lfunc_end61:
	.size	_ZN7rocprim17ROCPRIM_400000_NS6detail17trampoline_kernelINS0_14default_configENS1_21merge_config_selectorIfNS0_10empty_typeEEEZNS1_10merge_implIS3_N6thrust23THRUST_200600_302600_NS6detail15normal_iteratorINS9_10device_ptrIKfEEEESF_NSB_INSC_IfEEEEPS5_SI_SI_NS9_4lessIfEEEE10hipError_tPvRmT0_T1_T2_T3_T4_T5_mmT6_P12ihipStream_tbEUlT_E_NS1_11comp_targetILNS1_3genE4ELNS1_11target_archE910ELNS1_3gpuE8ELNS1_3repE0EEENS1_30default_config_static_selectorELNS0_4arch9wavefront6targetE1EEEvSP_, .Lfunc_end61-_ZN7rocprim17ROCPRIM_400000_NS6detail17trampoline_kernelINS0_14default_configENS1_21merge_config_selectorIfNS0_10empty_typeEEEZNS1_10merge_implIS3_N6thrust23THRUST_200600_302600_NS6detail15normal_iteratorINS9_10device_ptrIKfEEEESF_NSB_INSC_IfEEEEPS5_SI_SI_NS9_4lessIfEEEE10hipError_tPvRmT0_T1_T2_T3_T4_T5_mmT6_P12ihipStream_tbEUlT_E_NS1_11comp_targetILNS1_3genE4ELNS1_11target_archE910ELNS1_3gpuE8ELNS1_3repE0EEENS1_30default_config_static_selectorELNS0_4arch9wavefront6targetE1EEEvSP_
                                        ; -- End function
	.section	.AMDGPU.csdata,"",@progbits
; Kernel info:
; codeLenInByte = 476
; NumSgprs: 18
; NumVgprs: 14
; NumAgprs: 0
; TotalNumVgprs: 14
; ScratchSize: 0
; MemoryBound: 0
; FloatMode: 240
; IeeeMode: 1
; LDSByteSize: 0 bytes/workgroup (compile time only)
; SGPRBlocks: 2
; VGPRBlocks: 1
; NumSGPRsForWavesPerEU: 18
; NumVGPRsForWavesPerEU: 14
; AccumOffset: 16
; Occupancy: 8
; WaveLimiterHint : 0
; COMPUTE_PGM_RSRC2:SCRATCH_EN: 0
; COMPUTE_PGM_RSRC2:USER_SGPR: 6
; COMPUTE_PGM_RSRC2:TRAP_HANDLER: 0
; COMPUTE_PGM_RSRC2:TGID_X_EN: 1
; COMPUTE_PGM_RSRC2:TGID_Y_EN: 0
; COMPUTE_PGM_RSRC2:TGID_Z_EN: 0
; COMPUTE_PGM_RSRC2:TIDIG_COMP_CNT: 0
; COMPUTE_PGM_RSRC3_GFX90A:ACCUM_OFFSET: 3
; COMPUTE_PGM_RSRC3_GFX90A:TG_SPLIT: 0
	.section	.text._ZN7rocprim17ROCPRIM_400000_NS6detail17trampoline_kernelINS0_14default_configENS1_21merge_config_selectorIfNS0_10empty_typeEEEZNS1_10merge_implIS3_N6thrust23THRUST_200600_302600_NS6detail15normal_iteratorINS9_10device_ptrIKfEEEESF_NSB_INSC_IfEEEEPS5_SI_SI_NS9_4lessIfEEEE10hipError_tPvRmT0_T1_T2_T3_T4_T5_mmT6_P12ihipStream_tbEUlT_E_NS1_11comp_targetILNS1_3genE3ELNS1_11target_archE908ELNS1_3gpuE7ELNS1_3repE0EEENS1_30default_config_static_selectorELNS0_4arch9wavefront6targetE1EEEvSP_,"axG",@progbits,_ZN7rocprim17ROCPRIM_400000_NS6detail17trampoline_kernelINS0_14default_configENS1_21merge_config_selectorIfNS0_10empty_typeEEEZNS1_10merge_implIS3_N6thrust23THRUST_200600_302600_NS6detail15normal_iteratorINS9_10device_ptrIKfEEEESF_NSB_INSC_IfEEEEPS5_SI_SI_NS9_4lessIfEEEE10hipError_tPvRmT0_T1_T2_T3_T4_T5_mmT6_P12ihipStream_tbEUlT_E_NS1_11comp_targetILNS1_3genE3ELNS1_11target_archE908ELNS1_3gpuE7ELNS1_3repE0EEENS1_30default_config_static_selectorELNS0_4arch9wavefront6targetE1EEEvSP_,comdat
	.protected	_ZN7rocprim17ROCPRIM_400000_NS6detail17trampoline_kernelINS0_14default_configENS1_21merge_config_selectorIfNS0_10empty_typeEEEZNS1_10merge_implIS3_N6thrust23THRUST_200600_302600_NS6detail15normal_iteratorINS9_10device_ptrIKfEEEESF_NSB_INSC_IfEEEEPS5_SI_SI_NS9_4lessIfEEEE10hipError_tPvRmT0_T1_T2_T3_T4_T5_mmT6_P12ihipStream_tbEUlT_E_NS1_11comp_targetILNS1_3genE3ELNS1_11target_archE908ELNS1_3gpuE7ELNS1_3repE0EEENS1_30default_config_static_selectorELNS0_4arch9wavefront6targetE1EEEvSP_ ; -- Begin function _ZN7rocprim17ROCPRIM_400000_NS6detail17trampoline_kernelINS0_14default_configENS1_21merge_config_selectorIfNS0_10empty_typeEEEZNS1_10merge_implIS3_N6thrust23THRUST_200600_302600_NS6detail15normal_iteratorINS9_10device_ptrIKfEEEESF_NSB_INSC_IfEEEEPS5_SI_SI_NS9_4lessIfEEEE10hipError_tPvRmT0_T1_T2_T3_T4_T5_mmT6_P12ihipStream_tbEUlT_E_NS1_11comp_targetILNS1_3genE3ELNS1_11target_archE908ELNS1_3gpuE7ELNS1_3repE0EEENS1_30default_config_static_selectorELNS0_4arch9wavefront6targetE1EEEvSP_
	.globl	_ZN7rocprim17ROCPRIM_400000_NS6detail17trampoline_kernelINS0_14default_configENS1_21merge_config_selectorIfNS0_10empty_typeEEEZNS1_10merge_implIS3_N6thrust23THRUST_200600_302600_NS6detail15normal_iteratorINS9_10device_ptrIKfEEEESF_NSB_INSC_IfEEEEPS5_SI_SI_NS9_4lessIfEEEE10hipError_tPvRmT0_T1_T2_T3_T4_T5_mmT6_P12ihipStream_tbEUlT_E_NS1_11comp_targetILNS1_3genE3ELNS1_11target_archE908ELNS1_3gpuE7ELNS1_3repE0EEENS1_30default_config_static_selectorELNS0_4arch9wavefront6targetE1EEEvSP_
	.p2align	8
	.type	_ZN7rocprim17ROCPRIM_400000_NS6detail17trampoline_kernelINS0_14default_configENS1_21merge_config_selectorIfNS0_10empty_typeEEEZNS1_10merge_implIS3_N6thrust23THRUST_200600_302600_NS6detail15normal_iteratorINS9_10device_ptrIKfEEEESF_NSB_INSC_IfEEEEPS5_SI_SI_NS9_4lessIfEEEE10hipError_tPvRmT0_T1_T2_T3_T4_T5_mmT6_P12ihipStream_tbEUlT_E_NS1_11comp_targetILNS1_3genE3ELNS1_11target_archE908ELNS1_3gpuE7ELNS1_3repE0EEENS1_30default_config_static_selectorELNS0_4arch9wavefront6targetE1EEEvSP_,@function
_ZN7rocprim17ROCPRIM_400000_NS6detail17trampoline_kernelINS0_14default_configENS1_21merge_config_selectorIfNS0_10empty_typeEEEZNS1_10merge_implIS3_N6thrust23THRUST_200600_302600_NS6detail15normal_iteratorINS9_10device_ptrIKfEEEESF_NSB_INSC_IfEEEEPS5_SI_SI_NS9_4lessIfEEEE10hipError_tPvRmT0_T1_T2_T3_T4_T5_mmT6_P12ihipStream_tbEUlT_E_NS1_11comp_targetILNS1_3genE3ELNS1_11target_archE908ELNS1_3gpuE7ELNS1_3repE0EEENS1_30default_config_static_selectorELNS0_4arch9wavefront6targetE1EEEvSP_: ; @_ZN7rocprim17ROCPRIM_400000_NS6detail17trampoline_kernelINS0_14default_configENS1_21merge_config_selectorIfNS0_10empty_typeEEEZNS1_10merge_implIS3_N6thrust23THRUST_200600_302600_NS6detail15normal_iteratorINS9_10device_ptrIKfEEEESF_NSB_INSC_IfEEEEPS5_SI_SI_NS9_4lessIfEEEE10hipError_tPvRmT0_T1_T2_T3_T4_T5_mmT6_P12ihipStream_tbEUlT_E_NS1_11comp_targetILNS1_3genE3ELNS1_11target_archE908ELNS1_3gpuE7ELNS1_3repE0EEENS1_30default_config_static_selectorELNS0_4arch9wavefront6targetE1EEEvSP_
; %bb.0:
	.section	.rodata,"a",@progbits
	.p2align	6, 0x0
	.amdhsa_kernel _ZN7rocprim17ROCPRIM_400000_NS6detail17trampoline_kernelINS0_14default_configENS1_21merge_config_selectorIfNS0_10empty_typeEEEZNS1_10merge_implIS3_N6thrust23THRUST_200600_302600_NS6detail15normal_iteratorINS9_10device_ptrIKfEEEESF_NSB_INSC_IfEEEEPS5_SI_SI_NS9_4lessIfEEEE10hipError_tPvRmT0_T1_T2_T3_T4_T5_mmT6_P12ihipStream_tbEUlT_E_NS1_11comp_targetILNS1_3genE3ELNS1_11target_archE908ELNS1_3gpuE7ELNS1_3repE0EEENS1_30default_config_static_selectorELNS0_4arch9wavefront6targetE1EEEvSP_
		.amdhsa_group_segment_fixed_size 0
		.amdhsa_private_segment_fixed_size 0
		.amdhsa_kernarg_size 48
		.amdhsa_user_sgpr_count 6
		.amdhsa_user_sgpr_private_segment_buffer 1
		.amdhsa_user_sgpr_dispatch_ptr 0
		.amdhsa_user_sgpr_queue_ptr 0
		.amdhsa_user_sgpr_kernarg_segment_ptr 1
		.amdhsa_user_sgpr_dispatch_id 0
		.amdhsa_user_sgpr_flat_scratch_init 0
		.amdhsa_user_sgpr_kernarg_preload_length 0
		.amdhsa_user_sgpr_kernarg_preload_offset 0
		.amdhsa_user_sgpr_private_segment_size 0
		.amdhsa_uses_dynamic_stack 0
		.amdhsa_system_sgpr_private_segment_wavefront_offset 0
		.amdhsa_system_sgpr_workgroup_id_x 1
		.amdhsa_system_sgpr_workgroup_id_y 0
		.amdhsa_system_sgpr_workgroup_id_z 0
		.amdhsa_system_sgpr_workgroup_info 0
		.amdhsa_system_vgpr_workitem_id 0
		.amdhsa_next_free_vgpr 1
		.amdhsa_next_free_sgpr 0
		.amdhsa_accum_offset 4
		.amdhsa_reserve_vcc 0
		.amdhsa_reserve_flat_scratch 0
		.amdhsa_float_round_mode_32 0
		.amdhsa_float_round_mode_16_64 0
		.amdhsa_float_denorm_mode_32 3
		.amdhsa_float_denorm_mode_16_64 3
		.amdhsa_dx10_clamp 1
		.amdhsa_ieee_mode 1
		.amdhsa_fp16_overflow 0
		.amdhsa_tg_split 0
		.amdhsa_exception_fp_ieee_invalid_op 0
		.amdhsa_exception_fp_denorm_src 0
		.amdhsa_exception_fp_ieee_div_zero 0
		.amdhsa_exception_fp_ieee_overflow 0
		.amdhsa_exception_fp_ieee_underflow 0
		.amdhsa_exception_fp_ieee_inexact 0
		.amdhsa_exception_int_div_zero 0
	.end_amdhsa_kernel
	.section	.text._ZN7rocprim17ROCPRIM_400000_NS6detail17trampoline_kernelINS0_14default_configENS1_21merge_config_selectorIfNS0_10empty_typeEEEZNS1_10merge_implIS3_N6thrust23THRUST_200600_302600_NS6detail15normal_iteratorINS9_10device_ptrIKfEEEESF_NSB_INSC_IfEEEEPS5_SI_SI_NS9_4lessIfEEEE10hipError_tPvRmT0_T1_T2_T3_T4_T5_mmT6_P12ihipStream_tbEUlT_E_NS1_11comp_targetILNS1_3genE3ELNS1_11target_archE908ELNS1_3gpuE7ELNS1_3repE0EEENS1_30default_config_static_selectorELNS0_4arch9wavefront6targetE1EEEvSP_,"axG",@progbits,_ZN7rocprim17ROCPRIM_400000_NS6detail17trampoline_kernelINS0_14default_configENS1_21merge_config_selectorIfNS0_10empty_typeEEEZNS1_10merge_implIS3_N6thrust23THRUST_200600_302600_NS6detail15normal_iteratorINS9_10device_ptrIKfEEEESF_NSB_INSC_IfEEEEPS5_SI_SI_NS9_4lessIfEEEE10hipError_tPvRmT0_T1_T2_T3_T4_T5_mmT6_P12ihipStream_tbEUlT_E_NS1_11comp_targetILNS1_3genE3ELNS1_11target_archE908ELNS1_3gpuE7ELNS1_3repE0EEENS1_30default_config_static_selectorELNS0_4arch9wavefront6targetE1EEEvSP_,comdat
.Lfunc_end62:
	.size	_ZN7rocprim17ROCPRIM_400000_NS6detail17trampoline_kernelINS0_14default_configENS1_21merge_config_selectorIfNS0_10empty_typeEEEZNS1_10merge_implIS3_N6thrust23THRUST_200600_302600_NS6detail15normal_iteratorINS9_10device_ptrIKfEEEESF_NSB_INSC_IfEEEEPS5_SI_SI_NS9_4lessIfEEEE10hipError_tPvRmT0_T1_T2_T3_T4_T5_mmT6_P12ihipStream_tbEUlT_E_NS1_11comp_targetILNS1_3genE3ELNS1_11target_archE908ELNS1_3gpuE7ELNS1_3repE0EEENS1_30default_config_static_selectorELNS0_4arch9wavefront6targetE1EEEvSP_, .Lfunc_end62-_ZN7rocprim17ROCPRIM_400000_NS6detail17trampoline_kernelINS0_14default_configENS1_21merge_config_selectorIfNS0_10empty_typeEEEZNS1_10merge_implIS3_N6thrust23THRUST_200600_302600_NS6detail15normal_iteratorINS9_10device_ptrIKfEEEESF_NSB_INSC_IfEEEEPS5_SI_SI_NS9_4lessIfEEEE10hipError_tPvRmT0_T1_T2_T3_T4_T5_mmT6_P12ihipStream_tbEUlT_E_NS1_11comp_targetILNS1_3genE3ELNS1_11target_archE908ELNS1_3gpuE7ELNS1_3repE0EEENS1_30default_config_static_selectorELNS0_4arch9wavefront6targetE1EEEvSP_
                                        ; -- End function
	.section	.AMDGPU.csdata,"",@progbits
; Kernel info:
; codeLenInByte = 0
; NumSgprs: 4
; NumVgprs: 0
; NumAgprs: 0
; TotalNumVgprs: 0
; ScratchSize: 0
; MemoryBound: 0
; FloatMode: 240
; IeeeMode: 1
; LDSByteSize: 0 bytes/workgroup (compile time only)
; SGPRBlocks: 0
; VGPRBlocks: 0
; NumSGPRsForWavesPerEU: 4
; NumVGPRsForWavesPerEU: 1
; AccumOffset: 4
; Occupancy: 8
; WaveLimiterHint : 0
; COMPUTE_PGM_RSRC2:SCRATCH_EN: 0
; COMPUTE_PGM_RSRC2:USER_SGPR: 6
; COMPUTE_PGM_RSRC2:TRAP_HANDLER: 0
; COMPUTE_PGM_RSRC2:TGID_X_EN: 1
; COMPUTE_PGM_RSRC2:TGID_Y_EN: 0
; COMPUTE_PGM_RSRC2:TGID_Z_EN: 0
; COMPUTE_PGM_RSRC2:TIDIG_COMP_CNT: 0
; COMPUTE_PGM_RSRC3_GFX90A:ACCUM_OFFSET: 0
; COMPUTE_PGM_RSRC3_GFX90A:TG_SPLIT: 0
	.section	.text._ZN7rocprim17ROCPRIM_400000_NS6detail17trampoline_kernelINS0_14default_configENS1_21merge_config_selectorIfNS0_10empty_typeEEEZNS1_10merge_implIS3_N6thrust23THRUST_200600_302600_NS6detail15normal_iteratorINS9_10device_ptrIKfEEEESF_NSB_INSC_IfEEEEPS5_SI_SI_NS9_4lessIfEEEE10hipError_tPvRmT0_T1_T2_T3_T4_T5_mmT6_P12ihipStream_tbEUlT_E_NS1_11comp_targetILNS1_3genE2ELNS1_11target_archE906ELNS1_3gpuE6ELNS1_3repE0EEENS1_30default_config_static_selectorELNS0_4arch9wavefront6targetE1EEEvSP_,"axG",@progbits,_ZN7rocprim17ROCPRIM_400000_NS6detail17trampoline_kernelINS0_14default_configENS1_21merge_config_selectorIfNS0_10empty_typeEEEZNS1_10merge_implIS3_N6thrust23THRUST_200600_302600_NS6detail15normal_iteratorINS9_10device_ptrIKfEEEESF_NSB_INSC_IfEEEEPS5_SI_SI_NS9_4lessIfEEEE10hipError_tPvRmT0_T1_T2_T3_T4_T5_mmT6_P12ihipStream_tbEUlT_E_NS1_11comp_targetILNS1_3genE2ELNS1_11target_archE906ELNS1_3gpuE6ELNS1_3repE0EEENS1_30default_config_static_selectorELNS0_4arch9wavefront6targetE1EEEvSP_,comdat
	.protected	_ZN7rocprim17ROCPRIM_400000_NS6detail17trampoline_kernelINS0_14default_configENS1_21merge_config_selectorIfNS0_10empty_typeEEEZNS1_10merge_implIS3_N6thrust23THRUST_200600_302600_NS6detail15normal_iteratorINS9_10device_ptrIKfEEEESF_NSB_INSC_IfEEEEPS5_SI_SI_NS9_4lessIfEEEE10hipError_tPvRmT0_T1_T2_T3_T4_T5_mmT6_P12ihipStream_tbEUlT_E_NS1_11comp_targetILNS1_3genE2ELNS1_11target_archE906ELNS1_3gpuE6ELNS1_3repE0EEENS1_30default_config_static_selectorELNS0_4arch9wavefront6targetE1EEEvSP_ ; -- Begin function _ZN7rocprim17ROCPRIM_400000_NS6detail17trampoline_kernelINS0_14default_configENS1_21merge_config_selectorIfNS0_10empty_typeEEEZNS1_10merge_implIS3_N6thrust23THRUST_200600_302600_NS6detail15normal_iteratorINS9_10device_ptrIKfEEEESF_NSB_INSC_IfEEEEPS5_SI_SI_NS9_4lessIfEEEE10hipError_tPvRmT0_T1_T2_T3_T4_T5_mmT6_P12ihipStream_tbEUlT_E_NS1_11comp_targetILNS1_3genE2ELNS1_11target_archE906ELNS1_3gpuE6ELNS1_3repE0EEENS1_30default_config_static_selectorELNS0_4arch9wavefront6targetE1EEEvSP_
	.globl	_ZN7rocprim17ROCPRIM_400000_NS6detail17trampoline_kernelINS0_14default_configENS1_21merge_config_selectorIfNS0_10empty_typeEEEZNS1_10merge_implIS3_N6thrust23THRUST_200600_302600_NS6detail15normal_iteratorINS9_10device_ptrIKfEEEESF_NSB_INSC_IfEEEEPS5_SI_SI_NS9_4lessIfEEEE10hipError_tPvRmT0_T1_T2_T3_T4_T5_mmT6_P12ihipStream_tbEUlT_E_NS1_11comp_targetILNS1_3genE2ELNS1_11target_archE906ELNS1_3gpuE6ELNS1_3repE0EEENS1_30default_config_static_selectorELNS0_4arch9wavefront6targetE1EEEvSP_
	.p2align	8
	.type	_ZN7rocprim17ROCPRIM_400000_NS6detail17trampoline_kernelINS0_14default_configENS1_21merge_config_selectorIfNS0_10empty_typeEEEZNS1_10merge_implIS3_N6thrust23THRUST_200600_302600_NS6detail15normal_iteratorINS9_10device_ptrIKfEEEESF_NSB_INSC_IfEEEEPS5_SI_SI_NS9_4lessIfEEEE10hipError_tPvRmT0_T1_T2_T3_T4_T5_mmT6_P12ihipStream_tbEUlT_E_NS1_11comp_targetILNS1_3genE2ELNS1_11target_archE906ELNS1_3gpuE6ELNS1_3repE0EEENS1_30default_config_static_selectorELNS0_4arch9wavefront6targetE1EEEvSP_,@function
_ZN7rocprim17ROCPRIM_400000_NS6detail17trampoline_kernelINS0_14default_configENS1_21merge_config_selectorIfNS0_10empty_typeEEEZNS1_10merge_implIS3_N6thrust23THRUST_200600_302600_NS6detail15normal_iteratorINS9_10device_ptrIKfEEEESF_NSB_INSC_IfEEEEPS5_SI_SI_NS9_4lessIfEEEE10hipError_tPvRmT0_T1_T2_T3_T4_T5_mmT6_P12ihipStream_tbEUlT_E_NS1_11comp_targetILNS1_3genE2ELNS1_11target_archE906ELNS1_3gpuE6ELNS1_3repE0EEENS1_30default_config_static_selectorELNS0_4arch9wavefront6targetE1EEEvSP_: ; @_ZN7rocprim17ROCPRIM_400000_NS6detail17trampoline_kernelINS0_14default_configENS1_21merge_config_selectorIfNS0_10empty_typeEEEZNS1_10merge_implIS3_N6thrust23THRUST_200600_302600_NS6detail15normal_iteratorINS9_10device_ptrIKfEEEESF_NSB_INSC_IfEEEEPS5_SI_SI_NS9_4lessIfEEEE10hipError_tPvRmT0_T1_T2_T3_T4_T5_mmT6_P12ihipStream_tbEUlT_E_NS1_11comp_targetILNS1_3genE2ELNS1_11target_archE906ELNS1_3gpuE6ELNS1_3repE0EEENS1_30default_config_static_selectorELNS0_4arch9wavefront6targetE1EEEvSP_
; %bb.0:
	.section	.rodata,"a",@progbits
	.p2align	6, 0x0
	.amdhsa_kernel _ZN7rocprim17ROCPRIM_400000_NS6detail17trampoline_kernelINS0_14default_configENS1_21merge_config_selectorIfNS0_10empty_typeEEEZNS1_10merge_implIS3_N6thrust23THRUST_200600_302600_NS6detail15normal_iteratorINS9_10device_ptrIKfEEEESF_NSB_INSC_IfEEEEPS5_SI_SI_NS9_4lessIfEEEE10hipError_tPvRmT0_T1_T2_T3_T4_T5_mmT6_P12ihipStream_tbEUlT_E_NS1_11comp_targetILNS1_3genE2ELNS1_11target_archE906ELNS1_3gpuE6ELNS1_3repE0EEENS1_30default_config_static_selectorELNS0_4arch9wavefront6targetE1EEEvSP_
		.amdhsa_group_segment_fixed_size 0
		.amdhsa_private_segment_fixed_size 0
		.amdhsa_kernarg_size 48
		.amdhsa_user_sgpr_count 6
		.amdhsa_user_sgpr_private_segment_buffer 1
		.amdhsa_user_sgpr_dispatch_ptr 0
		.amdhsa_user_sgpr_queue_ptr 0
		.amdhsa_user_sgpr_kernarg_segment_ptr 1
		.amdhsa_user_sgpr_dispatch_id 0
		.amdhsa_user_sgpr_flat_scratch_init 0
		.amdhsa_user_sgpr_kernarg_preload_length 0
		.amdhsa_user_sgpr_kernarg_preload_offset 0
		.amdhsa_user_sgpr_private_segment_size 0
		.amdhsa_uses_dynamic_stack 0
		.amdhsa_system_sgpr_private_segment_wavefront_offset 0
		.amdhsa_system_sgpr_workgroup_id_x 1
		.amdhsa_system_sgpr_workgroup_id_y 0
		.amdhsa_system_sgpr_workgroup_id_z 0
		.amdhsa_system_sgpr_workgroup_info 0
		.amdhsa_system_vgpr_workitem_id 0
		.amdhsa_next_free_vgpr 1
		.amdhsa_next_free_sgpr 0
		.amdhsa_accum_offset 4
		.amdhsa_reserve_vcc 0
		.amdhsa_reserve_flat_scratch 0
		.amdhsa_float_round_mode_32 0
		.amdhsa_float_round_mode_16_64 0
		.amdhsa_float_denorm_mode_32 3
		.amdhsa_float_denorm_mode_16_64 3
		.amdhsa_dx10_clamp 1
		.amdhsa_ieee_mode 1
		.amdhsa_fp16_overflow 0
		.amdhsa_tg_split 0
		.amdhsa_exception_fp_ieee_invalid_op 0
		.amdhsa_exception_fp_denorm_src 0
		.amdhsa_exception_fp_ieee_div_zero 0
		.amdhsa_exception_fp_ieee_overflow 0
		.amdhsa_exception_fp_ieee_underflow 0
		.amdhsa_exception_fp_ieee_inexact 0
		.amdhsa_exception_int_div_zero 0
	.end_amdhsa_kernel
	.section	.text._ZN7rocprim17ROCPRIM_400000_NS6detail17trampoline_kernelINS0_14default_configENS1_21merge_config_selectorIfNS0_10empty_typeEEEZNS1_10merge_implIS3_N6thrust23THRUST_200600_302600_NS6detail15normal_iteratorINS9_10device_ptrIKfEEEESF_NSB_INSC_IfEEEEPS5_SI_SI_NS9_4lessIfEEEE10hipError_tPvRmT0_T1_T2_T3_T4_T5_mmT6_P12ihipStream_tbEUlT_E_NS1_11comp_targetILNS1_3genE2ELNS1_11target_archE906ELNS1_3gpuE6ELNS1_3repE0EEENS1_30default_config_static_selectorELNS0_4arch9wavefront6targetE1EEEvSP_,"axG",@progbits,_ZN7rocprim17ROCPRIM_400000_NS6detail17trampoline_kernelINS0_14default_configENS1_21merge_config_selectorIfNS0_10empty_typeEEEZNS1_10merge_implIS3_N6thrust23THRUST_200600_302600_NS6detail15normal_iteratorINS9_10device_ptrIKfEEEESF_NSB_INSC_IfEEEEPS5_SI_SI_NS9_4lessIfEEEE10hipError_tPvRmT0_T1_T2_T3_T4_T5_mmT6_P12ihipStream_tbEUlT_E_NS1_11comp_targetILNS1_3genE2ELNS1_11target_archE906ELNS1_3gpuE6ELNS1_3repE0EEENS1_30default_config_static_selectorELNS0_4arch9wavefront6targetE1EEEvSP_,comdat
.Lfunc_end63:
	.size	_ZN7rocprim17ROCPRIM_400000_NS6detail17trampoline_kernelINS0_14default_configENS1_21merge_config_selectorIfNS0_10empty_typeEEEZNS1_10merge_implIS3_N6thrust23THRUST_200600_302600_NS6detail15normal_iteratorINS9_10device_ptrIKfEEEESF_NSB_INSC_IfEEEEPS5_SI_SI_NS9_4lessIfEEEE10hipError_tPvRmT0_T1_T2_T3_T4_T5_mmT6_P12ihipStream_tbEUlT_E_NS1_11comp_targetILNS1_3genE2ELNS1_11target_archE906ELNS1_3gpuE6ELNS1_3repE0EEENS1_30default_config_static_selectorELNS0_4arch9wavefront6targetE1EEEvSP_, .Lfunc_end63-_ZN7rocprim17ROCPRIM_400000_NS6detail17trampoline_kernelINS0_14default_configENS1_21merge_config_selectorIfNS0_10empty_typeEEEZNS1_10merge_implIS3_N6thrust23THRUST_200600_302600_NS6detail15normal_iteratorINS9_10device_ptrIKfEEEESF_NSB_INSC_IfEEEEPS5_SI_SI_NS9_4lessIfEEEE10hipError_tPvRmT0_T1_T2_T3_T4_T5_mmT6_P12ihipStream_tbEUlT_E_NS1_11comp_targetILNS1_3genE2ELNS1_11target_archE906ELNS1_3gpuE6ELNS1_3repE0EEENS1_30default_config_static_selectorELNS0_4arch9wavefront6targetE1EEEvSP_
                                        ; -- End function
	.section	.AMDGPU.csdata,"",@progbits
; Kernel info:
; codeLenInByte = 0
; NumSgprs: 4
; NumVgprs: 0
; NumAgprs: 0
; TotalNumVgprs: 0
; ScratchSize: 0
; MemoryBound: 0
; FloatMode: 240
; IeeeMode: 1
; LDSByteSize: 0 bytes/workgroup (compile time only)
; SGPRBlocks: 0
; VGPRBlocks: 0
; NumSGPRsForWavesPerEU: 4
; NumVGPRsForWavesPerEU: 1
; AccumOffset: 4
; Occupancy: 8
; WaveLimiterHint : 0
; COMPUTE_PGM_RSRC2:SCRATCH_EN: 0
; COMPUTE_PGM_RSRC2:USER_SGPR: 6
; COMPUTE_PGM_RSRC2:TRAP_HANDLER: 0
; COMPUTE_PGM_RSRC2:TGID_X_EN: 1
; COMPUTE_PGM_RSRC2:TGID_Y_EN: 0
; COMPUTE_PGM_RSRC2:TGID_Z_EN: 0
; COMPUTE_PGM_RSRC2:TIDIG_COMP_CNT: 0
; COMPUTE_PGM_RSRC3_GFX90A:ACCUM_OFFSET: 0
; COMPUTE_PGM_RSRC3_GFX90A:TG_SPLIT: 0
	.section	.text._ZN7rocprim17ROCPRIM_400000_NS6detail17trampoline_kernelINS0_14default_configENS1_21merge_config_selectorIfNS0_10empty_typeEEEZNS1_10merge_implIS3_N6thrust23THRUST_200600_302600_NS6detail15normal_iteratorINS9_10device_ptrIKfEEEESF_NSB_INSC_IfEEEEPS5_SI_SI_NS9_4lessIfEEEE10hipError_tPvRmT0_T1_T2_T3_T4_T5_mmT6_P12ihipStream_tbEUlT_E_NS1_11comp_targetILNS1_3genE10ELNS1_11target_archE1201ELNS1_3gpuE5ELNS1_3repE0EEENS1_30default_config_static_selectorELNS0_4arch9wavefront6targetE1EEEvSP_,"axG",@progbits,_ZN7rocprim17ROCPRIM_400000_NS6detail17trampoline_kernelINS0_14default_configENS1_21merge_config_selectorIfNS0_10empty_typeEEEZNS1_10merge_implIS3_N6thrust23THRUST_200600_302600_NS6detail15normal_iteratorINS9_10device_ptrIKfEEEESF_NSB_INSC_IfEEEEPS5_SI_SI_NS9_4lessIfEEEE10hipError_tPvRmT0_T1_T2_T3_T4_T5_mmT6_P12ihipStream_tbEUlT_E_NS1_11comp_targetILNS1_3genE10ELNS1_11target_archE1201ELNS1_3gpuE5ELNS1_3repE0EEENS1_30default_config_static_selectorELNS0_4arch9wavefront6targetE1EEEvSP_,comdat
	.protected	_ZN7rocprim17ROCPRIM_400000_NS6detail17trampoline_kernelINS0_14default_configENS1_21merge_config_selectorIfNS0_10empty_typeEEEZNS1_10merge_implIS3_N6thrust23THRUST_200600_302600_NS6detail15normal_iteratorINS9_10device_ptrIKfEEEESF_NSB_INSC_IfEEEEPS5_SI_SI_NS9_4lessIfEEEE10hipError_tPvRmT0_T1_T2_T3_T4_T5_mmT6_P12ihipStream_tbEUlT_E_NS1_11comp_targetILNS1_3genE10ELNS1_11target_archE1201ELNS1_3gpuE5ELNS1_3repE0EEENS1_30default_config_static_selectorELNS0_4arch9wavefront6targetE1EEEvSP_ ; -- Begin function _ZN7rocprim17ROCPRIM_400000_NS6detail17trampoline_kernelINS0_14default_configENS1_21merge_config_selectorIfNS0_10empty_typeEEEZNS1_10merge_implIS3_N6thrust23THRUST_200600_302600_NS6detail15normal_iteratorINS9_10device_ptrIKfEEEESF_NSB_INSC_IfEEEEPS5_SI_SI_NS9_4lessIfEEEE10hipError_tPvRmT0_T1_T2_T3_T4_T5_mmT6_P12ihipStream_tbEUlT_E_NS1_11comp_targetILNS1_3genE10ELNS1_11target_archE1201ELNS1_3gpuE5ELNS1_3repE0EEENS1_30default_config_static_selectorELNS0_4arch9wavefront6targetE1EEEvSP_
	.globl	_ZN7rocprim17ROCPRIM_400000_NS6detail17trampoline_kernelINS0_14default_configENS1_21merge_config_selectorIfNS0_10empty_typeEEEZNS1_10merge_implIS3_N6thrust23THRUST_200600_302600_NS6detail15normal_iteratorINS9_10device_ptrIKfEEEESF_NSB_INSC_IfEEEEPS5_SI_SI_NS9_4lessIfEEEE10hipError_tPvRmT0_T1_T2_T3_T4_T5_mmT6_P12ihipStream_tbEUlT_E_NS1_11comp_targetILNS1_3genE10ELNS1_11target_archE1201ELNS1_3gpuE5ELNS1_3repE0EEENS1_30default_config_static_selectorELNS0_4arch9wavefront6targetE1EEEvSP_
	.p2align	8
	.type	_ZN7rocprim17ROCPRIM_400000_NS6detail17trampoline_kernelINS0_14default_configENS1_21merge_config_selectorIfNS0_10empty_typeEEEZNS1_10merge_implIS3_N6thrust23THRUST_200600_302600_NS6detail15normal_iteratorINS9_10device_ptrIKfEEEESF_NSB_INSC_IfEEEEPS5_SI_SI_NS9_4lessIfEEEE10hipError_tPvRmT0_T1_T2_T3_T4_T5_mmT6_P12ihipStream_tbEUlT_E_NS1_11comp_targetILNS1_3genE10ELNS1_11target_archE1201ELNS1_3gpuE5ELNS1_3repE0EEENS1_30default_config_static_selectorELNS0_4arch9wavefront6targetE1EEEvSP_,@function
_ZN7rocprim17ROCPRIM_400000_NS6detail17trampoline_kernelINS0_14default_configENS1_21merge_config_selectorIfNS0_10empty_typeEEEZNS1_10merge_implIS3_N6thrust23THRUST_200600_302600_NS6detail15normal_iteratorINS9_10device_ptrIKfEEEESF_NSB_INSC_IfEEEEPS5_SI_SI_NS9_4lessIfEEEE10hipError_tPvRmT0_T1_T2_T3_T4_T5_mmT6_P12ihipStream_tbEUlT_E_NS1_11comp_targetILNS1_3genE10ELNS1_11target_archE1201ELNS1_3gpuE5ELNS1_3repE0EEENS1_30default_config_static_selectorELNS0_4arch9wavefront6targetE1EEEvSP_: ; @_ZN7rocprim17ROCPRIM_400000_NS6detail17trampoline_kernelINS0_14default_configENS1_21merge_config_selectorIfNS0_10empty_typeEEEZNS1_10merge_implIS3_N6thrust23THRUST_200600_302600_NS6detail15normal_iteratorINS9_10device_ptrIKfEEEESF_NSB_INSC_IfEEEEPS5_SI_SI_NS9_4lessIfEEEE10hipError_tPvRmT0_T1_T2_T3_T4_T5_mmT6_P12ihipStream_tbEUlT_E_NS1_11comp_targetILNS1_3genE10ELNS1_11target_archE1201ELNS1_3gpuE5ELNS1_3repE0EEENS1_30default_config_static_selectorELNS0_4arch9wavefront6targetE1EEEvSP_
; %bb.0:
	.section	.rodata,"a",@progbits
	.p2align	6, 0x0
	.amdhsa_kernel _ZN7rocprim17ROCPRIM_400000_NS6detail17trampoline_kernelINS0_14default_configENS1_21merge_config_selectorIfNS0_10empty_typeEEEZNS1_10merge_implIS3_N6thrust23THRUST_200600_302600_NS6detail15normal_iteratorINS9_10device_ptrIKfEEEESF_NSB_INSC_IfEEEEPS5_SI_SI_NS9_4lessIfEEEE10hipError_tPvRmT0_T1_T2_T3_T4_T5_mmT6_P12ihipStream_tbEUlT_E_NS1_11comp_targetILNS1_3genE10ELNS1_11target_archE1201ELNS1_3gpuE5ELNS1_3repE0EEENS1_30default_config_static_selectorELNS0_4arch9wavefront6targetE1EEEvSP_
		.amdhsa_group_segment_fixed_size 0
		.amdhsa_private_segment_fixed_size 0
		.amdhsa_kernarg_size 48
		.amdhsa_user_sgpr_count 6
		.amdhsa_user_sgpr_private_segment_buffer 1
		.amdhsa_user_sgpr_dispatch_ptr 0
		.amdhsa_user_sgpr_queue_ptr 0
		.amdhsa_user_sgpr_kernarg_segment_ptr 1
		.amdhsa_user_sgpr_dispatch_id 0
		.amdhsa_user_sgpr_flat_scratch_init 0
		.amdhsa_user_sgpr_kernarg_preload_length 0
		.amdhsa_user_sgpr_kernarg_preload_offset 0
		.amdhsa_user_sgpr_private_segment_size 0
		.amdhsa_uses_dynamic_stack 0
		.amdhsa_system_sgpr_private_segment_wavefront_offset 0
		.amdhsa_system_sgpr_workgroup_id_x 1
		.amdhsa_system_sgpr_workgroup_id_y 0
		.amdhsa_system_sgpr_workgroup_id_z 0
		.amdhsa_system_sgpr_workgroup_info 0
		.amdhsa_system_vgpr_workitem_id 0
		.amdhsa_next_free_vgpr 1
		.amdhsa_next_free_sgpr 0
		.amdhsa_accum_offset 4
		.amdhsa_reserve_vcc 0
		.amdhsa_reserve_flat_scratch 0
		.amdhsa_float_round_mode_32 0
		.amdhsa_float_round_mode_16_64 0
		.amdhsa_float_denorm_mode_32 3
		.amdhsa_float_denorm_mode_16_64 3
		.amdhsa_dx10_clamp 1
		.amdhsa_ieee_mode 1
		.amdhsa_fp16_overflow 0
		.amdhsa_tg_split 0
		.amdhsa_exception_fp_ieee_invalid_op 0
		.amdhsa_exception_fp_denorm_src 0
		.amdhsa_exception_fp_ieee_div_zero 0
		.amdhsa_exception_fp_ieee_overflow 0
		.amdhsa_exception_fp_ieee_underflow 0
		.amdhsa_exception_fp_ieee_inexact 0
		.amdhsa_exception_int_div_zero 0
	.end_amdhsa_kernel
	.section	.text._ZN7rocprim17ROCPRIM_400000_NS6detail17trampoline_kernelINS0_14default_configENS1_21merge_config_selectorIfNS0_10empty_typeEEEZNS1_10merge_implIS3_N6thrust23THRUST_200600_302600_NS6detail15normal_iteratorINS9_10device_ptrIKfEEEESF_NSB_INSC_IfEEEEPS5_SI_SI_NS9_4lessIfEEEE10hipError_tPvRmT0_T1_T2_T3_T4_T5_mmT6_P12ihipStream_tbEUlT_E_NS1_11comp_targetILNS1_3genE10ELNS1_11target_archE1201ELNS1_3gpuE5ELNS1_3repE0EEENS1_30default_config_static_selectorELNS0_4arch9wavefront6targetE1EEEvSP_,"axG",@progbits,_ZN7rocprim17ROCPRIM_400000_NS6detail17trampoline_kernelINS0_14default_configENS1_21merge_config_selectorIfNS0_10empty_typeEEEZNS1_10merge_implIS3_N6thrust23THRUST_200600_302600_NS6detail15normal_iteratorINS9_10device_ptrIKfEEEESF_NSB_INSC_IfEEEEPS5_SI_SI_NS9_4lessIfEEEE10hipError_tPvRmT0_T1_T2_T3_T4_T5_mmT6_P12ihipStream_tbEUlT_E_NS1_11comp_targetILNS1_3genE10ELNS1_11target_archE1201ELNS1_3gpuE5ELNS1_3repE0EEENS1_30default_config_static_selectorELNS0_4arch9wavefront6targetE1EEEvSP_,comdat
.Lfunc_end64:
	.size	_ZN7rocprim17ROCPRIM_400000_NS6detail17trampoline_kernelINS0_14default_configENS1_21merge_config_selectorIfNS0_10empty_typeEEEZNS1_10merge_implIS3_N6thrust23THRUST_200600_302600_NS6detail15normal_iteratorINS9_10device_ptrIKfEEEESF_NSB_INSC_IfEEEEPS5_SI_SI_NS9_4lessIfEEEE10hipError_tPvRmT0_T1_T2_T3_T4_T5_mmT6_P12ihipStream_tbEUlT_E_NS1_11comp_targetILNS1_3genE10ELNS1_11target_archE1201ELNS1_3gpuE5ELNS1_3repE0EEENS1_30default_config_static_selectorELNS0_4arch9wavefront6targetE1EEEvSP_, .Lfunc_end64-_ZN7rocprim17ROCPRIM_400000_NS6detail17trampoline_kernelINS0_14default_configENS1_21merge_config_selectorIfNS0_10empty_typeEEEZNS1_10merge_implIS3_N6thrust23THRUST_200600_302600_NS6detail15normal_iteratorINS9_10device_ptrIKfEEEESF_NSB_INSC_IfEEEEPS5_SI_SI_NS9_4lessIfEEEE10hipError_tPvRmT0_T1_T2_T3_T4_T5_mmT6_P12ihipStream_tbEUlT_E_NS1_11comp_targetILNS1_3genE10ELNS1_11target_archE1201ELNS1_3gpuE5ELNS1_3repE0EEENS1_30default_config_static_selectorELNS0_4arch9wavefront6targetE1EEEvSP_
                                        ; -- End function
	.section	.AMDGPU.csdata,"",@progbits
; Kernel info:
; codeLenInByte = 0
; NumSgprs: 4
; NumVgprs: 0
; NumAgprs: 0
; TotalNumVgprs: 0
; ScratchSize: 0
; MemoryBound: 0
; FloatMode: 240
; IeeeMode: 1
; LDSByteSize: 0 bytes/workgroup (compile time only)
; SGPRBlocks: 0
; VGPRBlocks: 0
; NumSGPRsForWavesPerEU: 4
; NumVGPRsForWavesPerEU: 1
; AccumOffset: 4
; Occupancy: 8
; WaveLimiterHint : 0
; COMPUTE_PGM_RSRC2:SCRATCH_EN: 0
; COMPUTE_PGM_RSRC2:USER_SGPR: 6
; COMPUTE_PGM_RSRC2:TRAP_HANDLER: 0
; COMPUTE_PGM_RSRC2:TGID_X_EN: 1
; COMPUTE_PGM_RSRC2:TGID_Y_EN: 0
; COMPUTE_PGM_RSRC2:TGID_Z_EN: 0
; COMPUTE_PGM_RSRC2:TIDIG_COMP_CNT: 0
; COMPUTE_PGM_RSRC3_GFX90A:ACCUM_OFFSET: 0
; COMPUTE_PGM_RSRC3_GFX90A:TG_SPLIT: 0
	.section	.text._ZN7rocprim17ROCPRIM_400000_NS6detail17trampoline_kernelINS0_14default_configENS1_21merge_config_selectorIfNS0_10empty_typeEEEZNS1_10merge_implIS3_N6thrust23THRUST_200600_302600_NS6detail15normal_iteratorINS9_10device_ptrIKfEEEESF_NSB_INSC_IfEEEEPS5_SI_SI_NS9_4lessIfEEEE10hipError_tPvRmT0_T1_T2_T3_T4_T5_mmT6_P12ihipStream_tbEUlT_E_NS1_11comp_targetILNS1_3genE10ELNS1_11target_archE1200ELNS1_3gpuE4ELNS1_3repE0EEENS1_30default_config_static_selectorELNS0_4arch9wavefront6targetE1EEEvSP_,"axG",@progbits,_ZN7rocprim17ROCPRIM_400000_NS6detail17trampoline_kernelINS0_14default_configENS1_21merge_config_selectorIfNS0_10empty_typeEEEZNS1_10merge_implIS3_N6thrust23THRUST_200600_302600_NS6detail15normal_iteratorINS9_10device_ptrIKfEEEESF_NSB_INSC_IfEEEEPS5_SI_SI_NS9_4lessIfEEEE10hipError_tPvRmT0_T1_T2_T3_T4_T5_mmT6_P12ihipStream_tbEUlT_E_NS1_11comp_targetILNS1_3genE10ELNS1_11target_archE1200ELNS1_3gpuE4ELNS1_3repE0EEENS1_30default_config_static_selectorELNS0_4arch9wavefront6targetE1EEEvSP_,comdat
	.protected	_ZN7rocprim17ROCPRIM_400000_NS6detail17trampoline_kernelINS0_14default_configENS1_21merge_config_selectorIfNS0_10empty_typeEEEZNS1_10merge_implIS3_N6thrust23THRUST_200600_302600_NS6detail15normal_iteratorINS9_10device_ptrIKfEEEESF_NSB_INSC_IfEEEEPS5_SI_SI_NS9_4lessIfEEEE10hipError_tPvRmT0_T1_T2_T3_T4_T5_mmT6_P12ihipStream_tbEUlT_E_NS1_11comp_targetILNS1_3genE10ELNS1_11target_archE1200ELNS1_3gpuE4ELNS1_3repE0EEENS1_30default_config_static_selectorELNS0_4arch9wavefront6targetE1EEEvSP_ ; -- Begin function _ZN7rocprim17ROCPRIM_400000_NS6detail17trampoline_kernelINS0_14default_configENS1_21merge_config_selectorIfNS0_10empty_typeEEEZNS1_10merge_implIS3_N6thrust23THRUST_200600_302600_NS6detail15normal_iteratorINS9_10device_ptrIKfEEEESF_NSB_INSC_IfEEEEPS5_SI_SI_NS9_4lessIfEEEE10hipError_tPvRmT0_T1_T2_T3_T4_T5_mmT6_P12ihipStream_tbEUlT_E_NS1_11comp_targetILNS1_3genE10ELNS1_11target_archE1200ELNS1_3gpuE4ELNS1_3repE0EEENS1_30default_config_static_selectorELNS0_4arch9wavefront6targetE1EEEvSP_
	.globl	_ZN7rocprim17ROCPRIM_400000_NS6detail17trampoline_kernelINS0_14default_configENS1_21merge_config_selectorIfNS0_10empty_typeEEEZNS1_10merge_implIS3_N6thrust23THRUST_200600_302600_NS6detail15normal_iteratorINS9_10device_ptrIKfEEEESF_NSB_INSC_IfEEEEPS5_SI_SI_NS9_4lessIfEEEE10hipError_tPvRmT0_T1_T2_T3_T4_T5_mmT6_P12ihipStream_tbEUlT_E_NS1_11comp_targetILNS1_3genE10ELNS1_11target_archE1200ELNS1_3gpuE4ELNS1_3repE0EEENS1_30default_config_static_selectorELNS0_4arch9wavefront6targetE1EEEvSP_
	.p2align	8
	.type	_ZN7rocprim17ROCPRIM_400000_NS6detail17trampoline_kernelINS0_14default_configENS1_21merge_config_selectorIfNS0_10empty_typeEEEZNS1_10merge_implIS3_N6thrust23THRUST_200600_302600_NS6detail15normal_iteratorINS9_10device_ptrIKfEEEESF_NSB_INSC_IfEEEEPS5_SI_SI_NS9_4lessIfEEEE10hipError_tPvRmT0_T1_T2_T3_T4_T5_mmT6_P12ihipStream_tbEUlT_E_NS1_11comp_targetILNS1_3genE10ELNS1_11target_archE1200ELNS1_3gpuE4ELNS1_3repE0EEENS1_30default_config_static_selectorELNS0_4arch9wavefront6targetE1EEEvSP_,@function
_ZN7rocprim17ROCPRIM_400000_NS6detail17trampoline_kernelINS0_14default_configENS1_21merge_config_selectorIfNS0_10empty_typeEEEZNS1_10merge_implIS3_N6thrust23THRUST_200600_302600_NS6detail15normal_iteratorINS9_10device_ptrIKfEEEESF_NSB_INSC_IfEEEEPS5_SI_SI_NS9_4lessIfEEEE10hipError_tPvRmT0_T1_T2_T3_T4_T5_mmT6_P12ihipStream_tbEUlT_E_NS1_11comp_targetILNS1_3genE10ELNS1_11target_archE1200ELNS1_3gpuE4ELNS1_3repE0EEENS1_30default_config_static_selectorELNS0_4arch9wavefront6targetE1EEEvSP_: ; @_ZN7rocprim17ROCPRIM_400000_NS6detail17trampoline_kernelINS0_14default_configENS1_21merge_config_selectorIfNS0_10empty_typeEEEZNS1_10merge_implIS3_N6thrust23THRUST_200600_302600_NS6detail15normal_iteratorINS9_10device_ptrIKfEEEESF_NSB_INSC_IfEEEEPS5_SI_SI_NS9_4lessIfEEEE10hipError_tPvRmT0_T1_T2_T3_T4_T5_mmT6_P12ihipStream_tbEUlT_E_NS1_11comp_targetILNS1_3genE10ELNS1_11target_archE1200ELNS1_3gpuE4ELNS1_3repE0EEENS1_30default_config_static_selectorELNS0_4arch9wavefront6targetE1EEEvSP_
; %bb.0:
	.section	.rodata,"a",@progbits
	.p2align	6, 0x0
	.amdhsa_kernel _ZN7rocprim17ROCPRIM_400000_NS6detail17trampoline_kernelINS0_14default_configENS1_21merge_config_selectorIfNS0_10empty_typeEEEZNS1_10merge_implIS3_N6thrust23THRUST_200600_302600_NS6detail15normal_iteratorINS9_10device_ptrIKfEEEESF_NSB_INSC_IfEEEEPS5_SI_SI_NS9_4lessIfEEEE10hipError_tPvRmT0_T1_T2_T3_T4_T5_mmT6_P12ihipStream_tbEUlT_E_NS1_11comp_targetILNS1_3genE10ELNS1_11target_archE1200ELNS1_3gpuE4ELNS1_3repE0EEENS1_30default_config_static_selectorELNS0_4arch9wavefront6targetE1EEEvSP_
		.amdhsa_group_segment_fixed_size 0
		.amdhsa_private_segment_fixed_size 0
		.amdhsa_kernarg_size 48
		.amdhsa_user_sgpr_count 6
		.amdhsa_user_sgpr_private_segment_buffer 1
		.amdhsa_user_sgpr_dispatch_ptr 0
		.amdhsa_user_sgpr_queue_ptr 0
		.amdhsa_user_sgpr_kernarg_segment_ptr 1
		.amdhsa_user_sgpr_dispatch_id 0
		.amdhsa_user_sgpr_flat_scratch_init 0
		.amdhsa_user_sgpr_kernarg_preload_length 0
		.amdhsa_user_sgpr_kernarg_preload_offset 0
		.amdhsa_user_sgpr_private_segment_size 0
		.amdhsa_uses_dynamic_stack 0
		.amdhsa_system_sgpr_private_segment_wavefront_offset 0
		.amdhsa_system_sgpr_workgroup_id_x 1
		.amdhsa_system_sgpr_workgroup_id_y 0
		.amdhsa_system_sgpr_workgroup_id_z 0
		.amdhsa_system_sgpr_workgroup_info 0
		.amdhsa_system_vgpr_workitem_id 0
		.amdhsa_next_free_vgpr 1
		.amdhsa_next_free_sgpr 0
		.amdhsa_accum_offset 4
		.amdhsa_reserve_vcc 0
		.amdhsa_reserve_flat_scratch 0
		.amdhsa_float_round_mode_32 0
		.amdhsa_float_round_mode_16_64 0
		.amdhsa_float_denorm_mode_32 3
		.amdhsa_float_denorm_mode_16_64 3
		.amdhsa_dx10_clamp 1
		.amdhsa_ieee_mode 1
		.amdhsa_fp16_overflow 0
		.amdhsa_tg_split 0
		.amdhsa_exception_fp_ieee_invalid_op 0
		.amdhsa_exception_fp_denorm_src 0
		.amdhsa_exception_fp_ieee_div_zero 0
		.amdhsa_exception_fp_ieee_overflow 0
		.amdhsa_exception_fp_ieee_underflow 0
		.amdhsa_exception_fp_ieee_inexact 0
		.amdhsa_exception_int_div_zero 0
	.end_amdhsa_kernel
	.section	.text._ZN7rocprim17ROCPRIM_400000_NS6detail17trampoline_kernelINS0_14default_configENS1_21merge_config_selectorIfNS0_10empty_typeEEEZNS1_10merge_implIS3_N6thrust23THRUST_200600_302600_NS6detail15normal_iteratorINS9_10device_ptrIKfEEEESF_NSB_INSC_IfEEEEPS5_SI_SI_NS9_4lessIfEEEE10hipError_tPvRmT0_T1_T2_T3_T4_T5_mmT6_P12ihipStream_tbEUlT_E_NS1_11comp_targetILNS1_3genE10ELNS1_11target_archE1200ELNS1_3gpuE4ELNS1_3repE0EEENS1_30default_config_static_selectorELNS0_4arch9wavefront6targetE1EEEvSP_,"axG",@progbits,_ZN7rocprim17ROCPRIM_400000_NS6detail17trampoline_kernelINS0_14default_configENS1_21merge_config_selectorIfNS0_10empty_typeEEEZNS1_10merge_implIS3_N6thrust23THRUST_200600_302600_NS6detail15normal_iteratorINS9_10device_ptrIKfEEEESF_NSB_INSC_IfEEEEPS5_SI_SI_NS9_4lessIfEEEE10hipError_tPvRmT0_T1_T2_T3_T4_T5_mmT6_P12ihipStream_tbEUlT_E_NS1_11comp_targetILNS1_3genE10ELNS1_11target_archE1200ELNS1_3gpuE4ELNS1_3repE0EEENS1_30default_config_static_selectorELNS0_4arch9wavefront6targetE1EEEvSP_,comdat
.Lfunc_end65:
	.size	_ZN7rocprim17ROCPRIM_400000_NS6detail17trampoline_kernelINS0_14default_configENS1_21merge_config_selectorIfNS0_10empty_typeEEEZNS1_10merge_implIS3_N6thrust23THRUST_200600_302600_NS6detail15normal_iteratorINS9_10device_ptrIKfEEEESF_NSB_INSC_IfEEEEPS5_SI_SI_NS9_4lessIfEEEE10hipError_tPvRmT0_T1_T2_T3_T4_T5_mmT6_P12ihipStream_tbEUlT_E_NS1_11comp_targetILNS1_3genE10ELNS1_11target_archE1200ELNS1_3gpuE4ELNS1_3repE0EEENS1_30default_config_static_selectorELNS0_4arch9wavefront6targetE1EEEvSP_, .Lfunc_end65-_ZN7rocprim17ROCPRIM_400000_NS6detail17trampoline_kernelINS0_14default_configENS1_21merge_config_selectorIfNS0_10empty_typeEEEZNS1_10merge_implIS3_N6thrust23THRUST_200600_302600_NS6detail15normal_iteratorINS9_10device_ptrIKfEEEESF_NSB_INSC_IfEEEEPS5_SI_SI_NS9_4lessIfEEEE10hipError_tPvRmT0_T1_T2_T3_T4_T5_mmT6_P12ihipStream_tbEUlT_E_NS1_11comp_targetILNS1_3genE10ELNS1_11target_archE1200ELNS1_3gpuE4ELNS1_3repE0EEENS1_30default_config_static_selectorELNS0_4arch9wavefront6targetE1EEEvSP_
                                        ; -- End function
	.section	.AMDGPU.csdata,"",@progbits
; Kernel info:
; codeLenInByte = 0
; NumSgprs: 4
; NumVgprs: 0
; NumAgprs: 0
; TotalNumVgprs: 0
; ScratchSize: 0
; MemoryBound: 0
; FloatMode: 240
; IeeeMode: 1
; LDSByteSize: 0 bytes/workgroup (compile time only)
; SGPRBlocks: 0
; VGPRBlocks: 0
; NumSGPRsForWavesPerEU: 4
; NumVGPRsForWavesPerEU: 1
; AccumOffset: 4
; Occupancy: 8
; WaveLimiterHint : 0
; COMPUTE_PGM_RSRC2:SCRATCH_EN: 0
; COMPUTE_PGM_RSRC2:USER_SGPR: 6
; COMPUTE_PGM_RSRC2:TRAP_HANDLER: 0
; COMPUTE_PGM_RSRC2:TGID_X_EN: 1
; COMPUTE_PGM_RSRC2:TGID_Y_EN: 0
; COMPUTE_PGM_RSRC2:TGID_Z_EN: 0
; COMPUTE_PGM_RSRC2:TIDIG_COMP_CNT: 0
; COMPUTE_PGM_RSRC3_GFX90A:ACCUM_OFFSET: 0
; COMPUTE_PGM_RSRC3_GFX90A:TG_SPLIT: 0
	.section	.text._ZN7rocprim17ROCPRIM_400000_NS6detail17trampoline_kernelINS0_14default_configENS1_21merge_config_selectorIfNS0_10empty_typeEEEZNS1_10merge_implIS3_N6thrust23THRUST_200600_302600_NS6detail15normal_iteratorINS9_10device_ptrIKfEEEESF_NSB_INSC_IfEEEEPS5_SI_SI_NS9_4lessIfEEEE10hipError_tPvRmT0_T1_T2_T3_T4_T5_mmT6_P12ihipStream_tbEUlT_E_NS1_11comp_targetILNS1_3genE9ELNS1_11target_archE1100ELNS1_3gpuE3ELNS1_3repE0EEENS1_30default_config_static_selectorELNS0_4arch9wavefront6targetE1EEEvSP_,"axG",@progbits,_ZN7rocprim17ROCPRIM_400000_NS6detail17trampoline_kernelINS0_14default_configENS1_21merge_config_selectorIfNS0_10empty_typeEEEZNS1_10merge_implIS3_N6thrust23THRUST_200600_302600_NS6detail15normal_iteratorINS9_10device_ptrIKfEEEESF_NSB_INSC_IfEEEEPS5_SI_SI_NS9_4lessIfEEEE10hipError_tPvRmT0_T1_T2_T3_T4_T5_mmT6_P12ihipStream_tbEUlT_E_NS1_11comp_targetILNS1_3genE9ELNS1_11target_archE1100ELNS1_3gpuE3ELNS1_3repE0EEENS1_30default_config_static_selectorELNS0_4arch9wavefront6targetE1EEEvSP_,comdat
	.protected	_ZN7rocprim17ROCPRIM_400000_NS6detail17trampoline_kernelINS0_14default_configENS1_21merge_config_selectorIfNS0_10empty_typeEEEZNS1_10merge_implIS3_N6thrust23THRUST_200600_302600_NS6detail15normal_iteratorINS9_10device_ptrIKfEEEESF_NSB_INSC_IfEEEEPS5_SI_SI_NS9_4lessIfEEEE10hipError_tPvRmT0_T1_T2_T3_T4_T5_mmT6_P12ihipStream_tbEUlT_E_NS1_11comp_targetILNS1_3genE9ELNS1_11target_archE1100ELNS1_3gpuE3ELNS1_3repE0EEENS1_30default_config_static_selectorELNS0_4arch9wavefront6targetE1EEEvSP_ ; -- Begin function _ZN7rocprim17ROCPRIM_400000_NS6detail17trampoline_kernelINS0_14default_configENS1_21merge_config_selectorIfNS0_10empty_typeEEEZNS1_10merge_implIS3_N6thrust23THRUST_200600_302600_NS6detail15normal_iteratorINS9_10device_ptrIKfEEEESF_NSB_INSC_IfEEEEPS5_SI_SI_NS9_4lessIfEEEE10hipError_tPvRmT0_T1_T2_T3_T4_T5_mmT6_P12ihipStream_tbEUlT_E_NS1_11comp_targetILNS1_3genE9ELNS1_11target_archE1100ELNS1_3gpuE3ELNS1_3repE0EEENS1_30default_config_static_selectorELNS0_4arch9wavefront6targetE1EEEvSP_
	.globl	_ZN7rocprim17ROCPRIM_400000_NS6detail17trampoline_kernelINS0_14default_configENS1_21merge_config_selectorIfNS0_10empty_typeEEEZNS1_10merge_implIS3_N6thrust23THRUST_200600_302600_NS6detail15normal_iteratorINS9_10device_ptrIKfEEEESF_NSB_INSC_IfEEEEPS5_SI_SI_NS9_4lessIfEEEE10hipError_tPvRmT0_T1_T2_T3_T4_T5_mmT6_P12ihipStream_tbEUlT_E_NS1_11comp_targetILNS1_3genE9ELNS1_11target_archE1100ELNS1_3gpuE3ELNS1_3repE0EEENS1_30default_config_static_selectorELNS0_4arch9wavefront6targetE1EEEvSP_
	.p2align	8
	.type	_ZN7rocprim17ROCPRIM_400000_NS6detail17trampoline_kernelINS0_14default_configENS1_21merge_config_selectorIfNS0_10empty_typeEEEZNS1_10merge_implIS3_N6thrust23THRUST_200600_302600_NS6detail15normal_iteratorINS9_10device_ptrIKfEEEESF_NSB_INSC_IfEEEEPS5_SI_SI_NS9_4lessIfEEEE10hipError_tPvRmT0_T1_T2_T3_T4_T5_mmT6_P12ihipStream_tbEUlT_E_NS1_11comp_targetILNS1_3genE9ELNS1_11target_archE1100ELNS1_3gpuE3ELNS1_3repE0EEENS1_30default_config_static_selectorELNS0_4arch9wavefront6targetE1EEEvSP_,@function
_ZN7rocprim17ROCPRIM_400000_NS6detail17trampoline_kernelINS0_14default_configENS1_21merge_config_selectorIfNS0_10empty_typeEEEZNS1_10merge_implIS3_N6thrust23THRUST_200600_302600_NS6detail15normal_iteratorINS9_10device_ptrIKfEEEESF_NSB_INSC_IfEEEEPS5_SI_SI_NS9_4lessIfEEEE10hipError_tPvRmT0_T1_T2_T3_T4_T5_mmT6_P12ihipStream_tbEUlT_E_NS1_11comp_targetILNS1_3genE9ELNS1_11target_archE1100ELNS1_3gpuE3ELNS1_3repE0EEENS1_30default_config_static_selectorELNS0_4arch9wavefront6targetE1EEEvSP_: ; @_ZN7rocprim17ROCPRIM_400000_NS6detail17trampoline_kernelINS0_14default_configENS1_21merge_config_selectorIfNS0_10empty_typeEEEZNS1_10merge_implIS3_N6thrust23THRUST_200600_302600_NS6detail15normal_iteratorINS9_10device_ptrIKfEEEESF_NSB_INSC_IfEEEEPS5_SI_SI_NS9_4lessIfEEEE10hipError_tPvRmT0_T1_T2_T3_T4_T5_mmT6_P12ihipStream_tbEUlT_E_NS1_11comp_targetILNS1_3genE9ELNS1_11target_archE1100ELNS1_3gpuE3ELNS1_3repE0EEENS1_30default_config_static_selectorELNS0_4arch9wavefront6targetE1EEEvSP_
; %bb.0:
	.section	.rodata,"a",@progbits
	.p2align	6, 0x0
	.amdhsa_kernel _ZN7rocprim17ROCPRIM_400000_NS6detail17trampoline_kernelINS0_14default_configENS1_21merge_config_selectorIfNS0_10empty_typeEEEZNS1_10merge_implIS3_N6thrust23THRUST_200600_302600_NS6detail15normal_iteratorINS9_10device_ptrIKfEEEESF_NSB_INSC_IfEEEEPS5_SI_SI_NS9_4lessIfEEEE10hipError_tPvRmT0_T1_T2_T3_T4_T5_mmT6_P12ihipStream_tbEUlT_E_NS1_11comp_targetILNS1_3genE9ELNS1_11target_archE1100ELNS1_3gpuE3ELNS1_3repE0EEENS1_30default_config_static_selectorELNS0_4arch9wavefront6targetE1EEEvSP_
		.amdhsa_group_segment_fixed_size 0
		.amdhsa_private_segment_fixed_size 0
		.amdhsa_kernarg_size 48
		.amdhsa_user_sgpr_count 6
		.amdhsa_user_sgpr_private_segment_buffer 1
		.amdhsa_user_sgpr_dispatch_ptr 0
		.amdhsa_user_sgpr_queue_ptr 0
		.amdhsa_user_sgpr_kernarg_segment_ptr 1
		.amdhsa_user_sgpr_dispatch_id 0
		.amdhsa_user_sgpr_flat_scratch_init 0
		.amdhsa_user_sgpr_kernarg_preload_length 0
		.amdhsa_user_sgpr_kernarg_preload_offset 0
		.amdhsa_user_sgpr_private_segment_size 0
		.amdhsa_uses_dynamic_stack 0
		.amdhsa_system_sgpr_private_segment_wavefront_offset 0
		.amdhsa_system_sgpr_workgroup_id_x 1
		.amdhsa_system_sgpr_workgroup_id_y 0
		.amdhsa_system_sgpr_workgroup_id_z 0
		.amdhsa_system_sgpr_workgroup_info 0
		.amdhsa_system_vgpr_workitem_id 0
		.amdhsa_next_free_vgpr 1
		.amdhsa_next_free_sgpr 0
		.amdhsa_accum_offset 4
		.amdhsa_reserve_vcc 0
		.amdhsa_reserve_flat_scratch 0
		.amdhsa_float_round_mode_32 0
		.amdhsa_float_round_mode_16_64 0
		.amdhsa_float_denorm_mode_32 3
		.amdhsa_float_denorm_mode_16_64 3
		.amdhsa_dx10_clamp 1
		.amdhsa_ieee_mode 1
		.amdhsa_fp16_overflow 0
		.amdhsa_tg_split 0
		.amdhsa_exception_fp_ieee_invalid_op 0
		.amdhsa_exception_fp_denorm_src 0
		.amdhsa_exception_fp_ieee_div_zero 0
		.amdhsa_exception_fp_ieee_overflow 0
		.amdhsa_exception_fp_ieee_underflow 0
		.amdhsa_exception_fp_ieee_inexact 0
		.amdhsa_exception_int_div_zero 0
	.end_amdhsa_kernel
	.section	.text._ZN7rocprim17ROCPRIM_400000_NS6detail17trampoline_kernelINS0_14default_configENS1_21merge_config_selectorIfNS0_10empty_typeEEEZNS1_10merge_implIS3_N6thrust23THRUST_200600_302600_NS6detail15normal_iteratorINS9_10device_ptrIKfEEEESF_NSB_INSC_IfEEEEPS5_SI_SI_NS9_4lessIfEEEE10hipError_tPvRmT0_T1_T2_T3_T4_T5_mmT6_P12ihipStream_tbEUlT_E_NS1_11comp_targetILNS1_3genE9ELNS1_11target_archE1100ELNS1_3gpuE3ELNS1_3repE0EEENS1_30default_config_static_selectorELNS0_4arch9wavefront6targetE1EEEvSP_,"axG",@progbits,_ZN7rocprim17ROCPRIM_400000_NS6detail17trampoline_kernelINS0_14default_configENS1_21merge_config_selectorIfNS0_10empty_typeEEEZNS1_10merge_implIS3_N6thrust23THRUST_200600_302600_NS6detail15normal_iteratorINS9_10device_ptrIKfEEEESF_NSB_INSC_IfEEEEPS5_SI_SI_NS9_4lessIfEEEE10hipError_tPvRmT0_T1_T2_T3_T4_T5_mmT6_P12ihipStream_tbEUlT_E_NS1_11comp_targetILNS1_3genE9ELNS1_11target_archE1100ELNS1_3gpuE3ELNS1_3repE0EEENS1_30default_config_static_selectorELNS0_4arch9wavefront6targetE1EEEvSP_,comdat
.Lfunc_end66:
	.size	_ZN7rocprim17ROCPRIM_400000_NS6detail17trampoline_kernelINS0_14default_configENS1_21merge_config_selectorIfNS0_10empty_typeEEEZNS1_10merge_implIS3_N6thrust23THRUST_200600_302600_NS6detail15normal_iteratorINS9_10device_ptrIKfEEEESF_NSB_INSC_IfEEEEPS5_SI_SI_NS9_4lessIfEEEE10hipError_tPvRmT0_T1_T2_T3_T4_T5_mmT6_P12ihipStream_tbEUlT_E_NS1_11comp_targetILNS1_3genE9ELNS1_11target_archE1100ELNS1_3gpuE3ELNS1_3repE0EEENS1_30default_config_static_selectorELNS0_4arch9wavefront6targetE1EEEvSP_, .Lfunc_end66-_ZN7rocprim17ROCPRIM_400000_NS6detail17trampoline_kernelINS0_14default_configENS1_21merge_config_selectorIfNS0_10empty_typeEEEZNS1_10merge_implIS3_N6thrust23THRUST_200600_302600_NS6detail15normal_iteratorINS9_10device_ptrIKfEEEESF_NSB_INSC_IfEEEEPS5_SI_SI_NS9_4lessIfEEEE10hipError_tPvRmT0_T1_T2_T3_T4_T5_mmT6_P12ihipStream_tbEUlT_E_NS1_11comp_targetILNS1_3genE9ELNS1_11target_archE1100ELNS1_3gpuE3ELNS1_3repE0EEENS1_30default_config_static_selectorELNS0_4arch9wavefront6targetE1EEEvSP_
                                        ; -- End function
	.section	.AMDGPU.csdata,"",@progbits
; Kernel info:
; codeLenInByte = 0
; NumSgprs: 4
; NumVgprs: 0
; NumAgprs: 0
; TotalNumVgprs: 0
; ScratchSize: 0
; MemoryBound: 0
; FloatMode: 240
; IeeeMode: 1
; LDSByteSize: 0 bytes/workgroup (compile time only)
; SGPRBlocks: 0
; VGPRBlocks: 0
; NumSGPRsForWavesPerEU: 4
; NumVGPRsForWavesPerEU: 1
; AccumOffset: 4
; Occupancy: 8
; WaveLimiterHint : 0
; COMPUTE_PGM_RSRC2:SCRATCH_EN: 0
; COMPUTE_PGM_RSRC2:USER_SGPR: 6
; COMPUTE_PGM_RSRC2:TRAP_HANDLER: 0
; COMPUTE_PGM_RSRC2:TGID_X_EN: 1
; COMPUTE_PGM_RSRC2:TGID_Y_EN: 0
; COMPUTE_PGM_RSRC2:TGID_Z_EN: 0
; COMPUTE_PGM_RSRC2:TIDIG_COMP_CNT: 0
; COMPUTE_PGM_RSRC3_GFX90A:ACCUM_OFFSET: 0
; COMPUTE_PGM_RSRC3_GFX90A:TG_SPLIT: 0
	.section	.text._ZN7rocprim17ROCPRIM_400000_NS6detail17trampoline_kernelINS0_14default_configENS1_21merge_config_selectorIfNS0_10empty_typeEEEZNS1_10merge_implIS3_N6thrust23THRUST_200600_302600_NS6detail15normal_iteratorINS9_10device_ptrIKfEEEESF_NSB_INSC_IfEEEEPS5_SI_SI_NS9_4lessIfEEEE10hipError_tPvRmT0_T1_T2_T3_T4_T5_mmT6_P12ihipStream_tbEUlT_E_NS1_11comp_targetILNS1_3genE8ELNS1_11target_archE1030ELNS1_3gpuE2ELNS1_3repE0EEENS1_30default_config_static_selectorELNS0_4arch9wavefront6targetE1EEEvSP_,"axG",@progbits,_ZN7rocprim17ROCPRIM_400000_NS6detail17trampoline_kernelINS0_14default_configENS1_21merge_config_selectorIfNS0_10empty_typeEEEZNS1_10merge_implIS3_N6thrust23THRUST_200600_302600_NS6detail15normal_iteratorINS9_10device_ptrIKfEEEESF_NSB_INSC_IfEEEEPS5_SI_SI_NS9_4lessIfEEEE10hipError_tPvRmT0_T1_T2_T3_T4_T5_mmT6_P12ihipStream_tbEUlT_E_NS1_11comp_targetILNS1_3genE8ELNS1_11target_archE1030ELNS1_3gpuE2ELNS1_3repE0EEENS1_30default_config_static_selectorELNS0_4arch9wavefront6targetE1EEEvSP_,comdat
	.protected	_ZN7rocprim17ROCPRIM_400000_NS6detail17trampoline_kernelINS0_14default_configENS1_21merge_config_selectorIfNS0_10empty_typeEEEZNS1_10merge_implIS3_N6thrust23THRUST_200600_302600_NS6detail15normal_iteratorINS9_10device_ptrIKfEEEESF_NSB_INSC_IfEEEEPS5_SI_SI_NS9_4lessIfEEEE10hipError_tPvRmT0_T1_T2_T3_T4_T5_mmT6_P12ihipStream_tbEUlT_E_NS1_11comp_targetILNS1_3genE8ELNS1_11target_archE1030ELNS1_3gpuE2ELNS1_3repE0EEENS1_30default_config_static_selectorELNS0_4arch9wavefront6targetE1EEEvSP_ ; -- Begin function _ZN7rocprim17ROCPRIM_400000_NS6detail17trampoline_kernelINS0_14default_configENS1_21merge_config_selectorIfNS0_10empty_typeEEEZNS1_10merge_implIS3_N6thrust23THRUST_200600_302600_NS6detail15normal_iteratorINS9_10device_ptrIKfEEEESF_NSB_INSC_IfEEEEPS5_SI_SI_NS9_4lessIfEEEE10hipError_tPvRmT0_T1_T2_T3_T4_T5_mmT6_P12ihipStream_tbEUlT_E_NS1_11comp_targetILNS1_3genE8ELNS1_11target_archE1030ELNS1_3gpuE2ELNS1_3repE0EEENS1_30default_config_static_selectorELNS0_4arch9wavefront6targetE1EEEvSP_
	.globl	_ZN7rocprim17ROCPRIM_400000_NS6detail17trampoline_kernelINS0_14default_configENS1_21merge_config_selectorIfNS0_10empty_typeEEEZNS1_10merge_implIS3_N6thrust23THRUST_200600_302600_NS6detail15normal_iteratorINS9_10device_ptrIKfEEEESF_NSB_INSC_IfEEEEPS5_SI_SI_NS9_4lessIfEEEE10hipError_tPvRmT0_T1_T2_T3_T4_T5_mmT6_P12ihipStream_tbEUlT_E_NS1_11comp_targetILNS1_3genE8ELNS1_11target_archE1030ELNS1_3gpuE2ELNS1_3repE0EEENS1_30default_config_static_selectorELNS0_4arch9wavefront6targetE1EEEvSP_
	.p2align	8
	.type	_ZN7rocprim17ROCPRIM_400000_NS6detail17trampoline_kernelINS0_14default_configENS1_21merge_config_selectorIfNS0_10empty_typeEEEZNS1_10merge_implIS3_N6thrust23THRUST_200600_302600_NS6detail15normal_iteratorINS9_10device_ptrIKfEEEESF_NSB_INSC_IfEEEEPS5_SI_SI_NS9_4lessIfEEEE10hipError_tPvRmT0_T1_T2_T3_T4_T5_mmT6_P12ihipStream_tbEUlT_E_NS1_11comp_targetILNS1_3genE8ELNS1_11target_archE1030ELNS1_3gpuE2ELNS1_3repE0EEENS1_30default_config_static_selectorELNS0_4arch9wavefront6targetE1EEEvSP_,@function
_ZN7rocprim17ROCPRIM_400000_NS6detail17trampoline_kernelINS0_14default_configENS1_21merge_config_selectorIfNS0_10empty_typeEEEZNS1_10merge_implIS3_N6thrust23THRUST_200600_302600_NS6detail15normal_iteratorINS9_10device_ptrIKfEEEESF_NSB_INSC_IfEEEEPS5_SI_SI_NS9_4lessIfEEEE10hipError_tPvRmT0_T1_T2_T3_T4_T5_mmT6_P12ihipStream_tbEUlT_E_NS1_11comp_targetILNS1_3genE8ELNS1_11target_archE1030ELNS1_3gpuE2ELNS1_3repE0EEENS1_30default_config_static_selectorELNS0_4arch9wavefront6targetE1EEEvSP_: ; @_ZN7rocprim17ROCPRIM_400000_NS6detail17trampoline_kernelINS0_14default_configENS1_21merge_config_selectorIfNS0_10empty_typeEEEZNS1_10merge_implIS3_N6thrust23THRUST_200600_302600_NS6detail15normal_iteratorINS9_10device_ptrIKfEEEESF_NSB_INSC_IfEEEEPS5_SI_SI_NS9_4lessIfEEEE10hipError_tPvRmT0_T1_T2_T3_T4_T5_mmT6_P12ihipStream_tbEUlT_E_NS1_11comp_targetILNS1_3genE8ELNS1_11target_archE1030ELNS1_3gpuE2ELNS1_3repE0EEENS1_30default_config_static_selectorELNS0_4arch9wavefront6targetE1EEEvSP_
; %bb.0:
	.section	.rodata,"a",@progbits
	.p2align	6, 0x0
	.amdhsa_kernel _ZN7rocprim17ROCPRIM_400000_NS6detail17trampoline_kernelINS0_14default_configENS1_21merge_config_selectorIfNS0_10empty_typeEEEZNS1_10merge_implIS3_N6thrust23THRUST_200600_302600_NS6detail15normal_iteratorINS9_10device_ptrIKfEEEESF_NSB_INSC_IfEEEEPS5_SI_SI_NS9_4lessIfEEEE10hipError_tPvRmT0_T1_T2_T3_T4_T5_mmT6_P12ihipStream_tbEUlT_E_NS1_11comp_targetILNS1_3genE8ELNS1_11target_archE1030ELNS1_3gpuE2ELNS1_3repE0EEENS1_30default_config_static_selectorELNS0_4arch9wavefront6targetE1EEEvSP_
		.amdhsa_group_segment_fixed_size 0
		.amdhsa_private_segment_fixed_size 0
		.amdhsa_kernarg_size 48
		.amdhsa_user_sgpr_count 6
		.amdhsa_user_sgpr_private_segment_buffer 1
		.amdhsa_user_sgpr_dispatch_ptr 0
		.amdhsa_user_sgpr_queue_ptr 0
		.amdhsa_user_sgpr_kernarg_segment_ptr 1
		.amdhsa_user_sgpr_dispatch_id 0
		.amdhsa_user_sgpr_flat_scratch_init 0
		.amdhsa_user_sgpr_kernarg_preload_length 0
		.amdhsa_user_sgpr_kernarg_preload_offset 0
		.amdhsa_user_sgpr_private_segment_size 0
		.amdhsa_uses_dynamic_stack 0
		.amdhsa_system_sgpr_private_segment_wavefront_offset 0
		.amdhsa_system_sgpr_workgroup_id_x 1
		.amdhsa_system_sgpr_workgroup_id_y 0
		.amdhsa_system_sgpr_workgroup_id_z 0
		.amdhsa_system_sgpr_workgroup_info 0
		.amdhsa_system_vgpr_workitem_id 0
		.amdhsa_next_free_vgpr 1
		.amdhsa_next_free_sgpr 0
		.amdhsa_accum_offset 4
		.amdhsa_reserve_vcc 0
		.amdhsa_reserve_flat_scratch 0
		.amdhsa_float_round_mode_32 0
		.amdhsa_float_round_mode_16_64 0
		.amdhsa_float_denorm_mode_32 3
		.amdhsa_float_denorm_mode_16_64 3
		.amdhsa_dx10_clamp 1
		.amdhsa_ieee_mode 1
		.amdhsa_fp16_overflow 0
		.amdhsa_tg_split 0
		.amdhsa_exception_fp_ieee_invalid_op 0
		.amdhsa_exception_fp_denorm_src 0
		.amdhsa_exception_fp_ieee_div_zero 0
		.amdhsa_exception_fp_ieee_overflow 0
		.amdhsa_exception_fp_ieee_underflow 0
		.amdhsa_exception_fp_ieee_inexact 0
		.amdhsa_exception_int_div_zero 0
	.end_amdhsa_kernel
	.section	.text._ZN7rocprim17ROCPRIM_400000_NS6detail17trampoline_kernelINS0_14default_configENS1_21merge_config_selectorIfNS0_10empty_typeEEEZNS1_10merge_implIS3_N6thrust23THRUST_200600_302600_NS6detail15normal_iteratorINS9_10device_ptrIKfEEEESF_NSB_INSC_IfEEEEPS5_SI_SI_NS9_4lessIfEEEE10hipError_tPvRmT0_T1_T2_T3_T4_T5_mmT6_P12ihipStream_tbEUlT_E_NS1_11comp_targetILNS1_3genE8ELNS1_11target_archE1030ELNS1_3gpuE2ELNS1_3repE0EEENS1_30default_config_static_selectorELNS0_4arch9wavefront6targetE1EEEvSP_,"axG",@progbits,_ZN7rocprim17ROCPRIM_400000_NS6detail17trampoline_kernelINS0_14default_configENS1_21merge_config_selectorIfNS0_10empty_typeEEEZNS1_10merge_implIS3_N6thrust23THRUST_200600_302600_NS6detail15normal_iteratorINS9_10device_ptrIKfEEEESF_NSB_INSC_IfEEEEPS5_SI_SI_NS9_4lessIfEEEE10hipError_tPvRmT0_T1_T2_T3_T4_T5_mmT6_P12ihipStream_tbEUlT_E_NS1_11comp_targetILNS1_3genE8ELNS1_11target_archE1030ELNS1_3gpuE2ELNS1_3repE0EEENS1_30default_config_static_selectorELNS0_4arch9wavefront6targetE1EEEvSP_,comdat
.Lfunc_end67:
	.size	_ZN7rocprim17ROCPRIM_400000_NS6detail17trampoline_kernelINS0_14default_configENS1_21merge_config_selectorIfNS0_10empty_typeEEEZNS1_10merge_implIS3_N6thrust23THRUST_200600_302600_NS6detail15normal_iteratorINS9_10device_ptrIKfEEEESF_NSB_INSC_IfEEEEPS5_SI_SI_NS9_4lessIfEEEE10hipError_tPvRmT0_T1_T2_T3_T4_T5_mmT6_P12ihipStream_tbEUlT_E_NS1_11comp_targetILNS1_3genE8ELNS1_11target_archE1030ELNS1_3gpuE2ELNS1_3repE0EEENS1_30default_config_static_selectorELNS0_4arch9wavefront6targetE1EEEvSP_, .Lfunc_end67-_ZN7rocprim17ROCPRIM_400000_NS6detail17trampoline_kernelINS0_14default_configENS1_21merge_config_selectorIfNS0_10empty_typeEEEZNS1_10merge_implIS3_N6thrust23THRUST_200600_302600_NS6detail15normal_iteratorINS9_10device_ptrIKfEEEESF_NSB_INSC_IfEEEEPS5_SI_SI_NS9_4lessIfEEEE10hipError_tPvRmT0_T1_T2_T3_T4_T5_mmT6_P12ihipStream_tbEUlT_E_NS1_11comp_targetILNS1_3genE8ELNS1_11target_archE1030ELNS1_3gpuE2ELNS1_3repE0EEENS1_30default_config_static_selectorELNS0_4arch9wavefront6targetE1EEEvSP_
                                        ; -- End function
	.section	.AMDGPU.csdata,"",@progbits
; Kernel info:
; codeLenInByte = 0
; NumSgprs: 4
; NumVgprs: 0
; NumAgprs: 0
; TotalNumVgprs: 0
; ScratchSize: 0
; MemoryBound: 0
; FloatMode: 240
; IeeeMode: 1
; LDSByteSize: 0 bytes/workgroup (compile time only)
; SGPRBlocks: 0
; VGPRBlocks: 0
; NumSGPRsForWavesPerEU: 4
; NumVGPRsForWavesPerEU: 1
; AccumOffset: 4
; Occupancy: 8
; WaveLimiterHint : 0
; COMPUTE_PGM_RSRC2:SCRATCH_EN: 0
; COMPUTE_PGM_RSRC2:USER_SGPR: 6
; COMPUTE_PGM_RSRC2:TRAP_HANDLER: 0
; COMPUTE_PGM_RSRC2:TGID_X_EN: 1
; COMPUTE_PGM_RSRC2:TGID_Y_EN: 0
; COMPUTE_PGM_RSRC2:TGID_Z_EN: 0
; COMPUTE_PGM_RSRC2:TIDIG_COMP_CNT: 0
; COMPUTE_PGM_RSRC3_GFX90A:ACCUM_OFFSET: 0
; COMPUTE_PGM_RSRC3_GFX90A:TG_SPLIT: 0
	.section	.text._ZN7rocprim17ROCPRIM_400000_NS6detail17trampoline_kernelINS0_14default_configENS1_21merge_config_selectorIfNS0_10empty_typeEEEZNS1_10merge_implIS3_N6thrust23THRUST_200600_302600_NS6detail15normal_iteratorINS9_10device_ptrIKfEEEESF_NSB_INSC_IfEEEEPS5_SI_SI_NS9_4lessIfEEEE10hipError_tPvRmT0_T1_T2_T3_T4_T5_mmT6_P12ihipStream_tbEUlT_E0_NS1_11comp_targetILNS1_3genE0ELNS1_11target_archE4294967295ELNS1_3gpuE0ELNS1_3repE0EEENS1_30default_config_static_selectorELNS0_4arch9wavefront6targetE1EEEvSP_,"axG",@progbits,_ZN7rocprim17ROCPRIM_400000_NS6detail17trampoline_kernelINS0_14default_configENS1_21merge_config_selectorIfNS0_10empty_typeEEEZNS1_10merge_implIS3_N6thrust23THRUST_200600_302600_NS6detail15normal_iteratorINS9_10device_ptrIKfEEEESF_NSB_INSC_IfEEEEPS5_SI_SI_NS9_4lessIfEEEE10hipError_tPvRmT0_T1_T2_T3_T4_T5_mmT6_P12ihipStream_tbEUlT_E0_NS1_11comp_targetILNS1_3genE0ELNS1_11target_archE4294967295ELNS1_3gpuE0ELNS1_3repE0EEENS1_30default_config_static_selectorELNS0_4arch9wavefront6targetE1EEEvSP_,comdat
	.protected	_ZN7rocprim17ROCPRIM_400000_NS6detail17trampoline_kernelINS0_14default_configENS1_21merge_config_selectorIfNS0_10empty_typeEEEZNS1_10merge_implIS3_N6thrust23THRUST_200600_302600_NS6detail15normal_iteratorINS9_10device_ptrIKfEEEESF_NSB_INSC_IfEEEEPS5_SI_SI_NS9_4lessIfEEEE10hipError_tPvRmT0_T1_T2_T3_T4_T5_mmT6_P12ihipStream_tbEUlT_E0_NS1_11comp_targetILNS1_3genE0ELNS1_11target_archE4294967295ELNS1_3gpuE0ELNS1_3repE0EEENS1_30default_config_static_selectorELNS0_4arch9wavefront6targetE1EEEvSP_ ; -- Begin function _ZN7rocprim17ROCPRIM_400000_NS6detail17trampoline_kernelINS0_14default_configENS1_21merge_config_selectorIfNS0_10empty_typeEEEZNS1_10merge_implIS3_N6thrust23THRUST_200600_302600_NS6detail15normal_iteratorINS9_10device_ptrIKfEEEESF_NSB_INSC_IfEEEEPS5_SI_SI_NS9_4lessIfEEEE10hipError_tPvRmT0_T1_T2_T3_T4_T5_mmT6_P12ihipStream_tbEUlT_E0_NS1_11comp_targetILNS1_3genE0ELNS1_11target_archE4294967295ELNS1_3gpuE0ELNS1_3repE0EEENS1_30default_config_static_selectorELNS0_4arch9wavefront6targetE1EEEvSP_
	.globl	_ZN7rocprim17ROCPRIM_400000_NS6detail17trampoline_kernelINS0_14default_configENS1_21merge_config_selectorIfNS0_10empty_typeEEEZNS1_10merge_implIS3_N6thrust23THRUST_200600_302600_NS6detail15normal_iteratorINS9_10device_ptrIKfEEEESF_NSB_INSC_IfEEEEPS5_SI_SI_NS9_4lessIfEEEE10hipError_tPvRmT0_T1_T2_T3_T4_T5_mmT6_P12ihipStream_tbEUlT_E0_NS1_11comp_targetILNS1_3genE0ELNS1_11target_archE4294967295ELNS1_3gpuE0ELNS1_3repE0EEENS1_30default_config_static_selectorELNS0_4arch9wavefront6targetE1EEEvSP_
	.p2align	8
	.type	_ZN7rocprim17ROCPRIM_400000_NS6detail17trampoline_kernelINS0_14default_configENS1_21merge_config_selectorIfNS0_10empty_typeEEEZNS1_10merge_implIS3_N6thrust23THRUST_200600_302600_NS6detail15normal_iteratorINS9_10device_ptrIKfEEEESF_NSB_INSC_IfEEEEPS5_SI_SI_NS9_4lessIfEEEE10hipError_tPvRmT0_T1_T2_T3_T4_T5_mmT6_P12ihipStream_tbEUlT_E0_NS1_11comp_targetILNS1_3genE0ELNS1_11target_archE4294967295ELNS1_3gpuE0ELNS1_3repE0EEENS1_30default_config_static_selectorELNS0_4arch9wavefront6targetE1EEEvSP_,@function
_ZN7rocprim17ROCPRIM_400000_NS6detail17trampoline_kernelINS0_14default_configENS1_21merge_config_selectorIfNS0_10empty_typeEEEZNS1_10merge_implIS3_N6thrust23THRUST_200600_302600_NS6detail15normal_iteratorINS9_10device_ptrIKfEEEESF_NSB_INSC_IfEEEEPS5_SI_SI_NS9_4lessIfEEEE10hipError_tPvRmT0_T1_T2_T3_T4_T5_mmT6_P12ihipStream_tbEUlT_E0_NS1_11comp_targetILNS1_3genE0ELNS1_11target_archE4294967295ELNS1_3gpuE0ELNS1_3repE0EEENS1_30default_config_static_selectorELNS0_4arch9wavefront6targetE1EEEvSP_: ; @_ZN7rocprim17ROCPRIM_400000_NS6detail17trampoline_kernelINS0_14default_configENS1_21merge_config_selectorIfNS0_10empty_typeEEEZNS1_10merge_implIS3_N6thrust23THRUST_200600_302600_NS6detail15normal_iteratorINS9_10device_ptrIKfEEEESF_NSB_INSC_IfEEEEPS5_SI_SI_NS9_4lessIfEEEE10hipError_tPvRmT0_T1_T2_T3_T4_T5_mmT6_P12ihipStream_tbEUlT_E0_NS1_11comp_targetILNS1_3genE0ELNS1_11target_archE4294967295ELNS1_3gpuE0ELNS1_3repE0EEENS1_30default_config_static_selectorELNS0_4arch9wavefront6targetE1EEEvSP_
; %bb.0:
	.section	.rodata,"a",@progbits
	.p2align	6, 0x0
	.amdhsa_kernel _ZN7rocprim17ROCPRIM_400000_NS6detail17trampoline_kernelINS0_14default_configENS1_21merge_config_selectorIfNS0_10empty_typeEEEZNS1_10merge_implIS3_N6thrust23THRUST_200600_302600_NS6detail15normal_iteratorINS9_10device_ptrIKfEEEESF_NSB_INSC_IfEEEEPS5_SI_SI_NS9_4lessIfEEEE10hipError_tPvRmT0_T1_T2_T3_T4_T5_mmT6_P12ihipStream_tbEUlT_E0_NS1_11comp_targetILNS1_3genE0ELNS1_11target_archE4294967295ELNS1_3gpuE0ELNS1_3repE0EEENS1_30default_config_static_selectorELNS0_4arch9wavefront6targetE1EEEvSP_
		.amdhsa_group_segment_fixed_size 0
		.amdhsa_private_segment_fixed_size 0
		.amdhsa_kernarg_size 88
		.amdhsa_user_sgpr_count 6
		.amdhsa_user_sgpr_private_segment_buffer 1
		.amdhsa_user_sgpr_dispatch_ptr 0
		.amdhsa_user_sgpr_queue_ptr 0
		.amdhsa_user_sgpr_kernarg_segment_ptr 1
		.amdhsa_user_sgpr_dispatch_id 0
		.amdhsa_user_sgpr_flat_scratch_init 0
		.amdhsa_user_sgpr_kernarg_preload_length 0
		.amdhsa_user_sgpr_kernarg_preload_offset 0
		.amdhsa_user_sgpr_private_segment_size 0
		.amdhsa_uses_dynamic_stack 0
		.amdhsa_system_sgpr_private_segment_wavefront_offset 0
		.amdhsa_system_sgpr_workgroup_id_x 1
		.amdhsa_system_sgpr_workgroup_id_y 0
		.amdhsa_system_sgpr_workgroup_id_z 0
		.amdhsa_system_sgpr_workgroup_info 0
		.amdhsa_system_vgpr_workitem_id 0
		.amdhsa_next_free_vgpr 1
		.amdhsa_next_free_sgpr 0
		.amdhsa_accum_offset 4
		.amdhsa_reserve_vcc 0
		.amdhsa_reserve_flat_scratch 0
		.amdhsa_float_round_mode_32 0
		.amdhsa_float_round_mode_16_64 0
		.amdhsa_float_denorm_mode_32 3
		.amdhsa_float_denorm_mode_16_64 3
		.amdhsa_dx10_clamp 1
		.amdhsa_ieee_mode 1
		.amdhsa_fp16_overflow 0
		.amdhsa_tg_split 0
		.amdhsa_exception_fp_ieee_invalid_op 0
		.amdhsa_exception_fp_denorm_src 0
		.amdhsa_exception_fp_ieee_div_zero 0
		.amdhsa_exception_fp_ieee_overflow 0
		.amdhsa_exception_fp_ieee_underflow 0
		.amdhsa_exception_fp_ieee_inexact 0
		.amdhsa_exception_int_div_zero 0
	.end_amdhsa_kernel
	.section	.text._ZN7rocprim17ROCPRIM_400000_NS6detail17trampoline_kernelINS0_14default_configENS1_21merge_config_selectorIfNS0_10empty_typeEEEZNS1_10merge_implIS3_N6thrust23THRUST_200600_302600_NS6detail15normal_iteratorINS9_10device_ptrIKfEEEESF_NSB_INSC_IfEEEEPS5_SI_SI_NS9_4lessIfEEEE10hipError_tPvRmT0_T1_T2_T3_T4_T5_mmT6_P12ihipStream_tbEUlT_E0_NS1_11comp_targetILNS1_3genE0ELNS1_11target_archE4294967295ELNS1_3gpuE0ELNS1_3repE0EEENS1_30default_config_static_selectorELNS0_4arch9wavefront6targetE1EEEvSP_,"axG",@progbits,_ZN7rocprim17ROCPRIM_400000_NS6detail17trampoline_kernelINS0_14default_configENS1_21merge_config_selectorIfNS0_10empty_typeEEEZNS1_10merge_implIS3_N6thrust23THRUST_200600_302600_NS6detail15normal_iteratorINS9_10device_ptrIKfEEEESF_NSB_INSC_IfEEEEPS5_SI_SI_NS9_4lessIfEEEE10hipError_tPvRmT0_T1_T2_T3_T4_T5_mmT6_P12ihipStream_tbEUlT_E0_NS1_11comp_targetILNS1_3genE0ELNS1_11target_archE4294967295ELNS1_3gpuE0ELNS1_3repE0EEENS1_30default_config_static_selectorELNS0_4arch9wavefront6targetE1EEEvSP_,comdat
.Lfunc_end68:
	.size	_ZN7rocprim17ROCPRIM_400000_NS6detail17trampoline_kernelINS0_14default_configENS1_21merge_config_selectorIfNS0_10empty_typeEEEZNS1_10merge_implIS3_N6thrust23THRUST_200600_302600_NS6detail15normal_iteratorINS9_10device_ptrIKfEEEESF_NSB_INSC_IfEEEEPS5_SI_SI_NS9_4lessIfEEEE10hipError_tPvRmT0_T1_T2_T3_T4_T5_mmT6_P12ihipStream_tbEUlT_E0_NS1_11comp_targetILNS1_3genE0ELNS1_11target_archE4294967295ELNS1_3gpuE0ELNS1_3repE0EEENS1_30default_config_static_selectorELNS0_4arch9wavefront6targetE1EEEvSP_, .Lfunc_end68-_ZN7rocprim17ROCPRIM_400000_NS6detail17trampoline_kernelINS0_14default_configENS1_21merge_config_selectorIfNS0_10empty_typeEEEZNS1_10merge_implIS3_N6thrust23THRUST_200600_302600_NS6detail15normal_iteratorINS9_10device_ptrIKfEEEESF_NSB_INSC_IfEEEEPS5_SI_SI_NS9_4lessIfEEEE10hipError_tPvRmT0_T1_T2_T3_T4_T5_mmT6_P12ihipStream_tbEUlT_E0_NS1_11comp_targetILNS1_3genE0ELNS1_11target_archE4294967295ELNS1_3gpuE0ELNS1_3repE0EEENS1_30default_config_static_selectorELNS0_4arch9wavefront6targetE1EEEvSP_
                                        ; -- End function
	.section	.AMDGPU.csdata,"",@progbits
; Kernel info:
; codeLenInByte = 0
; NumSgprs: 4
; NumVgprs: 0
; NumAgprs: 0
; TotalNumVgprs: 0
; ScratchSize: 0
; MemoryBound: 0
; FloatMode: 240
; IeeeMode: 1
; LDSByteSize: 0 bytes/workgroup (compile time only)
; SGPRBlocks: 0
; VGPRBlocks: 0
; NumSGPRsForWavesPerEU: 4
; NumVGPRsForWavesPerEU: 1
; AccumOffset: 4
; Occupancy: 8
; WaveLimiterHint : 0
; COMPUTE_PGM_RSRC2:SCRATCH_EN: 0
; COMPUTE_PGM_RSRC2:USER_SGPR: 6
; COMPUTE_PGM_RSRC2:TRAP_HANDLER: 0
; COMPUTE_PGM_RSRC2:TGID_X_EN: 1
; COMPUTE_PGM_RSRC2:TGID_Y_EN: 0
; COMPUTE_PGM_RSRC2:TGID_Z_EN: 0
; COMPUTE_PGM_RSRC2:TIDIG_COMP_CNT: 0
; COMPUTE_PGM_RSRC3_GFX90A:ACCUM_OFFSET: 0
; COMPUTE_PGM_RSRC3_GFX90A:TG_SPLIT: 0
	.section	.text._ZN7rocprim17ROCPRIM_400000_NS6detail17trampoline_kernelINS0_14default_configENS1_21merge_config_selectorIfNS0_10empty_typeEEEZNS1_10merge_implIS3_N6thrust23THRUST_200600_302600_NS6detail15normal_iteratorINS9_10device_ptrIKfEEEESF_NSB_INSC_IfEEEEPS5_SI_SI_NS9_4lessIfEEEE10hipError_tPvRmT0_T1_T2_T3_T4_T5_mmT6_P12ihipStream_tbEUlT_E0_NS1_11comp_targetILNS1_3genE5ELNS1_11target_archE942ELNS1_3gpuE9ELNS1_3repE0EEENS1_30default_config_static_selectorELNS0_4arch9wavefront6targetE1EEEvSP_,"axG",@progbits,_ZN7rocprim17ROCPRIM_400000_NS6detail17trampoline_kernelINS0_14default_configENS1_21merge_config_selectorIfNS0_10empty_typeEEEZNS1_10merge_implIS3_N6thrust23THRUST_200600_302600_NS6detail15normal_iteratorINS9_10device_ptrIKfEEEESF_NSB_INSC_IfEEEEPS5_SI_SI_NS9_4lessIfEEEE10hipError_tPvRmT0_T1_T2_T3_T4_T5_mmT6_P12ihipStream_tbEUlT_E0_NS1_11comp_targetILNS1_3genE5ELNS1_11target_archE942ELNS1_3gpuE9ELNS1_3repE0EEENS1_30default_config_static_selectorELNS0_4arch9wavefront6targetE1EEEvSP_,comdat
	.protected	_ZN7rocprim17ROCPRIM_400000_NS6detail17trampoline_kernelINS0_14default_configENS1_21merge_config_selectorIfNS0_10empty_typeEEEZNS1_10merge_implIS3_N6thrust23THRUST_200600_302600_NS6detail15normal_iteratorINS9_10device_ptrIKfEEEESF_NSB_INSC_IfEEEEPS5_SI_SI_NS9_4lessIfEEEE10hipError_tPvRmT0_T1_T2_T3_T4_T5_mmT6_P12ihipStream_tbEUlT_E0_NS1_11comp_targetILNS1_3genE5ELNS1_11target_archE942ELNS1_3gpuE9ELNS1_3repE0EEENS1_30default_config_static_selectorELNS0_4arch9wavefront6targetE1EEEvSP_ ; -- Begin function _ZN7rocprim17ROCPRIM_400000_NS6detail17trampoline_kernelINS0_14default_configENS1_21merge_config_selectorIfNS0_10empty_typeEEEZNS1_10merge_implIS3_N6thrust23THRUST_200600_302600_NS6detail15normal_iteratorINS9_10device_ptrIKfEEEESF_NSB_INSC_IfEEEEPS5_SI_SI_NS9_4lessIfEEEE10hipError_tPvRmT0_T1_T2_T3_T4_T5_mmT6_P12ihipStream_tbEUlT_E0_NS1_11comp_targetILNS1_3genE5ELNS1_11target_archE942ELNS1_3gpuE9ELNS1_3repE0EEENS1_30default_config_static_selectorELNS0_4arch9wavefront6targetE1EEEvSP_
	.globl	_ZN7rocprim17ROCPRIM_400000_NS6detail17trampoline_kernelINS0_14default_configENS1_21merge_config_selectorIfNS0_10empty_typeEEEZNS1_10merge_implIS3_N6thrust23THRUST_200600_302600_NS6detail15normal_iteratorINS9_10device_ptrIKfEEEESF_NSB_INSC_IfEEEEPS5_SI_SI_NS9_4lessIfEEEE10hipError_tPvRmT0_T1_T2_T3_T4_T5_mmT6_P12ihipStream_tbEUlT_E0_NS1_11comp_targetILNS1_3genE5ELNS1_11target_archE942ELNS1_3gpuE9ELNS1_3repE0EEENS1_30default_config_static_selectorELNS0_4arch9wavefront6targetE1EEEvSP_
	.p2align	8
	.type	_ZN7rocprim17ROCPRIM_400000_NS6detail17trampoline_kernelINS0_14default_configENS1_21merge_config_selectorIfNS0_10empty_typeEEEZNS1_10merge_implIS3_N6thrust23THRUST_200600_302600_NS6detail15normal_iteratorINS9_10device_ptrIKfEEEESF_NSB_INSC_IfEEEEPS5_SI_SI_NS9_4lessIfEEEE10hipError_tPvRmT0_T1_T2_T3_T4_T5_mmT6_P12ihipStream_tbEUlT_E0_NS1_11comp_targetILNS1_3genE5ELNS1_11target_archE942ELNS1_3gpuE9ELNS1_3repE0EEENS1_30default_config_static_selectorELNS0_4arch9wavefront6targetE1EEEvSP_,@function
_ZN7rocprim17ROCPRIM_400000_NS6detail17trampoline_kernelINS0_14default_configENS1_21merge_config_selectorIfNS0_10empty_typeEEEZNS1_10merge_implIS3_N6thrust23THRUST_200600_302600_NS6detail15normal_iteratorINS9_10device_ptrIKfEEEESF_NSB_INSC_IfEEEEPS5_SI_SI_NS9_4lessIfEEEE10hipError_tPvRmT0_T1_T2_T3_T4_T5_mmT6_P12ihipStream_tbEUlT_E0_NS1_11comp_targetILNS1_3genE5ELNS1_11target_archE942ELNS1_3gpuE9ELNS1_3repE0EEENS1_30default_config_static_selectorELNS0_4arch9wavefront6targetE1EEEvSP_: ; @_ZN7rocprim17ROCPRIM_400000_NS6detail17trampoline_kernelINS0_14default_configENS1_21merge_config_selectorIfNS0_10empty_typeEEEZNS1_10merge_implIS3_N6thrust23THRUST_200600_302600_NS6detail15normal_iteratorINS9_10device_ptrIKfEEEESF_NSB_INSC_IfEEEEPS5_SI_SI_NS9_4lessIfEEEE10hipError_tPvRmT0_T1_T2_T3_T4_T5_mmT6_P12ihipStream_tbEUlT_E0_NS1_11comp_targetILNS1_3genE5ELNS1_11target_archE942ELNS1_3gpuE9ELNS1_3repE0EEENS1_30default_config_static_selectorELNS0_4arch9wavefront6targetE1EEEvSP_
; %bb.0:
	.section	.rodata,"a",@progbits
	.p2align	6, 0x0
	.amdhsa_kernel _ZN7rocprim17ROCPRIM_400000_NS6detail17trampoline_kernelINS0_14default_configENS1_21merge_config_selectorIfNS0_10empty_typeEEEZNS1_10merge_implIS3_N6thrust23THRUST_200600_302600_NS6detail15normal_iteratorINS9_10device_ptrIKfEEEESF_NSB_INSC_IfEEEEPS5_SI_SI_NS9_4lessIfEEEE10hipError_tPvRmT0_T1_T2_T3_T4_T5_mmT6_P12ihipStream_tbEUlT_E0_NS1_11comp_targetILNS1_3genE5ELNS1_11target_archE942ELNS1_3gpuE9ELNS1_3repE0EEENS1_30default_config_static_selectorELNS0_4arch9wavefront6targetE1EEEvSP_
		.amdhsa_group_segment_fixed_size 0
		.amdhsa_private_segment_fixed_size 0
		.amdhsa_kernarg_size 88
		.amdhsa_user_sgpr_count 6
		.amdhsa_user_sgpr_private_segment_buffer 1
		.amdhsa_user_sgpr_dispatch_ptr 0
		.amdhsa_user_sgpr_queue_ptr 0
		.amdhsa_user_sgpr_kernarg_segment_ptr 1
		.amdhsa_user_sgpr_dispatch_id 0
		.amdhsa_user_sgpr_flat_scratch_init 0
		.amdhsa_user_sgpr_kernarg_preload_length 0
		.amdhsa_user_sgpr_kernarg_preload_offset 0
		.amdhsa_user_sgpr_private_segment_size 0
		.amdhsa_uses_dynamic_stack 0
		.amdhsa_system_sgpr_private_segment_wavefront_offset 0
		.amdhsa_system_sgpr_workgroup_id_x 1
		.amdhsa_system_sgpr_workgroup_id_y 0
		.amdhsa_system_sgpr_workgroup_id_z 0
		.amdhsa_system_sgpr_workgroup_info 0
		.amdhsa_system_vgpr_workitem_id 0
		.amdhsa_next_free_vgpr 1
		.amdhsa_next_free_sgpr 0
		.amdhsa_accum_offset 4
		.amdhsa_reserve_vcc 0
		.amdhsa_reserve_flat_scratch 0
		.amdhsa_float_round_mode_32 0
		.amdhsa_float_round_mode_16_64 0
		.amdhsa_float_denorm_mode_32 3
		.amdhsa_float_denorm_mode_16_64 3
		.amdhsa_dx10_clamp 1
		.amdhsa_ieee_mode 1
		.amdhsa_fp16_overflow 0
		.amdhsa_tg_split 0
		.amdhsa_exception_fp_ieee_invalid_op 0
		.amdhsa_exception_fp_denorm_src 0
		.amdhsa_exception_fp_ieee_div_zero 0
		.amdhsa_exception_fp_ieee_overflow 0
		.amdhsa_exception_fp_ieee_underflow 0
		.amdhsa_exception_fp_ieee_inexact 0
		.amdhsa_exception_int_div_zero 0
	.end_amdhsa_kernel
	.section	.text._ZN7rocprim17ROCPRIM_400000_NS6detail17trampoline_kernelINS0_14default_configENS1_21merge_config_selectorIfNS0_10empty_typeEEEZNS1_10merge_implIS3_N6thrust23THRUST_200600_302600_NS6detail15normal_iteratorINS9_10device_ptrIKfEEEESF_NSB_INSC_IfEEEEPS5_SI_SI_NS9_4lessIfEEEE10hipError_tPvRmT0_T1_T2_T3_T4_T5_mmT6_P12ihipStream_tbEUlT_E0_NS1_11comp_targetILNS1_3genE5ELNS1_11target_archE942ELNS1_3gpuE9ELNS1_3repE0EEENS1_30default_config_static_selectorELNS0_4arch9wavefront6targetE1EEEvSP_,"axG",@progbits,_ZN7rocprim17ROCPRIM_400000_NS6detail17trampoline_kernelINS0_14default_configENS1_21merge_config_selectorIfNS0_10empty_typeEEEZNS1_10merge_implIS3_N6thrust23THRUST_200600_302600_NS6detail15normal_iteratorINS9_10device_ptrIKfEEEESF_NSB_INSC_IfEEEEPS5_SI_SI_NS9_4lessIfEEEE10hipError_tPvRmT0_T1_T2_T3_T4_T5_mmT6_P12ihipStream_tbEUlT_E0_NS1_11comp_targetILNS1_3genE5ELNS1_11target_archE942ELNS1_3gpuE9ELNS1_3repE0EEENS1_30default_config_static_selectorELNS0_4arch9wavefront6targetE1EEEvSP_,comdat
.Lfunc_end69:
	.size	_ZN7rocprim17ROCPRIM_400000_NS6detail17trampoline_kernelINS0_14default_configENS1_21merge_config_selectorIfNS0_10empty_typeEEEZNS1_10merge_implIS3_N6thrust23THRUST_200600_302600_NS6detail15normal_iteratorINS9_10device_ptrIKfEEEESF_NSB_INSC_IfEEEEPS5_SI_SI_NS9_4lessIfEEEE10hipError_tPvRmT0_T1_T2_T3_T4_T5_mmT6_P12ihipStream_tbEUlT_E0_NS1_11comp_targetILNS1_3genE5ELNS1_11target_archE942ELNS1_3gpuE9ELNS1_3repE0EEENS1_30default_config_static_selectorELNS0_4arch9wavefront6targetE1EEEvSP_, .Lfunc_end69-_ZN7rocprim17ROCPRIM_400000_NS6detail17trampoline_kernelINS0_14default_configENS1_21merge_config_selectorIfNS0_10empty_typeEEEZNS1_10merge_implIS3_N6thrust23THRUST_200600_302600_NS6detail15normal_iteratorINS9_10device_ptrIKfEEEESF_NSB_INSC_IfEEEEPS5_SI_SI_NS9_4lessIfEEEE10hipError_tPvRmT0_T1_T2_T3_T4_T5_mmT6_P12ihipStream_tbEUlT_E0_NS1_11comp_targetILNS1_3genE5ELNS1_11target_archE942ELNS1_3gpuE9ELNS1_3repE0EEENS1_30default_config_static_selectorELNS0_4arch9wavefront6targetE1EEEvSP_
                                        ; -- End function
	.section	.AMDGPU.csdata,"",@progbits
; Kernel info:
; codeLenInByte = 0
; NumSgprs: 4
; NumVgprs: 0
; NumAgprs: 0
; TotalNumVgprs: 0
; ScratchSize: 0
; MemoryBound: 0
; FloatMode: 240
; IeeeMode: 1
; LDSByteSize: 0 bytes/workgroup (compile time only)
; SGPRBlocks: 0
; VGPRBlocks: 0
; NumSGPRsForWavesPerEU: 4
; NumVGPRsForWavesPerEU: 1
; AccumOffset: 4
; Occupancy: 8
; WaveLimiterHint : 0
; COMPUTE_PGM_RSRC2:SCRATCH_EN: 0
; COMPUTE_PGM_RSRC2:USER_SGPR: 6
; COMPUTE_PGM_RSRC2:TRAP_HANDLER: 0
; COMPUTE_PGM_RSRC2:TGID_X_EN: 1
; COMPUTE_PGM_RSRC2:TGID_Y_EN: 0
; COMPUTE_PGM_RSRC2:TGID_Z_EN: 0
; COMPUTE_PGM_RSRC2:TIDIG_COMP_CNT: 0
; COMPUTE_PGM_RSRC3_GFX90A:ACCUM_OFFSET: 0
; COMPUTE_PGM_RSRC3_GFX90A:TG_SPLIT: 0
	.section	.text._ZN7rocprim17ROCPRIM_400000_NS6detail17trampoline_kernelINS0_14default_configENS1_21merge_config_selectorIfNS0_10empty_typeEEEZNS1_10merge_implIS3_N6thrust23THRUST_200600_302600_NS6detail15normal_iteratorINS9_10device_ptrIKfEEEESF_NSB_INSC_IfEEEEPS5_SI_SI_NS9_4lessIfEEEE10hipError_tPvRmT0_T1_T2_T3_T4_T5_mmT6_P12ihipStream_tbEUlT_E0_NS1_11comp_targetILNS1_3genE4ELNS1_11target_archE910ELNS1_3gpuE8ELNS1_3repE0EEENS1_30default_config_static_selectorELNS0_4arch9wavefront6targetE1EEEvSP_,"axG",@progbits,_ZN7rocprim17ROCPRIM_400000_NS6detail17trampoline_kernelINS0_14default_configENS1_21merge_config_selectorIfNS0_10empty_typeEEEZNS1_10merge_implIS3_N6thrust23THRUST_200600_302600_NS6detail15normal_iteratorINS9_10device_ptrIKfEEEESF_NSB_INSC_IfEEEEPS5_SI_SI_NS9_4lessIfEEEE10hipError_tPvRmT0_T1_T2_T3_T4_T5_mmT6_P12ihipStream_tbEUlT_E0_NS1_11comp_targetILNS1_3genE4ELNS1_11target_archE910ELNS1_3gpuE8ELNS1_3repE0EEENS1_30default_config_static_selectorELNS0_4arch9wavefront6targetE1EEEvSP_,comdat
	.protected	_ZN7rocprim17ROCPRIM_400000_NS6detail17trampoline_kernelINS0_14default_configENS1_21merge_config_selectorIfNS0_10empty_typeEEEZNS1_10merge_implIS3_N6thrust23THRUST_200600_302600_NS6detail15normal_iteratorINS9_10device_ptrIKfEEEESF_NSB_INSC_IfEEEEPS5_SI_SI_NS9_4lessIfEEEE10hipError_tPvRmT0_T1_T2_T3_T4_T5_mmT6_P12ihipStream_tbEUlT_E0_NS1_11comp_targetILNS1_3genE4ELNS1_11target_archE910ELNS1_3gpuE8ELNS1_3repE0EEENS1_30default_config_static_selectorELNS0_4arch9wavefront6targetE1EEEvSP_ ; -- Begin function _ZN7rocprim17ROCPRIM_400000_NS6detail17trampoline_kernelINS0_14default_configENS1_21merge_config_selectorIfNS0_10empty_typeEEEZNS1_10merge_implIS3_N6thrust23THRUST_200600_302600_NS6detail15normal_iteratorINS9_10device_ptrIKfEEEESF_NSB_INSC_IfEEEEPS5_SI_SI_NS9_4lessIfEEEE10hipError_tPvRmT0_T1_T2_T3_T4_T5_mmT6_P12ihipStream_tbEUlT_E0_NS1_11comp_targetILNS1_3genE4ELNS1_11target_archE910ELNS1_3gpuE8ELNS1_3repE0EEENS1_30default_config_static_selectorELNS0_4arch9wavefront6targetE1EEEvSP_
	.globl	_ZN7rocprim17ROCPRIM_400000_NS6detail17trampoline_kernelINS0_14default_configENS1_21merge_config_selectorIfNS0_10empty_typeEEEZNS1_10merge_implIS3_N6thrust23THRUST_200600_302600_NS6detail15normal_iteratorINS9_10device_ptrIKfEEEESF_NSB_INSC_IfEEEEPS5_SI_SI_NS9_4lessIfEEEE10hipError_tPvRmT0_T1_T2_T3_T4_T5_mmT6_P12ihipStream_tbEUlT_E0_NS1_11comp_targetILNS1_3genE4ELNS1_11target_archE910ELNS1_3gpuE8ELNS1_3repE0EEENS1_30default_config_static_selectorELNS0_4arch9wavefront6targetE1EEEvSP_
	.p2align	8
	.type	_ZN7rocprim17ROCPRIM_400000_NS6detail17trampoline_kernelINS0_14default_configENS1_21merge_config_selectorIfNS0_10empty_typeEEEZNS1_10merge_implIS3_N6thrust23THRUST_200600_302600_NS6detail15normal_iteratorINS9_10device_ptrIKfEEEESF_NSB_INSC_IfEEEEPS5_SI_SI_NS9_4lessIfEEEE10hipError_tPvRmT0_T1_T2_T3_T4_T5_mmT6_P12ihipStream_tbEUlT_E0_NS1_11comp_targetILNS1_3genE4ELNS1_11target_archE910ELNS1_3gpuE8ELNS1_3repE0EEENS1_30default_config_static_selectorELNS0_4arch9wavefront6targetE1EEEvSP_,@function
_ZN7rocprim17ROCPRIM_400000_NS6detail17trampoline_kernelINS0_14default_configENS1_21merge_config_selectorIfNS0_10empty_typeEEEZNS1_10merge_implIS3_N6thrust23THRUST_200600_302600_NS6detail15normal_iteratorINS9_10device_ptrIKfEEEESF_NSB_INSC_IfEEEEPS5_SI_SI_NS9_4lessIfEEEE10hipError_tPvRmT0_T1_T2_T3_T4_T5_mmT6_P12ihipStream_tbEUlT_E0_NS1_11comp_targetILNS1_3genE4ELNS1_11target_archE910ELNS1_3gpuE8ELNS1_3repE0EEENS1_30default_config_static_selectorELNS0_4arch9wavefront6targetE1EEEvSP_: ; @_ZN7rocprim17ROCPRIM_400000_NS6detail17trampoline_kernelINS0_14default_configENS1_21merge_config_selectorIfNS0_10empty_typeEEEZNS1_10merge_implIS3_N6thrust23THRUST_200600_302600_NS6detail15normal_iteratorINS9_10device_ptrIKfEEEESF_NSB_INSC_IfEEEEPS5_SI_SI_NS9_4lessIfEEEE10hipError_tPvRmT0_T1_T2_T3_T4_T5_mmT6_P12ihipStream_tbEUlT_E0_NS1_11comp_targetILNS1_3genE4ELNS1_11target_archE910ELNS1_3gpuE8ELNS1_3repE0EEENS1_30default_config_static_selectorELNS0_4arch9wavefront6targetE1EEEvSP_
; %bb.0:
	s_load_dwordx4 s[0:3], s[4:5], 0x40
	s_load_dwordx8 s[12:19], s[4:5], 0x8
	s_mul_i32 s20, s6, 0xa00
	s_mov_b32 s23, 0
	s_waitcnt lgkmcnt(0)
	s_mov_b32 s3, s23
	s_add_i32 s21, s2, s0
	s_add_i32 s0, s21, 0x9ff
	s_mul_hi_u32 s0, s0, 0xcccccccd
	s_lshr_b32 s0, s0, 11
	s_min_u32 s1, s6, s0
	s_lshl_b32 s1, s1, 2
	s_load_dword s22, s[12:13], s1 offset:0x0
	s_add_i32 s6, s6, 1
	s_min_u32 s0, s6, s0
	s_lshl_b32 s0, s0, 2
	s_load_dword s6, s[12:13], s0 offset:0x0
	s_add_i32 s0, s20, 0xa00
	s_min_u32 s7, s21, s0
	s_waitcnt lgkmcnt(0)
	s_sub_i32 s2, s20, s22
	s_lshl_b64 s[0:1], s[22:23], 2
	s_add_u32 s0, s14, s0
	s_addc_u32 s1, s15, s1
	s_lshl_b64 s[4:5], s[2:3], 2
	s_add_u32 s9, s16, s4
	s_addc_u32 s10, s17, s5
	s_add_i32 s2, s2, s6
	s_sub_i32 s22, s6, s22
	s_sub_i32 s8, s7, s2
	s_add_u32 s2, s8, s22
	s_addc_u32 s3, 0, 0
	v_mov_b32_e32 v1, 0
	v_cmp_le_u32_e32 vcc, s22, v0
	s_and_saveexec_b64 s[4:5], vcc
	s_xor_b64 s[4:5], exec, s[4:5]
	s_cbranch_execz .LBB70_4
; %bb.1:
	v_cmp_gt_u64_e32 vcc, s[2:3], v[0:1]
	s_and_saveexec_b64 s[6:7], vcc
	s_cbranch_execz .LBB70_3
; %bb.2:
	v_mov_b32_e32 v1, s23
	v_subrev_co_u32_e32 v2, vcc, s22, v0
	v_subb_co_u32_e32 v3, vcc, 0, v1, vcc
	v_lshlrev_b64 v[2:3], 2, v[2:3]
	v_mov_b32_e32 v1, s10
	v_add_co_u32_e32 v2, vcc, s9, v2
	v_addc_co_u32_e32 v3, vcc, v1, v3, vcc
	global_load_dword v1, v[2:3], off
	v_lshlrev_b32_e32 v2, 2, v0
	s_waitcnt vmcnt(0)
	ds_write_b32 v2, v1
.LBB70_3:
	s_or_b64 exec, exec, s[6:7]
.LBB70_4:
	s_or_saveexec_b64 s[4:5], s[4:5]
	v_lshlrev_b32_e32 v1, 2, v0
	s_xor_b64 exec, exec, s[4:5]
	s_cbranch_execz .LBB70_6
; %bb.5:
	global_load_dword v2, v1, s[0:1]
	s_waitcnt vmcnt(0)
	ds_write_b32 v1, v2
.LBB70_6:
	s_or_b64 exec, exec, s[4:5]
	v_or_b32_e32 v10, 0x100, v0
	v_mov_b32_e32 v11, 0
	v_cmp_le_u32_e32 vcc, s22, v10
	s_and_saveexec_b64 s[4:5], vcc
	s_xor_b64 s[4:5], exec, s[4:5]
	s_cbranch_execz .LBB70_10
; %bb.7:
	v_cmp_gt_u64_e32 vcc, s[2:3], v[10:11]
	s_and_saveexec_b64 s[6:7], vcc
	s_cbranch_execz .LBB70_9
; %bb.8:
	v_mov_b32_e32 v3, s23
	v_subrev_co_u32_e32 v2, vcc, s22, v0
	v_subb_co_u32_e32 v3, vcc, 0, v3, vcc
	v_lshlrev_b64 v[2:3], 2, v[2:3]
	v_mov_b32_e32 v4, s10
	v_add_co_u32_e32 v2, vcc, s9, v2
	v_addc_co_u32_e32 v3, vcc, v4, v3, vcc
	global_load_dword v2, v[2:3], off offset:1024
	s_waitcnt vmcnt(0)
	ds_write_b32 v1, v2 offset:1024
.LBB70_9:
	s_or_b64 exec, exec, s[6:7]
.LBB70_10:
	s_andn2_saveexec_b64 s[4:5], s[4:5]
	s_cbranch_execz .LBB70_12
; %bb.11:
	global_load_dword v2, v1, s[0:1] offset:1024
	s_waitcnt vmcnt(0)
	ds_write_b32 v1, v2 offset:1024
.LBB70_12:
	s_or_b64 exec, exec, s[4:5]
	v_or_b32_e32 v12, 0x200, v0
	v_mov_b32_e32 v13, 0
	v_cmp_le_u32_e32 vcc, s22, v12
	s_and_saveexec_b64 s[4:5], vcc
	s_xor_b64 s[4:5], exec, s[4:5]
	s_cbranch_execz .LBB70_16
; %bb.13:
	v_cmp_gt_u64_e32 vcc, s[2:3], v[12:13]
	s_and_saveexec_b64 s[6:7], vcc
	s_cbranch_execz .LBB70_15
; %bb.14:
	v_mov_b32_e32 v3, s23
	v_subrev_co_u32_e32 v2, vcc, s22, v0
	v_subb_co_u32_e32 v3, vcc, 0, v3, vcc
	v_lshlrev_b64 v[2:3], 2, v[2:3]
	v_mov_b32_e32 v4, s10
	v_add_co_u32_e32 v2, vcc, s9, v2
	v_addc_co_u32_e32 v3, vcc, v4, v3, vcc
	global_load_dword v2, v[2:3], off offset:2048
	s_waitcnt vmcnt(0)
	ds_write_b32 v1, v2 offset:2048
.LBB70_15:
	s_or_b64 exec, exec, s[6:7]
.LBB70_16:
	s_andn2_saveexec_b64 s[4:5], s[4:5]
	s_cbranch_execz .LBB70_18
; %bb.17:
	global_load_dword v2, v1, s[0:1] offset:2048
	s_waitcnt vmcnt(0)
	ds_write_b32 v1, v2 offset:2048
.LBB70_18:
	;; [unrolled: 32-line block ×3, first 2 shown]
	s_or_b64 exec, exec, s[4:5]
	v_or_b32_e32 v16, 0x400, v0
	v_mov_b32_e32 v17, 0
	v_cmp_le_u32_e32 vcc, s22, v16
	s_and_saveexec_b64 s[4:5], vcc
	s_xor_b64 s[4:5], exec, s[4:5]
	s_cbranch_execz .LBB70_28
; %bb.25:
	v_cmp_gt_u64_e32 vcc, s[2:3], v[16:17]
	s_and_saveexec_b64 s[6:7], vcc
	s_cbranch_execz .LBB70_27
; %bb.26:
	v_mov_b32_e32 v3, s23
	v_subrev_co_u32_e32 v2, vcc, s22, v16
	v_subb_co_u32_e32 v3, vcc, 0, v3, vcc
	v_lshlrev_b64 v[2:3], 2, v[2:3]
	v_mov_b32_e32 v4, s10
	v_add_co_u32_e32 v2, vcc, s9, v2
	v_addc_co_u32_e32 v3, vcc, v4, v3, vcc
	global_load_dword v2, v[2:3], off
	s_waitcnt vmcnt(0)
	ds_write_b32 v1, v2 offset:4096
.LBB70_27:
	s_or_b64 exec, exec, s[6:7]
.LBB70_28:
	s_andn2_saveexec_b64 s[4:5], s[4:5]
	s_cbranch_execz .LBB70_30
; %bb.29:
	v_lshlrev_b32_e32 v2, 2, v16
	global_load_dword v2, v2, s[0:1]
	s_waitcnt vmcnt(0)
	ds_write_b32 v1, v2 offset:4096
.LBB70_30:
	s_or_b64 exec, exec, s[4:5]
	v_or_b32_e32 v18, 0x500, v0
	v_mov_b32_e32 v19, 0
	v_cmp_le_u32_e32 vcc, s22, v18
	s_and_saveexec_b64 s[4:5], vcc
	s_xor_b64 s[4:5], exec, s[4:5]
	s_cbranch_execz .LBB70_34
; %bb.31:
	v_cmp_gt_u64_e32 vcc, s[2:3], v[18:19]
	s_and_saveexec_b64 s[6:7], vcc
	s_cbranch_execz .LBB70_33
; %bb.32:
	v_mov_b32_e32 v3, s23
	v_subrev_co_u32_e32 v2, vcc, s22, v18
	v_subb_co_u32_e32 v3, vcc, 0, v3, vcc
	v_lshlrev_b64 v[2:3], 2, v[2:3]
	v_mov_b32_e32 v4, s10
	v_add_co_u32_e32 v2, vcc, s9, v2
	v_addc_co_u32_e32 v3, vcc, v4, v3, vcc
	global_load_dword v2, v[2:3], off
	s_waitcnt vmcnt(0)
	ds_write_b32 v1, v2 offset:5120
.LBB70_33:
	s_or_b64 exec, exec, s[6:7]
.LBB70_34:
	s_andn2_saveexec_b64 s[4:5], s[4:5]
	s_cbranch_execz .LBB70_36
; %bb.35:
	v_lshlrev_b32_e32 v2, 2, v18
	global_load_dword v2, v2, s[0:1]
	s_waitcnt vmcnt(0)
	ds_write_b32 v1, v2 offset:5120
.LBB70_36:
	s_or_b64 exec, exec, s[4:5]
	v_or_b32_e32 v20, 0x600, v0
	v_mov_b32_e32 v21, 0
	v_cmp_le_u32_e32 vcc, s22, v20
	s_and_saveexec_b64 s[4:5], vcc
	s_xor_b64 s[4:5], exec, s[4:5]
	s_cbranch_execz .LBB70_40
; %bb.37:
	v_cmp_gt_u64_e32 vcc, s[2:3], v[20:21]
	s_and_saveexec_b64 s[6:7], vcc
	s_cbranch_execz .LBB70_39
; %bb.38:
	v_mov_b32_e32 v3, s23
	v_subrev_co_u32_e32 v2, vcc, s22, v20
	v_subb_co_u32_e32 v3, vcc, 0, v3, vcc
	v_lshlrev_b64 v[2:3], 2, v[2:3]
	v_mov_b32_e32 v4, s10
	v_add_co_u32_e32 v2, vcc, s9, v2
	v_addc_co_u32_e32 v3, vcc, v4, v3, vcc
	global_load_dword v2, v[2:3], off
	s_waitcnt vmcnt(0)
	ds_write_b32 v1, v2 offset:6144
.LBB70_39:
	s_or_b64 exec, exec, s[6:7]
.LBB70_40:
	s_andn2_saveexec_b64 s[4:5], s[4:5]
	s_cbranch_execz .LBB70_42
; %bb.41:
	v_lshlrev_b32_e32 v2, 2, v20
	global_load_dword v2, v2, s[0:1]
	s_waitcnt vmcnt(0)
	ds_write_b32 v1, v2 offset:6144
.LBB70_42:
	s_or_b64 exec, exec, s[4:5]
	v_or_b32_e32 v22, 0x700, v0
	v_mov_b32_e32 v23, 0
	v_cmp_le_u32_e32 vcc, s22, v22
	s_and_saveexec_b64 s[4:5], vcc
	s_xor_b64 s[4:5], exec, s[4:5]
	s_cbranch_execz .LBB70_46
; %bb.43:
	v_cmp_gt_u64_e32 vcc, s[2:3], v[22:23]
	s_and_saveexec_b64 s[6:7], vcc
	s_cbranch_execz .LBB70_45
; %bb.44:
	v_mov_b32_e32 v3, s23
	v_subrev_co_u32_e32 v2, vcc, s22, v22
	v_subb_co_u32_e32 v3, vcc, 0, v3, vcc
	v_lshlrev_b64 v[2:3], 2, v[2:3]
	v_mov_b32_e32 v4, s10
	v_add_co_u32_e32 v2, vcc, s9, v2
	v_addc_co_u32_e32 v3, vcc, v4, v3, vcc
	global_load_dword v2, v[2:3], off
	s_waitcnt vmcnt(0)
	ds_write_b32 v1, v2 offset:7168
.LBB70_45:
	s_or_b64 exec, exec, s[6:7]
.LBB70_46:
	s_andn2_saveexec_b64 s[4:5], s[4:5]
	s_cbranch_execz .LBB70_48
; %bb.47:
	v_lshlrev_b32_e32 v2, 2, v22
	global_load_dword v2, v2, s[0:1]
	s_waitcnt vmcnt(0)
	ds_write_b32 v1, v2 offset:7168
.LBB70_48:
	s_or_b64 exec, exec, s[4:5]
	v_or_b32_e32 v24, 0x800, v0
	v_mov_b32_e32 v25, 0
	v_cmp_le_u32_e32 vcc, s22, v24
	s_and_saveexec_b64 s[4:5], vcc
	s_xor_b64 s[4:5], exec, s[4:5]
	s_cbranch_execz .LBB70_52
; %bb.49:
	v_cmp_gt_u64_e32 vcc, s[2:3], v[24:25]
	s_and_saveexec_b64 s[6:7], vcc
	s_cbranch_execz .LBB70_51
; %bb.50:
	v_mov_b32_e32 v3, s23
	v_subrev_co_u32_e32 v2, vcc, s22, v24
	v_subb_co_u32_e32 v3, vcc, 0, v3, vcc
	v_lshlrev_b64 v[2:3], 2, v[2:3]
	v_mov_b32_e32 v4, s10
	v_add_co_u32_e32 v2, vcc, s9, v2
	v_addc_co_u32_e32 v3, vcc, v4, v3, vcc
	global_load_dword v2, v[2:3], off
	s_waitcnt vmcnt(0)
	ds_write_b32 v1, v2 offset:8192
.LBB70_51:
	s_or_b64 exec, exec, s[6:7]
.LBB70_52:
	s_andn2_saveexec_b64 s[4:5], s[4:5]
	s_cbranch_execz .LBB70_54
; %bb.53:
	v_lshlrev_b32_e32 v2, 2, v24
	global_load_dword v2, v2, s[0:1]
	s_waitcnt vmcnt(0)
	ds_write_b32 v1, v2 offset:8192
.LBB70_54:
	s_or_b64 exec, exec, s[4:5]
	v_or_b32_e32 v26, 0x900, v0
	v_mov_b32_e32 v27, 0
	v_cmp_le_u32_e32 vcc, s22, v26
	s_and_saveexec_b64 s[4:5], vcc
	s_xor_b64 s[4:5], exec, s[4:5]
	s_cbranch_execz .LBB70_58
; %bb.55:
	v_cmp_gt_u64_e32 vcc, s[2:3], v[26:27]
	s_and_saveexec_b64 s[2:3], vcc
	s_cbranch_execz .LBB70_57
; %bb.56:
	v_mov_b32_e32 v3, s23
	v_subrev_co_u32_e32 v2, vcc, s22, v26
	v_subb_co_u32_e32 v3, vcc, 0, v3, vcc
	v_lshlrev_b64 v[2:3], 2, v[2:3]
	v_mov_b32_e32 v4, s10
	v_add_co_u32_e32 v2, vcc, s9, v2
	v_addc_co_u32_e32 v3, vcc, v4, v3, vcc
	global_load_dword v2, v[2:3], off
	s_waitcnt vmcnt(0)
	ds_write_b32 v1, v2 offset:9216
.LBB70_57:
	s_or_b64 exec, exec, s[2:3]
.LBB70_58:
	s_andn2_saveexec_b64 s[2:3], s[4:5]
	s_cbranch_execz .LBB70_60
; %bb.59:
	v_lshlrev_b32_e32 v2, 2, v26
	global_load_dword v2, v2, s[0:1]
	s_waitcnt vmcnt(0)
	ds_write_b32 v1, v2 offset:9216
.LBB70_60:
	s_or_b64 exec, exec, s[2:3]
	v_mul_u32_u24_e32 v2, 10, v0
	v_sub_u32_e64 v13, v2, s8 clamp
	v_min_u32_e32 v3, s22, v2
	v_cmp_lt_u32_e32 vcc, v13, v3
	v_lshlrev_b32_e32 v11, 2, v2
	s_waitcnt lgkmcnt(0)
	s_barrier
	s_and_saveexec_b64 s[0:1], vcc
	s_cbranch_execz .LBB70_64
; %bb.61:
	v_lshl_add_u32 v4, s22, 2, v11
	s_mov_b64 s[2:3], 0
.LBB70_62:                              ; =>This Inner Loop Header: Depth=1
	v_add_u32_e32 v5, v3, v13
	v_lshrrev_b32_e32 v5, 1, v5
	v_not_b32_e32 v6, v5
	v_lshlrev_b32_e32 v7, 2, v5
	v_lshl_add_u32 v6, v6, 2, v4
	ds_read_b32 v7, v7
	ds_read_b32 v6, v6
	v_add_u32_e32 v8, 1, v5
	s_waitcnt lgkmcnt(0)
	v_cmp_lt_f32_e32 vcc, v6, v7
	v_cndmask_b32_e32 v3, v3, v5, vcc
	v_cndmask_b32_e32 v13, v8, v13, vcc
	v_cmp_ge_u32_e32 vcc, v13, v3
	s_or_b64 s[2:3], vcc, s[2:3]
	s_andn2_b64 exec, exec, s[2:3]
	s_cbranch_execnz .LBB70_62
; %bb.63:
	s_or_b64 exec, exec, s[2:3]
.LBB70_64:
	s_or_b64 exec, exec, s[0:1]
	v_add_u32_e32 v2, s22, v2
	s_add_i32 s23, s8, s22
	v_sub_u32_e32 v15, v2, v13
	v_cmp_ge_u32_e32 vcc, s22, v13
	v_cmp_ge_u32_e64 s[0:1], s23, v15
	s_or_b64 s[0:1], vcc, s[0:1]
                                        ; implicit-def: $vgpr31
                                        ; implicit-def: $vgpr33
                                        ; implicit-def: $vgpr29
	s_and_saveexec_b64 s[16:17], s[0:1]
                                        ; implicit-def: $vgpr6_vgpr7_vgpr8_vgpr9
                                        ; implicit-def: $vgpr2_vgpr3_vgpr4_vgpr5
	s_cbranch_execz .LBB70_70
; %bb.65:
	v_cmp_gt_u32_e32 vcc, s22, v13
                                        ; implicit-def: $vgpr2
	s_and_saveexec_b64 s[0:1], vcc
	s_cbranch_execz .LBB70_67
; %bb.66:
	v_lshlrev_b32_e32 v2, 2, v13
	ds_read_b32 v2, v2
.LBB70_67:
	s_or_b64 exec, exec, s[0:1]
	v_cmp_le_u32_e64 s[0:1], s23, v15
	v_cmp_gt_u32_e64 s[2:3], s23, v15
                                        ; implicit-def: $vgpr3
	s_and_saveexec_b64 s[4:5], s[2:3]
	s_cbranch_execz .LBB70_69
; %bb.68:
	v_lshlrev_b32_e32 v3, 2, v15
	ds_read_b32 v3, v3
.LBB70_69:
	s_or_b64 exec, exec, s[4:5]
	s_waitcnt lgkmcnt(0)
	v_cmp_nlt_f32_e64 s[2:3], v3, v2
	s_and_b64 s[2:3], vcc, s[2:3]
	s_or_b64 vcc, s[0:1], s[2:3]
	v_mov_b32_e32 v5, s23
	v_mov_b32_e32 v7, s22
	v_cndmask_b32_e32 v4, v15, v13, vcc
	v_cndmask_b32_e32 v6, v5, v7, vcc
	v_add_u32_e32 v4, 1, v4
	v_add_u32_e32 v6, -1, v6
	v_min_u32_e32 v6, v4, v6
	v_lshlrev_b32_e32 v6, 2, v6
	ds_read_b32 v6, v6
	v_cndmask_b32_e32 v9, v4, v15, vcc
	v_cndmask_b32_e32 v4, v13, v4, vcc
	v_cmp_gt_u32_e64 s[2:3], s22, v4
	v_cmp_le_u32_e64 s[0:1], s23, v9
	s_waitcnt lgkmcnt(0)
	v_cndmask_b32_e32 v8, v6, v3, vcc
	v_cndmask_b32_e32 v6, v2, v6, vcc
	v_cmp_nlt_f32_e64 s[4:5], v8, v6
	s_and_b64 s[2:3], s[2:3], s[4:5]
	s_or_b64 s[0:1], s[0:1], s[2:3]
	v_cndmask_b32_e64 v13, v9, v4, s[0:1]
	v_cndmask_b32_e64 v15, v5, v7, s[0:1]
	v_add_u32_e32 v13, 1, v13
	v_add_u32_e32 v15, -1, v15
	v_min_u32_e32 v15, v13, v15
	v_lshlrev_b32_e32 v15, 2, v15
	ds_read_b32 v15, v15
	v_cndmask_b32_e64 v4, v4, v13, s[0:1]
	v_cndmask_b32_e64 v9, v13, v9, s[0:1]
	v_cmp_gt_u32_e64 s[4:5], s22, v4
	v_cmp_le_u32_e64 s[2:3], s23, v9
	s_waitcnt lgkmcnt(0)
	v_cndmask_b32_e64 v17, v15, v8, s[0:1]
	v_cndmask_b32_e64 v15, v6, v15, s[0:1]
	v_cmp_nlt_f32_e64 s[6:7], v17, v15
	s_and_b64 s[4:5], s[4:5], s[6:7]
	s_or_b64 s[2:3], s[2:3], s[4:5]
	v_cndmask_b32_e64 v13, v9, v4, s[2:3]
	v_cndmask_b32_e64 v19, v5, v7, s[2:3]
	v_add_u32_e32 v13, 1, v13
	v_add_u32_e32 v19, -1, v19
	v_min_u32_e32 v19, v13, v19
	v_lshlrev_b32_e32 v19, 2, v19
	ds_read_b32 v19, v19
	v_cndmask_b32_e64 v4, v4, v13, s[2:3]
	v_cndmask_b32_e64 v9, v13, v9, s[2:3]
	v_cmp_gt_u32_e64 s[6:7], s22, v4
	v_cmp_le_u32_e64 s[4:5], s23, v9
	s_waitcnt lgkmcnt(0)
	v_cndmask_b32_e64 v21, v19, v17, s[2:3]
	v_cndmask_b32_e64 v19, v15, v19, s[2:3]
	v_cmp_nlt_f32_e64 s[8:9], v21, v19
	s_and_b64 s[6:7], s[6:7], s[8:9]
	s_or_b64 s[4:5], s[4:5], s[6:7]
	v_cndmask_b32_e64 v13, v9, v4, s[4:5]
	v_cndmask_b32_e64 v23, v5, v7, s[4:5]
	v_add_u32_e32 v13, 1, v13
	v_add_u32_e32 v23, -1, v23
	v_min_u32_e32 v23, v13, v23
	v_lshlrev_b32_e32 v23, 2, v23
	ds_read_b32 v23, v23
	v_cndmask_b32_e64 v4, v4, v13, s[4:5]
	v_cndmask_b32_e64 v9, v13, v9, s[4:5]
	v_cmp_gt_u32_e64 s[8:9], s22, v4
	v_cmp_le_u32_e64 s[6:7], s23, v9
	s_waitcnt lgkmcnt(0)
	v_cndmask_b32_e64 v25, v23, v21, s[4:5]
	v_cndmask_b32_e64 v23, v19, v23, s[4:5]
	v_cmp_nlt_f32_e64 s[10:11], v25, v23
	s_and_b64 s[8:9], s[8:9], s[10:11]
	s_or_b64 s[6:7], s[6:7], s[8:9]
	v_cndmask_b32_e64 v13, v9, v4, s[6:7]
	v_cndmask_b32_e64 v27, v5, v7, s[6:7]
	v_add_u32_e32 v13, 1, v13
	v_add_u32_e32 v27, -1, v27
	v_min_u32_e32 v27, v13, v27
	v_lshlrev_b32_e32 v27, 2, v27
	ds_read_b32 v27, v27
	v_cndmask_b32_e64 v4, v4, v13, s[6:7]
	v_cndmask_b32_e64 v9, v13, v9, s[6:7]
	v_cmp_gt_u32_e64 s[10:11], s22, v4
	v_cmp_le_u32_e64 s[8:9], s23, v9
	s_waitcnt lgkmcnt(0)
	v_cndmask_b32_e64 v30, v27, v25, s[6:7]
	v_cndmask_b32_e64 v27, v23, v27, s[6:7]
	v_cmp_nlt_f32_e64 s[12:13], v30, v27
	s_and_b64 s[10:11], s[10:11], s[12:13]
	s_or_b64 s[8:9], s[8:9], s[10:11]
	v_cndmask_b32_e64 v13, v9, v4, s[8:9]
	v_cndmask_b32_e64 v28, v5, v7, s[8:9]
	v_add_u32_e32 v13, 1, v13
	v_add_u32_e32 v28, -1, v28
	v_min_u32_e32 v28, v13, v28
	v_lshlrev_b32_e32 v28, 2, v28
	ds_read_b32 v28, v28
	v_cndmask_b32_e64 v4, v4, v13, s[8:9]
	v_cndmask_b32_e64 v9, v13, v9, s[8:9]
	v_cmp_gt_u32_e64 s[12:13], s22, v4
	v_cmp_le_u32_e64 s[10:11], s23, v9
	s_waitcnt lgkmcnt(0)
	v_cndmask_b32_e64 v31, v28, v30, s[8:9]
	v_cndmask_b32_e64 v32, v27, v28, s[8:9]
	v_cmp_nlt_f32_e64 s[14:15], v31, v32
	s_and_b64 s[12:13], s[12:13], s[14:15]
	s_or_b64 s[10:11], s[10:11], s[12:13]
	v_cndmask_b32_e64 v13, v9, v4, s[10:11]
	v_cndmask_b32_e64 v28, v5, v7, s[10:11]
	v_add_u32_e32 v13, 1, v13
	v_add_u32_e32 v28, -1, v28
	v_min_u32_e32 v28, v13, v28
	v_lshlrev_b32_e32 v28, 2, v28
	ds_read_b32 v28, v28
	v_cndmask_b32_e64 v4, v4, v13, s[10:11]
	v_cndmask_b32_e64 v9, v13, v9, s[10:11]
	v_cmp_gt_u32_e64 s[12:13], s22, v4
	v_cndmask_b32_e32 v2, v3, v2, vcc
	s_waitcnt lgkmcnt(0)
	v_cndmask_b32_e64 v33, v28, v31, s[10:11]
	v_cndmask_b32_e64 v34, v32, v28, s[10:11]
	v_cmp_nlt_f32_e64 s[14:15], v33, v34
	v_cmp_le_u32_e32 vcc, s23, v9
	s_and_b64 s[12:13], s[12:13], s[14:15]
	s_or_b64 vcc, vcc, s[12:13]
	v_cndmask_b32_e32 v3, v9, v4, vcc
	v_cndmask_b32_e32 v13, v5, v7, vcc
	v_add_u32_e32 v35, 1, v3
	v_add_u32_e32 v3, -1, v13
	v_min_u32_e32 v3, v35, v3
	v_lshlrev_b32_e32 v3, 2, v3
	ds_read_b32 v13, v3
	v_cndmask_b32_e64 v3, v8, v6, s[0:1]
	v_cndmask_b32_e32 v4, v4, v35, vcc
	v_cndmask_b32_e64 v28, v17, v15, s[2:3]
	v_cndmask_b32_e64 v29, v21, v19, s[4:5]
	s_waitcnt lgkmcnt(0)
	v_cndmask_b32_e32 v8, v13, v33, vcc
	v_cndmask_b32_e32 v13, v34, v13, vcc
	;; [unrolled: 1-line block ×3, first 2 shown]
	v_cmp_gt_u32_e64 s[2:3], s22, v4
	v_cmp_nlt_f32_e64 s[4:5], v8, v13
	v_cmp_le_u32_e64 s[0:1], s23, v9
	s_and_b64 s[2:3], s[2:3], s[4:5]
	s_or_b64 s[0:1], s[0:1], s[2:3]
	v_cndmask_b32_e64 v15, v9, v4, s[0:1]
	v_cndmask_b32_e64 v5, v5, v7, s[0:1]
	v_add_u32_e32 v15, 1, v15
	v_add_u32_e32 v5, -1, v5
	v_min_u32_e32 v5, v15, v5
	v_lshlrev_b32_e32 v5, 2, v5
	ds_read_b32 v5, v5
	v_cndmask_b32_e64 v7, v30, v27, s[8:9]
	v_cndmask_b32_e64 v30, v8, v13, s[0:1]
	;; [unrolled: 1-line block ×4, first 2 shown]
	s_waitcnt lgkmcnt(0)
	v_cndmask_b32_e64 v8, v5, v8, s[0:1]
	v_cndmask_b32_e64 v5, v13, v5, s[0:1]
	v_cmp_gt_u32_e64 s[0:1], s22, v4
	v_cmp_nlt_f32_e64 s[2:3], v8, v5
	v_cndmask_b32_e32 v33, v33, v34, vcc
	v_cmp_le_u32_e32 vcc, s23, v9
	s_and_b64 s[0:1], s[0:1], s[2:3]
	s_or_b64 vcc, vcc, s[0:1]
	v_cndmask_b32_e64 v6, v25, v23, s[6:7]
	v_cndmask_b32_e64 v32, v31, v32, s[10:11]
	v_cndmask_b32_e32 v31, v8, v5, vcc
.LBB70_70:
	s_or_b64 exec, exec, s[16:17]
	s_sub_i32 s6, s21, s20
	s_mov_b32 s21, 0
	s_lshl_b64 s[0:1], s[20:21], 2
	s_add_u32 s0, s18, s0
	s_addc_u32 s1, s19, s1
	s_cmpk_gt_u32 s6, 0x9ff
	s_barrier
	ds_write2_b64 v11, v[2:3], v[28:29] offset1:1
	ds_write2_b64 v11, v[6:7], v[32:33] offset0:2 offset1:3
	ds_write_b64 v11, v[30:31] offset:32
	s_waitcnt lgkmcnt(0)
	s_cbranch_scc0 .LBB70_72
; %bb.71:
	s_movk_i32 s2, 0xffdc
	v_mad_i32_i24 v2, v0, s2, v11
	s_barrier
	ds_read2st64_b32 v[4:5], v2 offset1:4
	ds_read2st64_b32 v[6:7], v2 offset0:8 offset1:12
	ds_read2st64_b32 v[8:9], v2 offset0:16 offset1:20
	;; [unrolled: 1-line block ×4, first 2 shown]
	v_mov_b32_e32 v13, s1
	v_add_co_u32_e32 v15, vcc, s0, v1
	v_addc_co_u32_e32 v13, vcc, 0, v13, vcc
	s_movk_i32 s2, 0x1000
	s_waitcnt lgkmcnt(4)
	global_store_dword v1, v4, s[0:1]
	global_store_dword v1, v5, s[0:1] offset:1024
	s_waitcnt lgkmcnt(3)
	global_store_dword v1, v6, s[0:1] offset:2048
	global_store_dword v1, v7, s[0:1] offset:3072
	v_add_co_u32_e32 v4, vcc, s2, v15
	v_addc_co_u32_e32 v5, vcc, 0, v13, vcc
	s_waitcnt lgkmcnt(2)
	global_store_dword v[4:5], v8, off
	global_store_dword v[4:5], v9, off offset:1024
	s_waitcnt lgkmcnt(1)
	global_store_dword v[4:5], v28, off offset:2048
	global_store_dword v[4:5], v29, off offset:3072
	v_add_co_u32_e32 v4, vcc, 0x2000, v15
	v_addc_co_u32_e32 v5, vcc, 0, v13, vcc
	s_waitcnt lgkmcnt(0)
	global_store_dword v[4:5], v2, off
	s_mov_b64 s[2:3], -1
	s_cbranch_execz .LBB70_73
	s_branch .LBB70_84
.LBB70_72:
	s_mov_b64 s[2:3], 0
                                        ; implicit-def: $vgpr3
.LBB70_73:
	s_movk_i32 s2, 0xffdc
	v_mad_i32_i24 v2, v0, s2, v11
	s_barrier
	ds_read2st64_b32 v[30:31], v2 offset0:4 offset1:8
	ds_read2st64_b32 v[28:29], v2 offset0:12 offset1:16
	ds_read2st64_b32 v[8:9], v2 offset0:20 offset1:24
	ds_read2st64_b32 v[4:5], v2 offset0:28 offset1:32
	ds_read_b32 v3, v2 offset:9216
	v_mov_b32_e32 v2, s1
	v_add_co_u32_e32 v6, vcc, s0, v1
	v_addc_co_u32_e32 v7, vcc, 0, v2, vcc
	v_cmp_gt_u32_e32 vcc, s6, v0
	s_and_saveexec_b64 s[2:3], vcc
	s_cbranch_execnz .LBB70_87
; %bb.74:
	s_or_b64 exec, exec, s[2:3]
	v_cmp_gt_u32_e32 vcc, s6, v10
	s_and_saveexec_b64 s[2:3], vcc
	s_cbranch_execnz .LBB70_88
.LBB70_75:
	s_or_b64 exec, exec, s[2:3]
	v_cmp_gt_u32_e32 vcc, s6, v12
	s_and_saveexec_b64 s[2:3], vcc
	s_cbranch_execnz .LBB70_89
.LBB70_76:
	s_or_b64 exec, exec, s[2:3]
	v_cmp_gt_u32_e32 vcc, s6, v14
	s_and_saveexec_b64 s[2:3], vcc
	s_cbranch_execnz .LBB70_90
.LBB70_77:
	s_or_b64 exec, exec, s[2:3]
	v_cmp_gt_u32_e32 vcc, s6, v16
	s_and_saveexec_b64 s[2:3], vcc
	s_cbranch_execnz .LBB70_91
.LBB70_78:
	s_or_b64 exec, exec, s[2:3]
	v_cmp_gt_u32_e32 vcc, s6, v18
	s_and_saveexec_b64 s[2:3], vcc
	s_cbranch_execnz .LBB70_92
.LBB70_79:
	s_or_b64 exec, exec, s[2:3]
	v_cmp_gt_u32_e32 vcc, s6, v20
	s_and_saveexec_b64 s[2:3], vcc
	s_cbranch_execnz .LBB70_93
.LBB70_80:
	s_or_b64 exec, exec, s[2:3]
	v_cmp_gt_u32_e32 vcc, s6, v22
	s_and_saveexec_b64 s[2:3], vcc
	s_cbranch_execnz .LBB70_94
.LBB70_81:
	s_or_b64 exec, exec, s[2:3]
	v_cmp_gt_u32_e32 vcc, s6, v24
	s_and_saveexec_b64 s[2:3], vcc
	s_cbranch_execz .LBB70_83
.LBB70_82:
	v_add_co_u32_e32 v6, vcc, 0x2000, v6
	v_addc_co_u32_e32 v7, vcc, 0, v7, vcc
	s_waitcnt lgkmcnt(1)
	global_store_dword v[6:7], v5, off
.LBB70_83:
	s_or_b64 exec, exec, s[2:3]
	v_cmp_gt_u32_e64 s[2:3], s6, v26
.LBB70_84:
	s_and_saveexec_b64 s[4:5], s[2:3]
	s_cbranch_execnz .LBB70_86
; %bb.85:
	s_endpgm
.LBB70_86:
	v_mov_b32_e32 v0, s1
	v_add_co_u32_e32 v1, vcc, s0, v1
	v_addc_co_u32_e32 v2, vcc, 0, v0, vcc
	v_add_co_u32_e32 v0, vcc, 0x2000, v1
	v_addc_co_u32_e32 v1, vcc, 0, v2, vcc
	s_waitcnt lgkmcnt(0)
	global_store_dword v[0:1], v3, off offset:1024
	s_endpgm
.LBB70_87:
	v_mul_i32_i24_e32 v0, 0xffffffdc, v0
	v_add_u32_e32 v0, v11, v0
	ds_read_b32 v0, v0
	s_waitcnt lgkmcnt(0)
	global_store_dword v[6:7], v0, off
	s_or_b64 exec, exec, s[2:3]
	v_cmp_gt_u32_e32 vcc, s6, v10
	s_and_saveexec_b64 s[2:3], vcc
	s_cbranch_execz .LBB70_75
.LBB70_88:
	s_waitcnt lgkmcnt(4)
	global_store_dword v[6:7], v30, off offset:1024
	s_or_b64 exec, exec, s[2:3]
	v_cmp_gt_u32_e32 vcc, s6, v12
	s_and_saveexec_b64 s[2:3], vcc
	s_cbranch_execz .LBB70_76
.LBB70_89:
	s_waitcnt lgkmcnt(4)
	global_store_dword v[6:7], v31, off offset:2048
	s_or_b64 exec, exec, s[2:3]
	v_cmp_gt_u32_e32 vcc, s6, v14
	s_and_saveexec_b64 s[2:3], vcc
	s_cbranch_execz .LBB70_77
.LBB70_90:
	s_waitcnt lgkmcnt(3)
	global_store_dword v[6:7], v28, off offset:3072
	s_or_b64 exec, exec, s[2:3]
	v_cmp_gt_u32_e32 vcc, s6, v16
	s_and_saveexec_b64 s[2:3], vcc
	s_cbranch_execz .LBB70_78
.LBB70_91:
	v_add_co_u32_e32 v10, vcc, 0x1000, v6
	v_addc_co_u32_e32 v11, vcc, 0, v7, vcc
	s_waitcnt lgkmcnt(3)
	global_store_dword v[10:11], v29, off
	s_or_b64 exec, exec, s[2:3]
	v_cmp_gt_u32_e32 vcc, s6, v18
	s_and_saveexec_b64 s[2:3], vcc
	s_cbranch_execz .LBB70_79
.LBB70_92:
	v_add_co_u32_e32 v10, vcc, 0x1000, v6
	v_addc_co_u32_e32 v11, vcc, 0, v7, vcc
	s_waitcnt lgkmcnt(2)
	global_store_dword v[10:11], v8, off offset:1024
	s_or_b64 exec, exec, s[2:3]
	v_cmp_gt_u32_e32 vcc, s6, v20
	s_and_saveexec_b64 s[2:3], vcc
	s_cbranch_execz .LBB70_80
.LBB70_93:
	v_add_co_u32_e32 v10, vcc, 0x1000, v6
	v_addc_co_u32_e32 v11, vcc, 0, v7, vcc
	s_waitcnt lgkmcnt(2)
	global_store_dword v[10:11], v9, off offset:2048
	s_or_b64 exec, exec, s[2:3]
	v_cmp_gt_u32_e32 vcc, s6, v22
	s_and_saveexec_b64 s[2:3], vcc
	s_cbranch_execz .LBB70_81
.LBB70_94:
	s_waitcnt lgkmcnt(2)
	v_add_co_u32_e32 v8, vcc, 0x1000, v6
	v_addc_co_u32_e32 v9, vcc, 0, v7, vcc
	s_waitcnt lgkmcnt(1)
	global_store_dword v[8:9], v4, off offset:3072
	s_or_b64 exec, exec, s[2:3]
	v_cmp_gt_u32_e32 vcc, s6, v24
	s_and_saveexec_b64 s[2:3], vcc
	s_cbranch_execnz .LBB70_82
	s_branch .LBB70_83
	.section	.rodata,"a",@progbits
	.p2align	6, 0x0
	.amdhsa_kernel _ZN7rocprim17ROCPRIM_400000_NS6detail17trampoline_kernelINS0_14default_configENS1_21merge_config_selectorIfNS0_10empty_typeEEEZNS1_10merge_implIS3_N6thrust23THRUST_200600_302600_NS6detail15normal_iteratorINS9_10device_ptrIKfEEEESF_NSB_INSC_IfEEEEPS5_SI_SI_NS9_4lessIfEEEE10hipError_tPvRmT0_T1_T2_T3_T4_T5_mmT6_P12ihipStream_tbEUlT_E0_NS1_11comp_targetILNS1_3genE4ELNS1_11target_archE910ELNS1_3gpuE8ELNS1_3repE0EEENS1_30default_config_static_selectorELNS0_4arch9wavefront6targetE1EEEvSP_
		.amdhsa_group_segment_fixed_size 10256
		.amdhsa_private_segment_fixed_size 0
		.amdhsa_kernarg_size 88
		.amdhsa_user_sgpr_count 6
		.amdhsa_user_sgpr_private_segment_buffer 1
		.amdhsa_user_sgpr_dispatch_ptr 0
		.amdhsa_user_sgpr_queue_ptr 0
		.amdhsa_user_sgpr_kernarg_segment_ptr 1
		.amdhsa_user_sgpr_dispatch_id 0
		.amdhsa_user_sgpr_flat_scratch_init 0
		.amdhsa_user_sgpr_kernarg_preload_length 0
		.amdhsa_user_sgpr_kernarg_preload_offset 0
		.amdhsa_user_sgpr_private_segment_size 0
		.amdhsa_uses_dynamic_stack 0
		.amdhsa_system_sgpr_private_segment_wavefront_offset 0
		.amdhsa_system_sgpr_workgroup_id_x 1
		.amdhsa_system_sgpr_workgroup_id_y 0
		.amdhsa_system_sgpr_workgroup_id_z 0
		.amdhsa_system_sgpr_workgroup_info 0
		.amdhsa_system_vgpr_workitem_id 0
		.amdhsa_next_free_vgpr 36
		.amdhsa_next_free_sgpr 24
		.amdhsa_accum_offset 36
		.amdhsa_reserve_vcc 1
		.amdhsa_reserve_flat_scratch 0
		.amdhsa_float_round_mode_32 0
		.amdhsa_float_round_mode_16_64 0
		.amdhsa_float_denorm_mode_32 3
		.amdhsa_float_denorm_mode_16_64 3
		.amdhsa_dx10_clamp 1
		.amdhsa_ieee_mode 1
		.amdhsa_fp16_overflow 0
		.amdhsa_tg_split 0
		.amdhsa_exception_fp_ieee_invalid_op 0
		.amdhsa_exception_fp_denorm_src 0
		.amdhsa_exception_fp_ieee_div_zero 0
		.amdhsa_exception_fp_ieee_overflow 0
		.amdhsa_exception_fp_ieee_underflow 0
		.amdhsa_exception_fp_ieee_inexact 0
		.amdhsa_exception_int_div_zero 0
	.end_amdhsa_kernel
	.section	.text._ZN7rocprim17ROCPRIM_400000_NS6detail17trampoline_kernelINS0_14default_configENS1_21merge_config_selectorIfNS0_10empty_typeEEEZNS1_10merge_implIS3_N6thrust23THRUST_200600_302600_NS6detail15normal_iteratorINS9_10device_ptrIKfEEEESF_NSB_INSC_IfEEEEPS5_SI_SI_NS9_4lessIfEEEE10hipError_tPvRmT0_T1_T2_T3_T4_T5_mmT6_P12ihipStream_tbEUlT_E0_NS1_11comp_targetILNS1_3genE4ELNS1_11target_archE910ELNS1_3gpuE8ELNS1_3repE0EEENS1_30default_config_static_selectorELNS0_4arch9wavefront6targetE1EEEvSP_,"axG",@progbits,_ZN7rocprim17ROCPRIM_400000_NS6detail17trampoline_kernelINS0_14default_configENS1_21merge_config_selectorIfNS0_10empty_typeEEEZNS1_10merge_implIS3_N6thrust23THRUST_200600_302600_NS6detail15normal_iteratorINS9_10device_ptrIKfEEEESF_NSB_INSC_IfEEEEPS5_SI_SI_NS9_4lessIfEEEE10hipError_tPvRmT0_T1_T2_T3_T4_T5_mmT6_P12ihipStream_tbEUlT_E0_NS1_11comp_targetILNS1_3genE4ELNS1_11target_archE910ELNS1_3gpuE8ELNS1_3repE0EEENS1_30default_config_static_selectorELNS0_4arch9wavefront6targetE1EEEvSP_,comdat
.Lfunc_end70:
	.size	_ZN7rocprim17ROCPRIM_400000_NS6detail17trampoline_kernelINS0_14default_configENS1_21merge_config_selectorIfNS0_10empty_typeEEEZNS1_10merge_implIS3_N6thrust23THRUST_200600_302600_NS6detail15normal_iteratorINS9_10device_ptrIKfEEEESF_NSB_INSC_IfEEEEPS5_SI_SI_NS9_4lessIfEEEE10hipError_tPvRmT0_T1_T2_T3_T4_T5_mmT6_P12ihipStream_tbEUlT_E0_NS1_11comp_targetILNS1_3genE4ELNS1_11target_archE910ELNS1_3gpuE8ELNS1_3repE0EEENS1_30default_config_static_selectorELNS0_4arch9wavefront6targetE1EEEvSP_, .Lfunc_end70-_ZN7rocprim17ROCPRIM_400000_NS6detail17trampoline_kernelINS0_14default_configENS1_21merge_config_selectorIfNS0_10empty_typeEEEZNS1_10merge_implIS3_N6thrust23THRUST_200600_302600_NS6detail15normal_iteratorINS9_10device_ptrIKfEEEESF_NSB_INSC_IfEEEEPS5_SI_SI_NS9_4lessIfEEEE10hipError_tPvRmT0_T1_T2_T3_T4_T5_mmT6_P12ihipStream_tbEUlT_E0_NS1_11comp_targetILNS1_3genE4ELNS1_11target_archE910ELNS1_3gpuE8ELNS1_3repE0EEENS1_30default_config_static_selectorELNS0_4arch9wavefront6targetE1EEEvSP_
                                        ; -- End function
	.section	.AMDGPU.csdata,"",@progbits
; Kernel info:
; codeLenInByte = 3580
; NumSgprs: 28
; NumVgprs: 36
; NumAgprs: 0
; TotalNumVgprs: 36
; ScratchSize: 0
; MemoryBound: 0
; FloatMode: 240
; IeeeMode: 1
; LDSByteSize: 10256 bytes/workgroup (compile time only)
; SGPRBlocks: 3
; VGPRBlocks: 4
; NumSGPRsForWavesPerEU: 28
; NumVGPRsForWavesPerEU: 36
; AccumOffset: 36
; Occupancy: 6
; WaveLimiterHint : 1
; COMPUTE_PGM_RSRC2:SCRATCH_EN: 0
; COMPUTE_PGM_RSRC2:USER_SGPR: 6
; COMPUTE_PGM_RSRC2:TRAP_HANDLER: 0
; COMPUTE_PGM_RSRC2:TGID_X_EN: 1
; COMPUTE_PGM_RSRC2:TGID_Y_EN: 0
; COMPUTE_PGM_RSRC2:TGID_Z_EN: 0
; COMPUTE_PGM_RSRC2:TIDIG_COMP_CNT: 0
; COMPUTE_PGM_RSRC3_GFX90A:ACCUM_OFFSET: 8
; COMPUTE_PGM_RSRC3_GFX90A:TG_SPLIT: 0
	.section	.text._ZN7rocprim17ROCPRIM_400000_NS6detail17trampoline_kernelINS0_14default_configENS1_21merge_config_selectorIfNS0_10empty_typeEEEZNS1_10merge_implIS3_N6thrust23THRUST_200600_302600_NS6detail15normal_iteratorINS9_10device_ptrIKfEEEESF_NSB_INSC_IfEEEEPS5_SI_SI_NS9_4lessIfEEEE10hipError_tPvRmT0_T1_T2_T3_T4_T5_mmT6_P12ihipStream_tbEUlT_E0_NS1_11comp_targetILNS1_3genE3ELNS1_11target_archE908ELNS1_3gpuE7ELNS1_3repE0EEENS1_30default_config_static_selectorELNS0_4arch9wavefront6targetE1EEEvSP_,"axG",@progbits,_ZN7rocprim17ROCPRIM_400000_NS6detail17trampoline_kernelINS0_14default_configENS1_21merge_config_selectorIfNS0_10empty_typeEEEZNS1_10merge_implIS3_N6thrust23THRUST_200600_302600_NS6detail15normal_iteratorINS9_10device_ptrIKfEEEESF_NSB_INSC_IfEEEEPS5_SI_SI_NS9_4lessIfEEEE10hipError_tPvRmT0_T1_T2_T3_T4_T5_mmT6_P12ihipStream_tbEUlT_E0_NS1_11comp_targetILNS1_3genE3ELNS1_11target_archE908ELNS1_3gpuE7ELNS1_3repE0EEENS1_30default_config_static_selectorELNS0_4arch9wavefront6targetE1EEEvSP_,comdat
	.protected	_ZN7rocprim17ROCPRIM_400000_NS6detail17trampoline_kernelINS0_14default_configENS1_21merge_config_selectorIfNS0_10empty_typeEEEZNS1_10merge_implIS3_N6thrust23THRUST_200600_302600_NS6detail15normal_iteratorINS9_10device_ptrIKfEEEESF_NSB_INSC_IfEEEEPS5_SI_SI_NS9_4lessIfEEEE10hipError_tPvRmT0_T1_T2_T3_T4_T5_mmT6_P12ihipStream_tbEUlT_E0_NS1_11comp_targetILNS1_3genE3ELNS1_11target_archE908ELNS1_3gpuE7ELNS1_3repE0EEENS1_30default_config_static_selectorELNS0_4arch9wavefront6targetE1EEEvSP_ ; -- Begin function _ZN7rocprim17ROCPRIM_400000_NS6detail17trampoline_kernelINS0_14default_configENS1_21merge_config_selectorIfNS0_10empty_typeEEEZNS1_10merge_implIS3_N6thrust23THRUST_200600_302600_NS6detail15normal_iteratorINS9_10device_ptrIKfEEEESF_NSB_INSC_IfEEEEPS5_SI_SI_NS9_4lessIfEEEE10hipError_tPvRmT0_T1_T2_T3_T4_T5_mmT6_P12ihipStream_tbEUlT_E0_NS1_11comp_targetILNS1_3genE3ELNS1_11target_archE908ELNS1_3gpuE7ELNS1_3repE0EEENS1_30default_config_static_selectorELNS0_4arch9wavefront6targetE1EEEvSP_
	.globl	_ZN7rocprim17ROCPRIM_400000_NS6detail17trampoline_kernelINS0_14default_configENS1_21merge_config_selectorIfNS0_10empty_typeEEEZNS1_10merge_implIS3_N6thrust23THRUST_200600_302600_NS6detail15normal_iteratorINS9_10device_ptrIKfEEEESF_NSB_INSC_IfEEEEPS5_SI_SI_NS9_4lessIfEEEE10hipError_tPvRmT0_T1_T2_T3_T4_T5_mmT6_P12ihipStream_tbEUlT_E0_NS1_11comp_targetILNS1_3genE3ELNS1_11target_archE908ELNS1_3gpuE7ELNS1_3repE0EEENS1_30default_config_static_selectorELNS0_4arch9wavefront6targetE1EEEvSP_
	.p2align	8
	.type	_ZN7rocprim17ROCPRIM_400000_NS6detail17trampoline_kernelINS0_14default_configENS1_21merge_config_selectorIfNS0_10empty_typeEEEZNS1_10merge_implIS3_N6thrust23THRUST_200600_302600_NS6detail15normal_iteratorINS9_10device_ptrIKfEEEESF_NSB_INSC_IfEEEEPS5_SI_SI_NS9_4lessIfEEEE10hipError_tPvRmT0_T1_T2_T3_T4_T5_mmT6_P12ihipStream_tbEUlT_E0_NS1_11comp_targetILNS1_3genE3ELNS1_11target_archE908ELNS1_3gpuE7ELNS1_3repE0EEENS1_30default_config_static_selectorELNS0_4arch9wavefront6targetE1EEEvSP_,@function
_ZN7rocprim17ROCPRIM_400000_NS6detail17trampoline_kernelINS0_14default_configENS1_21merge_config_selectorIfNS0_10empty_typeEEEZNS1_10merge_implIS3_N6thrust23THRUST_200600_302600_NS6detail15normal_iteratorINS9_10device_ptrIKfEEEESF_NSB_INSC_IfEEEEPS5_SI_SI_NS9_4lessIfEEEE10hipError_tPvRmT0_T1_T2_T3_T4_T5_mmT6_P12ihipStream_tbEUlT_E0_NS1_11comp_targetILNS1_3genE3ELNS1_11target_archE908ELNS1_3gpuE7ELNS1_3repE0EEENS1_30default_config_static_selectorELNS0_4arch9wavefront6targetE1EEEvSP_: ; @_ZN7rocprim17ROCPRIM_400000_NS6detail17trampoline_kernelINS0_14default_configENS1_21merge_config_selectorIfNS0_10empty_typeEEEZNS1_10merge_implIS3_N6thrust23THRUST_200600_302600_NS6detail15normal_iteratorINS9_10device_ptrIKfEEEESF_NSB_INSC_IfEEEEPS5_SI_SI_NS9_4lessIfEEEE10hipError_tPvRmT0_T1_T2_T3_T4_T5_mmT6_P12ihipStream_tbEUlT_E0_NS1_11comp_targetILNS1_3genE3ELNS1_11target_archE908ELNS1_3gpuE7ELNS1_3repE0EEENS1_30default_config_static_selectorELNS0_4arch9wavefront6targetE1EEEvSP_
; %bb.0:
	.section	.rodata,"a",@progbits
	.p2align	6, 0x0
	.amdhsa_kernel _ZN7rocprim17ROCPRIM_400000_NS6detail17trampoline_kernelINS0_14default_configENS1_21merge_config_selectorIfNS0_10empty_typeEEEZNS1_10merge_implIS3_N6thrust23THRUST_200600_302600_NS6detail15normal_iteratorINS9_10device_ptrIKfEEEESF_NSB_INSC_IfEEEEPS5_SI_SI_NS9_4lessIfEEEE10hipError_tPvRmT0_T1_T2_T3_T4_T5_mmT6_P12ihipStream_tbEUlT_E0_NS1_11comp_targetILNS1_3genE3ELNS1_11target_archE908ELNS1_3gpuE7ELNS1_3repE0EEENS1_30default_config_static_selectorELNS0_4arch9wavefront6targetE1EEEvSP_
		.amdhsa_group_segment_fixed_size 0
		.amdhsa_private_segment_fixed_size 0
		.amdhsa_kernarg_size 88
		.amdhsa_user_sgpr_count 6
		.amdhsa_user_sgpr_private_segment_buffer 1
		.amdhsa_user_sgpr_dispatch_ptr 0
		.amdhsa_user_sgpr_queue_ptr 0
		.amdhsa_user_sgpr_kernarg_segment_ptr 1
		.amdhsa_user_sgpr_dispatch_id 0
		.amdhsa_user_sgpr_flat_scratch_init 0
		.amdhsa_user_sgpr_kernarg_preload_length 0
		.amdhsa_user_sgpr_kernarg_preload_offset 0
		.amdhsa_user_sgpr_private_segment_size 0
		.amdhsa_uses_dynamic_stack 0
		.amdhsa_system_sgpr_private_segment_wavefront_offset 0
		.amdhsa_system_sgpr_workgroup_id_x 1
		.amdhsa_system_sgpr_workgroup_id_y 0
		.amdhsa_system_sgpr_workgroup_id_z 0
		.amdhsa_system_sgpr_workgroup_info 0
		.amdhsa_system_vgpr_workitem_id 0
		.amdhsa_next_free_vgpr 1
		.amdhsa_next_free_sgpr 0
		.amdhsa_accum_offset 4
		.amdhsa_reserve_vcc 0
		.amdhsa_reserve_flat_scratch 0
		.amdhsa_float_round_mode_32 0
		.amdhsa_float_round_mode_16_64 0
		.amdhsa_float_denorm_mode_32 3
		.amdhsa_float_denorm_mode_16_64 3
		.amdhsa_dx10_clamp 1
		.amdhsa_ieee_mode 1
		.amdhsa_fp16_overflow 0
		.amdhsa_tg_split 0
		.amdhsa_exception_fp_ieee_invalid_op 0
		.amdhsa_exception_fp_denorm_src 0
		.amdhsa_exception_fp_ieee_div_zero 0
		.amdhsa_exception_fp_ieee_overflow 0
		.amdhsa_exception_fp_ieee_underflow 0
		.amdhsa_exception_fp_ieee_inexact 0
		.amdhsa_exception_int_div_zero 0
	.end_amdhsa_kernel
	.section	.text._ZN7rocprim17ROCPRIM_400000_NS6detail17trampoline_kernelINS0_14default_configENS1_21merge_config_selectorIfNS0_10empty_typeEEEZNS1_10merge_implIS3_N6thrust23THRUST_200600_302600_NS6detail15normal_iteratorINS9_10device_ptrIKfEEEESF_NSB_INSC_IfEEEEPS5_SI_SI_NS9_4lessIfEEEE10hipError_tPvRmT0_T1_T2_T3_T4_T5_mmT6_P12ihipStream_tbEUlT_E0_NS1_11comp_targetILNS1_3genE3ELNS1_11target_archE908ELNS1_3gpuE7ELNS1_3repE0EEENS1_30default_config_static_selectorELNS0_4arch9wavefront6targetE1EEEvSP_,"axG",@progbits,_ZN7rocprim17ROCPRIM_400000_NS6detail17trampoline_kernelINS0_14default_configENS1_21merge_config_selectorIfNS0_10empty_typeEEEZNS1_10merge_implIS3_N6thrust23THRUST_200600_302600_NS6detail15normal_iteratorINS9_10device_ptrIKfEEEESF_NSB_INSC_IfEEEEPS5_SI_SI_NS9_4lessIfEEEE10hipError_tPvRmT0_T1_T2_T3_T4_T5_mmT6_P12ihipStream_tbEUlT_E0_NS1_11comp_targetILNS1_3genE3ELNS1_11target_archE908ELNS1_3gpuE7ELNS1_3repE0EEENS1_30default_config_static_selectorELNS0_4arch9wavefront6targetE1EEEvSP_,comdat
.Lfunc_end71:
	.size	_ZN7rocprim17ROCPRIM_400000_NS6detail17trampoline_kernelINS0_14default_configENS1_21merge_config_selectorIfNS0_10empty_typeEEEZNS1_10merge_implIS3_N6thrust23THRUST_200600_302600_NS6detail15normal_iteratorINS9_10device_ptrIKfEEEESF_NSB_INSC_IfEEEEPS5_SI_SI_NS9_4lessIfEEEE10hipError_tPvRmT0_T1_T2_T3_T4_T5_mmT6_P12ihipStream_tbEUlT_E0_NS1_11comp_targetILNS1_3genE3ELNS1_11target_archE908ELNS1_3gpuE7ELNS1_3repE0EEENS1_30default_config_static_selectorELNS0_4arch9wavefront6targetE1EEEvSP_, .Lfunc_end71-_ZN7rocprim17ROCPRIM_400000_NS6detail17trampoline_kernelINS0_14default_configENS1_21merge_config_selectorIfNS0_10empty_typeEEEZNS1_10merge_implIS3_N6thrust23THRUST_200600_302600_NS6detail15normal_iteratorINS9_10device_ptrIKfEEEESF_NSB_INSC_IfEEEEPS5_SI_SI_NS9_4lessIfEEEE10hipError_tPvRmT0_T1_T2_T3_T4_T5_mmT6_P12ihipStream_tbEUlT_E0_NS1_11comp_targetILNS1_3genE3ELNS1_11target_archE908ELNS1_3gpuE7ELNS1_3repE0EEENS1_30default_config_static_selectorELNS0_4arch9wavefront6targetE1EEEvSP_
                                        ; -- End function
	.section	.AMDGPU.csdata,"",@progbits
; Kernel info:
; codeLenInByte = 0
; NumSgprs: 4
; NumVgprs: 0
; NumAgprs: 0
; TotalNumVgprs: 0
; ScratchSize: 0
; MemoryBound: 0
; FloatMode: 240
; IeeeMode: 1
; LDSByteSize: 0 bytes/workgroup (compile time only)
; SGPRBlocks: 0
; VGPRBlocks: 0
; NumSGPRsForWavesPerEU: 4
; NumVGPRsForWavesPerEU: 1
; AccumOffset: 4
; Occupancy: 8
; WaveLimiterHint : 0
; COMPUTE_PGM_RSRC2:SCRATCH_EN: 0
; COMPUTE_PGM_RSRC2:USER_SGPR: 6
; COMPUTE_PGM_RSRC2:TRAP_HANDLER: 0
; COMPUTE_PGM_RSRC2:TGID_X_EN: 1
; COMPUTE_PGM_RSRC2:TGID_Y_EN: 0
; COMPUTE_PGM_RSRC2:TGID_Z_EN: 0
; COMPUTE_PGM_RSRC2:TIDIG_COMP_CNT: 0
; COMPUTE_PGM_RSRC3_GFX90A:ACCUM_OFFSET: 0
; COMPUTE_PGM_RSRC3_GFX90A:TG_SPLIT: 0
	.section	.text._ZN7rocprim17ROCPRIM_400000_NS6detail17trampoline_kernelINS0_14default_configENS1_21merge_config_selectorIfNS0_10empty_typeEEEZNS1_10merge_implIS3_N6thrust23THRUST_200600_302600_NS6detail15normal_iteratorINS9_10device_ptrIKfEEEESF_NSB_INSC_IfEEEEPS5_SI_SI_NS9_4lessIfEEEE10hipError_tPvRmT0_T1_T2_T3_T4_T5_mmT6_P12ihipStream_tbEUlT_E0_NS1_11comp_targetILNS1_3genE2ELNS1_11target_archE906ELNS1_3gpuE6ELNS1_3repE0EEENS1_30default_config_static_selectorELNS0_4arch9wavefront6targetE1EEEvSP_,"axG",@progbits,_ZN7rocprim17ROCPRIM_400000_NS6detail17trampoline_kernelINS0_14default_configENS1_21merge_config_selectorIfNS0_10empty_typeEEEZNS1_10merge_implIS3_N6thrust23THRUST_200600_302600_NS6detail15normal_iteratorINS9_10device_ptrIKfEEEESF_NSB_INSC_IfEEEEPS5_SI_SI_NS9_4lessIfEEEE10hipError_tPvRmT0_T1_T2_T3_T4_T5_mmT6_P12ihipStream_tbEUlT_E0_NS1_11comp_targetILNS1_3genE2ELNS1_11target_archE906ELNS1_3gpuE6ELNS1_3repE0EEENS1_30default_config_static_selectorELNS0_4arch9wavefront6targetE1EEEvSP_,comdat
	.protected	_ZN7rocprim17ROCPRIM_400000_NS6detail17trampoline_kernelINS0_14default_configENS1_21merge_config_selectorIfNS0_10empty_typeEEEZNS1_10merge_implIS3_N6thrust23THRUST_200600_302600_NS6detail15normal_iteratorINS9_10device_ptrIKfEEEESF_NSB_INSC_IfEEEEPS5_SI_SI_NS9_4lessIfEEEE10hipError_tPvRmT0_T1_T2_T3_T4_T5_mmT6_P12ihipStream_tbEUlT_E0_NS1_11comp_targetILNS1_3genE2ELNS1_11target_archE906ELNS1_3gpuE6ELNS1_3repE0EEENS1_30default_config_static_selectorELNS0_4arch9wavefront6targetE1EEEvSP_ ; -- Begin function _ZN7rocprim17ROCPRIM_400000_NS6detail17trampoline_kernelINS0_14default_configENS1_21merge_config_selectorIfNS0_10empty_typeEEEZNS1_10merge_implIS3_N6thrust23THRUST_200600_302600_NS6detail15normal_iteratorINS9_10device_ptrIKfEEEESF_NSB_INSC_IfEEEEPS5_SI_SI_NS9_4lessIfEEEE10hipError_tPvRmT0_T1_T2_T3_T4_T5_mmT6_P12ihipStream_tbEUlT_E0_NS1_11comp_targetILNS1_3genE2ELNS1_11target_archE906ELNS1_3gpuE6ELNS1_3repE0EEENS1_30default_config_static_selectorELNS0_4arch9wavefront6targetE1EEEvSP_
	.globl	_ZN7rocprim17ROCPRIM_400000_NS6detail17trampoline_kernelINS0_14default_configENS1_21merge_config_selectorIfNS0_10empty_typeEEEZNS1_10merge_implIS3_N6thrust23THRUST_200600_302600_NS6detail15normal_iteratorINS9_10device_ptrIKfEEEESF_NSB_INSC_IfEEEEPS5_SI_SI_NS9_4lessIfEEEE10hipError_tPvRmT0_T1_T2_T3_T4_T5_mmT6_P12ihipStream_tbEUlT_E0_NS1_11comp_targetILNS1_3genE2ELNS1_11target_archE906ELNS1_3gpuE6ELNS1_3repE0EEENS1_30default_config_static_selectorELNS0_4arch9wavefront6targetE1EEEvSP_
	.p2align	8
	.type	_ZN7rocprim17ROCPRIM_400000_NS6detail17trampoline_kernelINS0_14default_configENS1_21merge_config_selectorIfNS0_10empty_typeEEEZNS1_10merge_implIS3_N6thrust23THRUST_200600_302600_NS6detail15normal_iteratorINS9_10device_ptrIKfEEEESF_NSB_INSC_IfEEEEPS5_SI_SI_NS9_4lessIfEEEE10hipError_tPvRmT0_T1_T2_T3_T4_T5_mmT6_P12ihipStream_tbEUlT_E0_NS1_11comp_targetILNS1_3genE2ELNS1_11target_archE906ELNS1_3gpuE6ELNS1_3repE0EEENS1_30default_config_static_selectorELNS0_4arch9wavefront6targetE1EEEvSP_,@function
_ZN7rocprim17ROCPRIM_400000_NS6detail17trampoline_kernelINS0_14default_configENS1_21merge_config_selectorIfNS0_10empty_typeEEEZNS1_10merge_implIS3_N6thrust23THRUST_200600_302600_NS6detail15normal_iteratorINS9_10device_ptrIKfEEEESF_NSB_INSC_IfEEEEPS5_SI_SI_NS9_4lessIfEEEE10hipError_tPvRmT0_T1_T2_T3_T4_T5_mmT6_P12ihipStream_tbEUlT_E0_NS1_11comp_targetILNS1_3genE2ELNS1_11target_archE906ELNS1_3gpuE6ELNS1_3repE0EEENS1_30default_config_static_selectorELNS0_4arch9wavefront6targetE1EEEvSP_: ; @_ZN7rocprim17ROCPRIM_400000_NS6detail17trampoline_kernelINS0_14default_configENS1_21merge_config_selectorIfNS0_10empty_typeEEEZNS1_10merge_implIS3_N6thrust23THRUST_200600_302600_NS6detail15normal_iteratorINS9_10device_ptrIKfEEEESF_NSB_INSC_IfEEEEPS5_SI_SI_NS9_4lessIfEEEE10hipError_tPvRmT0_T1_T2_T3_T4_T5_mmT6_P12ihipStream_tbEUlT_E0_NS1_11comp_targetILNS1_3genE2ELNS1_11target_archE906ELNS1_3gpuE6ELNS1_3repE0EEENS1_30default_config_static_selectorELNS0_4arch9wavefront6targetE1EEEvSP_
; %bb.0:
	.section	.rodata,"a",@progbits
	.p2align	6, 0x0
	.amdhsa_kernel _ZN7rocprim17ROCPRIM_400000_NS6detail17trampoline_kernelINS0_14default_configENS1_21merge_config_selectorIfNS0_10empty_typeEEEZNS1_10merge_implIS3_N6thrust23THRUST_200600_302600_NS6detail15normal_iteratorINS9_10device_ptrIKfEEEESF_NSB_INSC_IfEEEEPS5_SI_SI_NS9_4lessIfEEEE10hipError_tPvRmT0_T1_T2_T3_T4_T5_mmT6_P12ihipStream_tbEUlT_E0_NS1_11comp_targetILNS1_3genE2ELNS1_11target_archE906ELNS1_3gpuE6ELNS1_3repE0EEENS1_30default_config_static_selectorELNS0_4arch9wavefront6targetE1EEEvSP_
		.amdhsa_group_segment_fixed_size 0
		.amdhsa_private_segment_fixed_size 0
		.amdhsa_kernarg_size 88
		.amdhsa_user_sgpr_count 6
		.amdhsa_user_sgpr_private_segment_buffer 1
		.amdhsa_user_sgpr_dispatch_ptr 0
		.amdhsa_user_sgpr_queue_ptr 0
		.amdhsa_user_sgpr_kernarg_segment_ptr 1
		.amdhsa_user_sgpr_dispatch_id 0
		.amdhsa_user_sgpr_flat_scratch_init 0
		.amdhsa_user_sgpr_kernarg_preload_length 0
		.amdhsa_user_sgpr_kernarg_preload_offset 0
		.amdhsa_user_sgpr_private_segment_size 0
		.amdhsa_uses_dynamic_stack 0
		.amdhsa_system_sgpr_private_segment_wavefront_offset 0
		.amdhsa_system_sgpr_workgroup_id_x 1
		.amdhsa_system_sgpr_workgroup_id_y 0
		.amdhsa_system_sgpr_workgroup_id_z 0
		.amdhsa_system_sgpr_workgroup_info 0
		.amdhsa_system_vgpr_workitem_id 0
		.amdhsa_next_free_vgpr 1
		.amdhsa_next_free_sgpr 0
		.amdhsa_accum_offset 4
		.amdhsa_reserve_vcc 0
		.amdhsa_reserve_flat_scratch 0
		.amdhsa_float_round_mode_32 0
		.amdhsa_float_round_mode_16_64 0
		.amdhsa_float_denorm_mode_32 3
		.amdhsa_float_denorm_mode_16_64 3
		.amdhsa_dx10_clamp 1
		.amdhsa_ieee_mode 1
		.amdhsa_fp16_overflow 0
		.amdhsa_tg_split 0
		.amdhsa_exception_fp_ieee_invalid_op 0
		.amdhsa_exception_fp_denorm_src 0
		.amdhsa_exception_fp_ieee_div_zero 0
		.amdhsa_exception_fp_ieee_overflow 0
		.amdhsa_exception_fp_ieee_underflow 0
		.amdhsa_exception_fp_ieee_inexact 0
		.amdhsa_exception_int_div_zero 0
	.end_amdhsa_kernel
	.section	.text._ZN7rocprim17ROCPRIM_400000_NS6detail17trampoline_kernelINS0_14default_configENS1_21merge_config_selectorIfNS0_10empty_typeEEEZNS1_10merge_implIS3_N6thrust23THRUST_200600_302600_NS6detail15normal_iteratorINS9_10device_ptrIKfEEEESF_NSB_INSC_IfEEEEPS5_SI_SI_NS9_4lessIfEEEE10hipError_tPvRmT0_T1_T2_T3_T4_T5_mmT6_P12ihipStream_tbEUlT_E0_NS1_11comp_targetILNS1_3genE2ELNS1_11target_archE906ELNS1_3gpuE6ELNS1_3repE0EEENS1_30default_config_static_selectorELNS0_4arch9wavefront6targetE1EEEvSP_,"axG",@progbits,_ZN7rocprim17ROCPRIM_400000_NS6detail17trampoline_kernelINS0_14default_configENS1_21merge_config_selectorIfNS0_10empty_typeEEEZNS1_10merge_implIS3_N6thrust23THRUST_200600_302600_NS6detail15normal_iteratorINS9_10device_ptrIKfEEEESF_NSB_INSC_IfEEEEPS5_SI_SI_NS9_4lessIfEEEE10hipError_tPvRmT0_T1_T2_T3_T4_T5_mmT6_P12ihipStream_tbEUlT_E0_NS1_11comp_targetILNS1_3genE2ELNS1_11target_archE906ELNS1_3gpuE6ELNS1_3repE0EEENS1_30default_config_static_selectorELNS0_4arch9wavefront6targetE1EEEvSP_,comdat
.Lfunc_end72:
	.size	_ZN7rocprim17ROCPRIM_400000_NS6detail17trampoline_kernelINS0_14default_configENS1_21merge_config_selectorIfNS0_10empty_typeEEEZNS1_10merge_implIS3_N6thrust23THRUST_200600_302600_NS6detail15normal_iteratorINS9_10device_ptrIKfEEEESF_NSB_INSC_IfEEEEPS5_SI_SI_NS9_4lessIfEEEE10hipError_tPvRmT0_T1_T2_T3_T4_T5_mmT6_P12ihipStream_tbEUlT_E0_NS1_11comp_targetILNS1_3genE2ELNS1_11target_archE906ELNS1_3gpuE6ELNS1_3repE0EEENS1_30default_config_static_selectorELNS0_4arch9wavefront6targetE1EEEvSP_, .Lfunc_end72-_ZN7rocprim17ROCPRIM_400000_NS6detail17trampoline_kernelINS0_14default_configENS1_21merge_config_selectorIfNS0_10empty_typeEEEZNS1_10merge_implIS3_N6thrust23THRUST_200600_302600_NS6detail15normal_iteratorINS9_10device_ptrIKfEEEESF_NSB_INSC_IfEEEEPS5_SI_SI_NS9_4lessIfEEEE10hipError_tPvRmT0_T1_T2_T3_T4_T5_mmT6_P12ihipStream_tbEUlT_E0_NS1_11comp_targetILNS1_3genE2ELNS1_11target_archE906ELNS1_3gpuE6ELNS1_3repE0EEENS1_30default_config_static_selectorELNS0_4arch9wavefront6targetE1EEEvSP_
                                        ; -- End function
	.section	.AMDGPU.csdata,"",@progbits
; Kernel info:
; codeLenInByte = 0
; NumSgprs: 4
; NumVgprs: 0
; NumAgprs: 0
; TotalNumVgprs: 0
; ScratchSize: 0
; MemoryBound: 0
; FloatMode: 240
; IeeeMode: 1
; LDSByteSize: 0 bytes/workgroup (compile time only)
; SGPRBlocks: 0
; VGPRBlocks: 0
; NumSGPRsForWavesPerEU: 4
; NumVGPRsForWavesPerEU: 1
; AccumOffset: 4
; Occupancy: 8
; WaveLimiterHint : 0
; COMPUTE_PGM_RSRC2:SCRATCH_EN: 0
; COMPUTE_PGM_RSRC2:USER_SGPR: 6
; COMPUTE_PGM_RSRC2:TRAP_HANDLER: 0
; COMPUTE_PGM_RSRC2:TGID_X_EN: 1
; COMPUTE_PGM_RSRC2:TGID_Y_EN: 0
; COMPUTE_PGM_RSRC2:TGID_Z_EN: 0
; COMPUTE_PGM_RSRC2:TIDIG_COMP_CNT: 0
; COMPUTE_PGM_RSRC3_GFX90A:ACCUM_OFFSET: 0
; COMPUTE_PGM_RSRC3_GFX90A:TG_SPLIT: 0
	.section	.text._ZN7rocprim17ROCPRIM_400000_NS6detail17trampoline_kernelINS0_14default_configENS1_21merge_config_selectorIfNS0_10empty_typeEEEZNS1_10merge_implIS3_N6thrust23THRUST_200600_302600_NS6detail15normal_iteratorINS9_10device_ptrIKfEEEESF_NSB_INSC_IfEEEEPS5_SI_SI_NS9_4lessIfEEEE10hipError_tPvRmT0_T1_T2_T3_T4_T5_mmT6_P12ihipStream_tbEUlT_E0_NS1_11comp_targetILNS1_3genE10ELNS1_11target_archE1201ELNS1_3gpuE5ELNS1_3repE0EEENS1_30default_config_static_selectorELNS0_4arch9wavefront6targetE1EEEvSP_,"axG",@progbits,_ZN7rocprim17ROCPRIM_400000_NS6detail17trampoline_kernelINS0_14default_configENS1_21merge_config_selectorIfNS0_10empty_typeEEEZNS1_10merge_implIS3_N6thrust23THRUST_200600_302600_NS6detail15normal_iteratorINS9_10device_ptrIKfEEEESF_NSB_INSC_IfEEEEPS5_SI_SI_NS9_4lessIfEEEE10hipError_tPvRmT0_T1_T2_T3_T4_T5_mmT6_P12ihipStream_tbEUlT_E0_NS1_11comp_targetILNS1_3genE10ELNS1_11target_archE1201ELNS1_3gpuE5ELNS1_3repE0EEENS1_30default_config_static_selectorELNS0_4arch9wavefront6targetE1EEEvSP_,comdat
	.protected	_ZN7rocprim17ROCPRIM_400000_NS6detail17trampoline_kernelINS0_14default_configENS1_21merge_config_selectorIfNS0_10empty_typeEEEZNS1_10merge_implIS3_N6thrust23THRUST_200600_302600_NS6detail15normal_iteratorINS9_10device_ptrIKfEEEESF_NSB_INSC_IfEEEEPS5_SI_SI_NS9_4lessIfEEEE10hipError_tPvRmT0_T1_T2_T3_T4_T5_mmT6_P12ihipStream_tbEUlT_E0_NS1_11comp_targetILNS1_3genE10ELNS1_11target_archE1201ELNS1_3gpuE5ELNS1_3repE0EEENS1_30default_config_static_selectorELNS0_4arch9wavefront6targetE1EEEvSP_ ; -- Begin function _ZN7rocprim17ROCPRIM_400000_NS6detail17trampoline_kernelINS0_14default_configENS1_21merge_config_selectorIfNS0_10empty_typeEEEZNS1_10merge_implIS3_N6thrust23THRUST_200600_302600_NS6detail15normal_iteratorINS9_10device_ptrIKfEEEESF_NSB_INSC_IfEEEEPS5_SI_SI_NS9_4lessIfEEEE10hipError_tPvRmT0_T1_T2_T3_T4_T5_mmT6_P12ihipStream_tbEUlT_E0_NS1_11comp_targetILNS1_3genE10ELNS1_11target_archE1201ELNS1_3gpuE5ELNS1_3repE0EEENS1_30default_config_static_selectorELNS0_4arch9wavefront6targetE1EEEvSP_
	.globl	_ZN7rocprim17ROCPRIM_400000_NS6detail17trampoline_kernelINS0_14default_configENS1_21merge_config_selectorIfNS0_10empty_typeEEEZNS1_10merge_implIS3_N6thrust23THRUST_200600_302600_NS6detail15normal_iteratorINS9_10device_ptrIKfEEEESF_NSB_INSC_IfEEEEPS5_SI_SI_NS9_4lessIfEEEE10hipError_tPvRmT0_T1_T2_T3_T4_T5_mmT6_P12ihipStream_tbEUlT_E0_NS1_11comp_targetILNS1_3genE10ELNS1_11target_archE1201ELNS1_3gpuE5ELNS1_3repE0EEENS1_30default_config_static_selectorELNS0_4arch9wavefront6targetE1EEEvSP_
	.p2align	8
	.type	_ZN7rocprim17ROCPRIM_400000_NS6detail17trampoline_kernelINS0_14default_configENS1_21merge_config_selectorIfNS0_10empty_typeEEEZNS1_10merge_implIS3_N6thrust23THRUST_200600_302600_NS6detail15normal_iteratorINS9_10device_ptrIKfEEEESF_NSB_INSC_IfEEEEPS5_SI_SI_NS9_4lessIfEEEE10hipError_tPvRmT0_T1_T2_T3_T4_T5_mmT6_P12ihipStream_tbEUlT_E0_NS1_11comp_targetILNS1_3genE10ELNS1_11target_archE1201ELNS1_3gpuE5ELNS1_3repE0EEENS1_30default_config_static_selectorELNS0_4arch9wavefront6targetE1EEEvSP_,@function
_ZN7rocprim17ROCPRIM_400000_NS6detail17trampoline_kernelINS0_14default_configENS1_21merge_config_selectorIfNS0_10empty_typeEEEZNS1_10merge_implIS3_N6thrust23THRUST_200600_302600_NS6detail15normal_iteratorINS9_10device_ptrIKfEEEESF_NSB_INSC_IfEEEEPS5_SI_SI_NS9_4lessIfEEEE10hipError_tPvRmT0_T1_T2_T3_T4_T5_mmT6_P12ihipStream_tbEUlT_E0_NS1_11comp_targetILNS1_3genE10ELNS1_11target_archE1201ELNS1_3gpuE5ELNS1_3repE0EEENS1_30default_config_static_selectorELNS0_4arch9wavefront6targetE1EEEvSP_: ; @_ZN7rocprim17ROCPRIM_400000_NS6detail17trampoline_kernelINS0_14default_configENS1_21merge_config_selectorIfNS0_10empty_typeEEEZNS1_10merge_implIS3_N6thrust23THRUST_200600_302600_NS6detail15normal_iteratorINS9_10device_ptrIKfEEEESF_NSB_INSC_IfEEEEPS5_SI_SI_NS9_4lessIfEEEE10hipError_tPvRmT0_T1_T2_T3_T4_T5_mmT6_P12ihipStream_tbEUlT_E0_NS1_11comp_targetILNS1_3genE10ELNS1_11target_archE1201ELNS1_3gpuE5ELNS1_3repE0EEENS1_30default_config_static_selectorELNS0_4arch9wavefront6targetE1EEEvSP_
; %bb.0:
	.section	.rodata,"a",@progbits
	.p2align	6, 0x0
	.amdhsa_kernel _ZN7rocprim17ROCPRIM_400000_NS6detail17trampoline_kernelINS0_14default_configENS1_21merge_config_selectorIfNS0_10empty_typeEEEZNS1_10merge_implIS3_N6thrust23THRUST_200600_302600_NS6detail15normal_iteratorINS9_10device_ptrIKfEEEESF_NSB_INSC_IfEEEEPS5_SI_SI_NS9_4lessIfEEEE10hipError_tPvRmT0_T1_T2_T3_T4_T5_mmT6_P12ihipStream_tbEUlT_E0_NS1_11comp_targetILNS1_3genE10ELNS1_11target_archE1201ELNS1_3gpuE5ELNS1_3repE0EEENS1_30default_config_static_selectorELNS0_4arch9wavefront6targetE1EEEvSP_
		.amdhsa_group_segment_fixed_size 0
		.amdhsa_private_segment_fixed_size 0
		.amdhsa_kernarg_size 88
		.amdhsa_user_sgpr_count 6
		.amdhsa_user_sgpr_private_segment_buffer 1
		.amdhsa_user_sgpr_dispatch_ptr 0
		.amdhsa_user_sgpr_queue_ptr 0
		.amdhsa_user_sgpr_kernarg_segment_ptr 1
		.amdhsa_user_sgpr_dispatch_id 0
		.amdhsa_user_sgpr_flat_scratch_init 0
		.amdhsa_user_sgpr_kernarg_preload_length 0
		.amdhsa_user_sgpr_kernarg_preload_offset 0
		.amdhsa_user_sgpr_private_segment_size 0
		.amdhsa_uses_dynamic_stack 0
		.amdhsa_system_sgpr_private_segment_wavefront_offset 0
		.amdhsa_system_sgpr_workgroup_id_x 1
		.amdhsa_system_sgpr_workgroup_id_y 0
		.amdhsa_system_sgpr_workgroup_id_z 0
		.amdhsa_system_sgpr_workgroup_info 0
		.amdhsa_system_vgpr_workitem_id 0
		.amdhsa_next_free_vgpr 1
		.amdhsa_next_free_sgpr 0
		.amdhsa_accum_offset 4
		.amdhsa_reserve_vcc 0
		.amdhsa_reserve_flat_scratch 0
		.amdhsa_float_round_mode_32 0
		.amdhsa_float_round_mode_16_64 0
		.amdhsa_float_denorm_mode_32 3
		.amdhsa_float_denorm_mode_16_64 3
		.amdhsa_dx10_clamp 1
		.amdhsa_ieee_mode 1
		.amdhsa_fp16_overflow 0
		.amdhsa_tg_split 0
		.amdhsa_exception_fp_ieee_invalid_op 0
		.amdhsa_exception_fp_denorm_src 0
		.amdhsa_exception_fp_ieee_div_zero 0
		.amdhsa_exception_fp_ieee_overflow 0
		.amdhsa_exception_fp_ieee_underflow 0
		.amdhsa_exception_fp_ieee_inexact 0
		.amdhsa_exception_int_div_zero 0
	.end_amdhsa_kernel
	.section	.text._ZN7rocprim17ROCPRIM_400000_NS6detail17trampoline_kernelINS0_14default_configENS1_21merge_config_selectorIfNS0_10empty_typeEEEZNS1_10merge_implIS3_N6thrust23THRUST_200600_302600_NS6detail15normal_iteratorINS9_10device_ptrIKfEEEESF_NSB_INSC_IfEEEEPS5_SI_SI_NS9_4lessIfEEEE10hipError_tPvRmT0_T1_T2_T3_T4_T5_mmT6_P12ihipStream_tbEUlT_E0_NS1_11comp_targetILNS1_3genE10ELNS1_11target_archE1201ELNS1_3gpuE5ELNS1_3repE0EEENS1_30default_config_static_selectorELNS0_4arch9wavefront6targetE1EEEvSP_,"axG",@progbits,_ZN7rocprim17ROCPRIM_400000_NS6detail17trampoline_kernelINS0_14default_configENS1_21merge_config_selectorIfNS0_10empty_typeEEEZNS1_10merge_implIS3_N6thrust23THRUST_200600_302600_NS6detail15normal_iteratorINS9_10device_ptrIKfEEEESF_NSB_INSC_IfEEEEPS5_SI_SI_NS9_4lessIfEEEE10hipError_tPvRmT0_T1_T2_T3_T4_T5_mmT6_P12ihipStream_tbEUlT_E0_NS1_11comp_targetILNS1_3genE10ELNS1_11target_archE1201ELNS1_3gpuE5ELNS1_3repE0EEENS1_30default_config_static_selectorELNS0_4arch9wavefront6targetE1EEEvSP_,comdat
.Lfunc_end73:
	.size	_ZN7rocprim17ROCPRIM_400000_NS6detail17trampoline_kernelINS0_14default_configENS1_21merge_config_selectorIfNS0_10empty_typeEEEZNS1_10merge_implIS3_N6thrust23THRUST_200600_302600_NS6detail15normal_iteratorINS9_10device_ptrIKfEEEESF_NSB_INSC_IfEEEEPS5_SI_SI_NS9_4lessIfEEEE10hipError_tPvRmT0_T1_T2_T3_T4_T5_mmT6_P12ihipStream_tbEUlT_E0_NS1_11comp_targetILNS1_3genE10ELNS1_11target_archE1201ELNS1_3gpuE5ELNS1_3repE0EEENS1_30default_config_static_selectorELNS0_4arch9wavefront6targetE1EEEvSP_, .Lfunc_end73-_ZN7rocprim17ROCPRIM_400000_NS6detail17trampoline_kernelINS0_14default_configENS1_21merge_config_selectorIfNS0_10empty_typeEEEZNS1_10merge_implIS3_N6thrust23THRUST_200600_302600_NS6detail15normal_iteratorINS9_10device_ptrIKfEEEESF_NSB_INSC_IfEEEEPS5_SI_SI_NS9_4lessIfEEEE10hipError_tPvRmT0_T1_T2_T3_T4_T5_mmT6_P12ihipStream_tbEUlT_E0_NS1_11comp_targetILNS1_3genE10ELNS1_11target_archE1201ELNS1_3gpuE5ELNS1_3repE0EEENS1_30default_config_static_selectorELNS0_4arch9wavefront6targetE1EEEvSP_
                                        ; -- End function
	.section	.AMDGPU.csdata,"",@progbits
; Kernel info:
; codeLenInByte = 0
; NumSgprs: 4
; NumVgprs: 0
; NumAgprs: 0
; TotalNumVgprs: 0
; ScratchSize: 0
; MemoryBound: 0
; FloatMode: 240
; IeeeMode: 1
; LDSByteSize: 0 bytes/workgroup (compile time only)
; SGPRBlocks: 0
; VGPRBlocks: 0
; NumSGPRsForWavesPerEU: 4
; NumVGPRsForWavesPerEU: 1
; AccumOffset: 4
; Occupancy: 8
; WaveLimiterHint : 0
; COMPUTE_PGM_RSRC2:SCRATCH_EN: 0
; COMPUTE_PGM_RSRC2:USER_SGPR: 6
; COMPUTE_PGM_RSRC2:TRAP_HANDLER: 0
; COMPUTE_PGM_RSRC2:TGID_X_EN: 1
; COMPUTE_PGM_RSRC2:TGID_Y_EN: 0
; COMPUTE_PGM_RSRC2:TGID_Z_EN: 0
; COMPUTE_PGM_RSRC2:TIDIG_COMP_CNT: 0
; COMPUTE_PGM_RSRC3_GFX90A:ACCUM_OFFSET: 0
; COMPUTE_PGM_RSRC3_GFX90A:TG_SPLIT: 0
	.section	.text._ZN7rocprim17ROCPRIM_400000_NS6detail17trampoline_kernelINS0_14default_configENS1_21merge_config_selectorIfNS0_10empty_typeEEEZNS1_10merge_implIS3_N6thrust23THRUST_200600_302600_NS6detail15normal_iteratorINS9_10device_ptrIKfEEEESF_NSB_INSC_IfEEEEPS5_SI_SI_NS9_4lessIfEEEE10hipError_tPvRmT0_T1_T2_T3_T4_T5_mmT6_P12ihipStream_tbEUlT_E0_NS1_11comp_targetILNS1_3genE10ELNS1_11target_archE1200ELNS1_3gpuE4ELNS1_3repE0EEENS1_30default_config_static_selectorELNS0_4arch9wavefront6targetE1EEEvSP_,"axG",@progbits,_ZN7rocprim17ROCPRIM_400000_NS6detail17trampoline_kernelINS0_14default_configENS1_21merge_config_selectorIfNS0_10empty_typeEEEZNS1_10merge_implIS3_N6thrust23THRUST_200600_302600_NS6detail15normal_iteratorINS9_10device_ptrIKfEEEESF_NSB_INSC_IfEEEEPS5_SI_SI_NS9_4lessIfEEEE10hipError_tPvRmT0_T1_T2_T3_T4_T5_mmT6_P12ihipStream_tbEUlT_E0_NS1_11comp_targetILNS1_3genE10ELNS1_11target_archE1200ELNS1_3gpuE4ELNS1_3repE0EEENS1_30default_config_static_selectorELNS0_4arch9wavefront6targetE1EEEvSP_,comdat
	.protected	_ZN7rocprim17ROCPRIM_400000_NS6detail17trampoline_kernelINS0_14default_configENS1_21merge_config_selectorIfNS0_10empty_typeEEEZNS1_10merge_implIS3_N6thrust23THRUST_200600_302600_NS6detail15normal_iteratorINS9_10device_ptrIKfEEEESF_NSB_INSC_IfEEEEPS5_SI_SI_NS9_4lessIfEEEE10hipError_tPvRmT0_T1_T2_T3_T4_T5_mmT6_P12ihipStream_tbEUlT_E0_NS1_11comp_targetILNS1_3genE10ELNS1_11target_archE1200ELNS1_3gpuE4ELNS1_3repE0EEENS1_30default_config_static_selectorELNS0_4arch9wavefront6targetE1EEEvSP_ ; -- Begin function _ZN7rocprim17ROCPRIM_400000_NS6detail17trampoline_kernelINS0_14default_configENS1_21merge_config_selectorIfNS0_10empty_typeEEEZNS1_10merge_implIS3_N6thrust23THRUST_200600_302600_NS6detail15normal_iteratorINS9_10device_ptrIKfEEEESF_NSB_INSC_IfEEEEPS5_SI_SI_NS9_4lessIfEEEE10hipError_tPvRmT0_T1_T2_T3_T4_T5_mmT6_P12ihipStream_tbEUlT_E0_NS1_11comp_targetILNS1_3genE10ELNS1_11target_archE1200ELNS1_3gpuE4ELNS1_3repE0EEENS1_30default_config_static_selectorELNS0_4arch9wavefront6targetE1EEEvSP_
	.globl	_ZN7rocprim17ROCPRIM_400000_NS6detail17trampoline_kernelINS0_14default_configENS1_21merge_config_selectorIfNS0_10empty_typeEEEZNS1_10merge_implIS3_N6thrust23THRUST_200600_302600_NS6detail15normal_iteratorINS9_10device_ptrIKfEEEESF_NSB_INSC_IfEEEEPS5_SI_SI_NS9_4lessIfEEEE10hipError_tPvRmT0_T1_T2_T3_T4_T5_mmT6_P12ihipStream_tbEUlT_E0_NS1_11comp_targetILNS1_3genE10ELNS1_11target_archE1200ELNS1_3gpuE4ELNS1_3repE0EEENS1_30default_config_static_selectorELNS0_4arch9wavefront6targetE1EEEvSP_
	.p2align	8
	.type	_ZN7rocprim17ROCPRIM_400000_NS6detail17trampoline_kernelINS0_14default_configENS1_21merge_config_selectorIfNS0_10empty_typeEEEZNS1_10merge_implIS3_N6thrust23THRUST_200600_302600_NS6detail15normal_iteratorINS9_10device_ptrIKfEEEESF_NSB_INSC_IfEEEEPS5_SI_SI_NS9_4lessIfEEEE10hipError_tPvRmT0_T1_T2_T3_T4_T5_mmT6_P12ihipStream_tbEUlT_E0_NS1_11comp_targetILNS1_3genE10ELNS1_11target_archE1200ELNS1_3gpuE4ELNS1_3repE0EEENS1_30default_config_static_selectorELNS0_4arch9wavefront6targetE1EEEvSP_,@function
_ZN7rocprim17ROCPRIM_400000_NS6detail17trampoline_kernelINS0_14default_configENS1_21merge_config_selectorIfNS0_10empty_typeEEEZNS1_10merge_implIS3_N6thrust23THRUST_200600_302600_NS6detail15normal_iteratorINS9_10device_ptrIKfEEEESF_NSB_INSC_IfEEEEPS5_SI_SI_NS9_4lessIfEEEE10hipError_tPvRmT0_T1_T2_T3_T4_T5_mmT6_P12ihipStream_tbEUlT_E0_NS1_11comp_targetILNS1_3genE10ELNS1_11target_archE1200ELNS1_3gpuE4ELNS1_3repE0EEENS1_30default_config_static_selectorELNS0_4arch9wavefront6targetE1EEEvSP_: ; @_ZN7rocprim17ROCPRIM_400000_NS6detail17trampoline_kernelINS0_14default_configENS1_21merge_config_selectorIfNS0_10empty_typeEEEZNS1_10merge_implIS3_N6thrust23THRUST_200600_302600_NS6detail15normal_iteratorINS9_10device_ptrIKfEEEESF_NSB_INSC_IfEEEEPS5_SI_SI_NS9_4lessIfEEEE10hipError_tPvRmT0_T1_T2_T3_T4_T5_mmT6_P12ihipStream_tbEUlT_E0_NS1_11comp_targetILNS1_3genE10ELNS1_11target_archE1200ELNS1_3gpuE4ELNS1_3repE0EEENS1_30default_config_static_selectorELNS0_4arch9wavefront6targetE1EEEvSP_
; %bb.0:
	.section	.rodata,"a",@progbits
	.p2align	6, 0x0
	.amdhsa_kernel _ZN7rocprim17ROCPRIM_400000_NS6detail17trampoline_kernelINS0_14default_configENS1_21merge_config_selectorIfNS0_10empty_typeEEEZNS1_10merge_implIS3_N6thrust23THRUST_200600_302600_NS6detail15normal_iteratorINS9_10device_ptrIKfEEEESF_NSB_INSC_IfEEEEPS5_SI_SI_NS9_4lessIfEEEE10hipError_tPvRmT0_T1_T2_T3_T4_T5_mmT6_P12ihipStream_tbEUlT_E0_NS1_11comp_targetILNS1_3genE10ELNS1_11target_archE1200ELNS1_3gpuE4ELNS1_3repE0EEENS1_30default_config_static_selectorELNS0_4arch9wavefront6targetE1EEEvSP_
		.amdhsa_group_segment_fixed_size 0
		.amdhsa_private_segment_fixed_size 0
		.amdhsa_kernarg_size 88
		.amdhsa_user_sgpr_count 6
		.amdhsa_user_sgpr_private_segment_buffer 1
		.amdhsa_user_sgpr_dispatch_ptr 0
		.amdhsa_user_sgpr_queue_ptr 0
		.amdhsa_user_sgpr_kernarg_segment_ptr 1
		.amdhsa_user_sgpr_dispatch_id 0
		.amdhsa_user_sgpr_flat_scratch_init 0
		.amdhsa_user_sgpr_kernarg_preload_length 0
		.amdhsa_user_sgpr_kernarg_preload_offset 0
		.amdhsa_user_sgpr_private_segment_size 0
		.amdhsa_uses_dynamic_stack 0
		.amdhsa_system_sgpr_private_segment_wavefront_offset 0
		.amdhsa_system_sgpr_workgroup_id_x 1
		.amdhsa_system_sgpr_workgroup_id_y 0
		.amdhsa_system_sgpr_workgroup_id_z 0
		.amdhsa_system_sgpr_workgroup_info 0
		.amdhsa_system_vgpr_workitem_id 0
		.amdhsa_next_free_vgpr 1
		.amdhsa_next_free_sgpr 0
		.amdhsa_accum_offset 4
		.amdhsa_reserve_vcc 0
		.amdhsa_reserve_flat_scratch 0
		.amdhsa_float_round_mode_32 0
		.amdhsa_float_round_mode_16_64 0
		.amdhsa_float_denorm_mode_32 3
		.amdhsa_float_denorm_mode_16_64 3
		.amdhsa_dx10_clamp 1
		.amdhsa_ieee_mode 1
		.amdhsa_fp16_overflow 0
		.amdhsa_tg_split 0
		.amdhsa_exception_fp_ieee_invalid_op 0
		.amdhsa_exception_fp_denorm_src 0
		.amdhsa_exception_fp_ieee_div_zero 0
		.amdhsa_exception_fp_ieee_overflow 0
		.amdhsa_exception_fp_ieee_underflow 0
		.amdhsa_exception_fp_ieee_inexact 0
		.amdhsa_exception_int_div_zero 0
	.end_amdhsa_kernel
	.section	.text._ZN7rocprim17ROCPRIM_400000_NS6detail17trampoline_kernelINS0_14default_configENS1_21merge_config_selectorIfNS0_10empty_typeEEEZNS1_10merge_implIS3_N6thrust23THRUST_200600_302600_NS6detail15normal_iteratorINS9_10device_ptrIKfEEEESF_NSB_INSC_IfEEEEPS5_SI_SI_NS9_4lessIfEEEE10hipError_tPvRmT0_T1_T2_T3_T4_T5_mmT6_P12ihipStream_tbEUlT_E0_NS1_11comp_targetILNS1_3genE10ELNS1_11target_archE1200ELNS1_3gpuE4ELNS1_3repE0EEENS1_30default_config_static_selectorELNS0_4arch9wavefront6targetE1EEEvSP_,"axG",@progbits,_ZN7rocprim17ROCPRIM_400000_NS6detail17trampoline_kernelINS0_14default_configENS1_21merge_config_selectorIfNS0_10empty_typeEEEZNS1_10merge_implIS3_N6thrust23THRUST_200600_302600_NS6detail15normal_iteratorINS9_10device_ptrIKfEEEESF_NSB_INSC_IfEEEEPS5_SI_SI_NS9_4lessIfEEEE10hipError_tPvRmT0_T1_T2_T3_T4_T5_mmT6_P12ihipStream_tbEUlT_E0_NS1_11comp_targetILNS1_3genE10ELNS1_11target_archE1200ELNS1_3gpuE4ELNS1_3repE0EEENS1_30default_config_static_selectorELNS0_4arch9wavefront6targetE1EEEvSP_,comdat
.Lfunc_end74:
	.size	_ZN7rocprim17ROCPRIM_400000_NS6detail17trampoline_kernelINS0_14default_configENS1_21merge_config_selectorIfNS0_10empty_typeEEEZNS1_10merge_implIS3_N6thrust23THRUST_200600_302600_NS6detail15normal_iteratorINS9_10device_ptrIKfEEEESF_NSB_INSC_IfEEEEPS5_SI_SI_NS9_4lessIfEEEE10hipError_tPvRmT0_T1_T2_T3_T4_T5_mmT6_P12ihipStream_tbEUlT_E0_NS1_11comp_targetILNS1_3genE10ELNS1_11target_archE1200ELNS1_3gpuE4ELNS1_3repE0EEENS1_30default_config_static_selectorELNS0_4arch9wavefront6targetE1EEEvSP_, .Lfunc_end74-_ZN7rocprim17ROCPRIM_400000_NS6detail17trampoline_kernelINS0_14default_configENS1_21merge_config_selectorIfNS0_10empty_typeEEEZNS1_10merge_implIS3_N6thrust23THRUST_200600_302600_NS6detail15normal_iteratorINS9_10device_ptrIKfEEEESF_NSB_INSC_IfEEEEPS5_SI_SI_NS9_4lessIfEEEE10hipError_tPvRmT0_T1_T2_T3_T4_T5_mmT6_P12ihipStream_tbEUlT_E0_NS1_11comp_targetILNS1_3genE10ELNS1_11target_archE1200ELNS1_3gpuE4ELNS1_3repE0EEENS1_30default_config_static_selectorELNS0_4arch9wavefront6targetE1EEEvSP_
                                        ; -- End function
	.section	.AMDGPU.csdata,"",@progbits
; Kernel info:
; codeLenInByte = 0
; NumSgprs: 4
; NumVgprs: 0
; NumAgprs: 0
; TotalNumVgprs: 0
; ScratchSize: 0
; MemoryBound: 0
; FloatMode: 240
; IeeeMode: 1
; LDSByteSize: 0 bytes/workgroup (compile time only)
; SGPRBlocks: 0
; VGPRBlocks: 0
; NumSGPRsForWavesPerEU: 4
; NumVGPRsForWavesPerEU: 1
; AccumOffset: 4
; Occupancy: 8
; WaveLimiterHint : 0
; COMPUTE_PGM_RSRC2:SCRATCH_EN: 0
; COMPUTE_PGM_RSRC2:USER_SGPR: 6
; COMPUTE_PGM_RSRC2:TRAP_HANDLER: 0
; COMPUTE_PGM_RSRC2:TGID_X_EN: 1
; COMPUTE_PGM_RSRC2:TGID_Y_EN: 0
; COMPUTE_PGM_RSRC2:TGID_Z_EN: 0
; COMPUTE_PGM_RSRC2:TIDIG_COMP_CNT: 0
; COMPUTE_PGM_RSRC3_GFX90A:ACCUM_OFFSET: 0
; COMPUTE_PGM_RSRC3_GFX90A:TG_SPLIT: 0
	.section	.text._ZN7rocprim17ROCPRIM_400000_NS6detail17trampoline_kernelINS0_14default_configENS1_21merge_config_selectorIfNS0_10empty_typeEEEZNS1_10merge_implIS3_N6thrust23THRUST_200600_302600_NS6detail15normal_iteratorINS9_10device_ptrIKfEEEESF_NSB_INSC_IfEEEEPS5_SI_SI_NS9_4lessIfEEEE10hipError_tPvRmT0_T1_T2_T3_T4_T5_mmT6_P12ihipStream_tbEUlT_E0_NS1_11comp_targetILNS1_3genE9ELNS1_11target_archE1100ELNS1_3gpuE3ELNS1_3repE0EEENS1_30default_config_static_selectorELNS0_4arch9wavefront6targetE1EEEvSP_,"axG",@progbits,_ZN7rocprim17ROCPRIM_400000_NS6detail17trampoline_kernelINS0_14default_configENS1_21merge_config_selectorIfNS0_10empty_typeEEEZNS1_10merge_implIS3_N6thrust23THRUST_200600_302600_NS6detail15normal_iteratorINS9_10device_ptrIKfEEEESF_NSB_INSC_IfEEEEPS5_SI_SI_NS9_4lessIfEEEE10hipError_tPvRmT0_T1_T2_T3_T4_T5_mmT6_P12ihipStream_tbEUlT_E0_NS1_11comp_targetILNS1_3genE9ELNS1_11target_archE1100ELNS1_3gpuE3ELNS1_3repE0EEENS1_30default_config_static_selectorELNS0_4arch9wavefront6targetE1EEEvSP_,comdat
	.protected	_ZN7rocprim17ROCPRIM_400000_NS6detail17trampoline_kernelINS0_14default_configENS1_21merge_config_selectorIfNS0_10empty_typeEEEZNS1_10merge_implIS3_N6thrust23THRUST_200600_302600_NS6detail15normal_iteratorINS9_10device_ptrIKfEEEESF_NSB_INSC_IfEEEEPS5_SI_SI_NS9_4lessIfEEEE10hipError_tPvRmT0_T1_T2_T3_T4_T5_mmT6_P12ihipStream_tbEUlT_E0_NS1_11comp_targetILNS1_3genE9ELNS1_11target_archE1100ELNS1_3gpuE3ELNS1_3repE0EEENS1_30default_config_static_selectorELNS0_4arch9wavefront6targetE1EEEvSP_ ; -- Begin function _ZN7rocprim17ROCPRIM_400000_NS6detail17trampoline_kernelINS0_14default_configENS1_21merge_config_selectorIfNS0_10empty_typeEEEZNS1_10merge_implIS3_N6thrust23THRUST_200600_302600_NS6detail15normal_iteratorINS9_10device_ptrIKfEEEESF_NSB_INSC_IfEEEEPS5_SI_SI_NS9_4lessIfEEEE10hipError_tPvRmT0_T1_T2_T3_T4_T5_mmT6_P12ihipStream_tbEUlT_E0_NS1_11comp_targetILNS1_3genE9ELNS1_11target_archE1100ELNS1_3gpuE3ELNS1_3repE0EEENS1_30default_config_static_selectorELNS0_4arch9wavefront6targetE1EEEvSP_
	.globl	_ZN7rocprim17ROCPRIM_400000_NS6detail17trampoline_kernelINS0_14default_configENS1_21merge_config_selectorIfNS0_10empty_typeEEEZNS1_10merge_implIS3_N6thrust23THRUST_200600_302600_NS6detail15normal_iteratorINS9_10device_ptrIKfEEEESF_NSB_INSC_IfEEEEPS5_SI_SI_NS9_4lessIfEEEE10hipError_tPvRmT0_T1_T2_T3_T4_T5_mmT6_P12ihipStream_tbEUlT_E0_NS1_11comp_targetILNS1_3genE9ELNS1_11target_archE1100ELNS1_3gpuE3ELNS1_3repE0EEENS1_30default_config_static_selectorELNS0_4arch9wavefront6targetE1EEEvSP_
	.p2align	8
	.type	_ZN7rocprim17ROCPRIM_400000_NS6detail17trampoline_kernelINS0_14default_configENS1_21merge_config_selectorIfNS0_10empty_typeEEEZNS1_10merge_implIS3_N6thrust23THRUST_200600_302600_NS6detail15normal_iteratorINS9_10device_ptrIKfEEEESF_NSB_INSC_IfEEEEPS5_SI_SI_NS9_4lessIfEEEE10hipError_tPvRmT0_T1_T2_T3_T4_T5_mmT6_P12ihipStream_tbEUlT_E0_NS1_11comp_targetILNS1_3genE9ELNS1_11target_archE1100ELNS1_3gpuE3ELNS1_3repE0EEENS1_30default_config_static_selectorELNS0_4arch9wavefront6targetE1EEEvSP_,@function
_ZN7rocprim17ROCPRIM_400000_NS6detail17trampoline_kernelINS0_14default_configENS1_21merge_config_selectorIfNS0_10empty_typeEEEZNS1_10merge_implIS3_N6thrust23THRUST_200600_302600_NS6detail15normal_iteratorINS9_10device_ptrIKfEEEESF_NSB_INSC_IfEEEEPS5_SI_SI_NS9_4lessIfEEEE10hipError_tPvRmT0_T1_T2_T3_T4_T5_mmT6_P12ihipStream_tbEUlT_E0_NS1_11comp_targetILNS1_3genE9ELNS1_11target_archE1100ELNS1_3gpuE3ELNS1_3repE0EEENS1_30default_config_static_selectorELNS0_4arch9wavefront6targetE1EEEvSP_: ; @_ZN7rocprim17ROCPRIM_400000_NS6detail17trampoline_kernelINS0_14default_configENS1_21merge_config_selectorIfNS0_10empty_typeEEEZNS1_10merge_implIS3_N6thrust23THRUST_200600_302600_NS6detail15normal_iteratorINS9_10device_ptrIKfEEEESF_NSB_INSC_IfEEEEPS5_SI_SI_NS9_4lessIfEEEE10hipError_tPvRmT0_T1_T2_T3_T4_T5_mmT6_P12ihipStream_tbEUlT_E0_NS1_11comp_targetILNS1_3genE9ELNS1_11target_archE1100ELNS1_3gpuE3ELNS1_3repE0EEENS1_30default_config_static_selectorELNS0_4arch9wavefront6targetE1EEEvSP_
; %bb.0:
	.section	.rodata,"a",@progbits
	.p2align	6, 0x0
	.amdhsa_kernel _ZN7rocprim17ROCPRIM_400000_NS6detail17trampoline_kernelINS0_14default_configENS1_21merge_config_selectorIfNS0_10empty_typeEEEZNS1_10merge_implIS3_N6thrust23THRUST_200600_302600_NS6detail15normal_iteratorINS9_10device_ptrIKfEEEESF_NSB_INSC_IfEEEEPS5_SI_SI_NS9_4lessIfEEEE10hipError_tPvRmT0_T1_T2_T3_T4_T5_mmT6_P12ihipStream_tbEUlT_E0_NS1_11comp_targetILNS1_3genE9ELNS1_11target_archE1100ELNS1_3gpuE3ELNS1_3repE0EEENS1_30default_config_static_selectorELNS0_4arch9wavefront6targetE1EEEvSP_
		.amdhsa_group_segment_fixed_size 0
		.amdhsa_private_segment_fixed_size 0
		.amdhsa_kernarg_size 88
		.amdhsa_user_sgpr_count 6
		.amdhsa_user_sgpr_private_segment_buffer 1
		.amdhsa_user_sgpr_dispatch_ptr 0
		.amdhsa_user_sgpr_queue_ptr 0
		.amdhsa_user_sgpr_kernarg_segment_ptr 1
		.amdhsa_user_sgpr_dispatch_id 0
		.amdhsa_user_sgpr_flat_scratch_init 0
		.amdhsa_user_sgpr_kernarg_preload_length 0
		.amdhsa_user_sgpr_kernarg_preload_offset 0
		.amdhsa_user_sgpr_private_segment_size 0
		.amdhsa_uses_dynamic_stack 0
		.amdhsa_system_sgpr_private_segment_wavefront_offset 0
		.amdhsa_system_sgpr_workgroup_id_x 1
		.amdhsa_system_sgpr_workgroup_id_y 0
		.amdhsa_system_sgpr_workgroup_id_z 0
		.amdhsa_system_sgpr_workgroup_info 0
		.amdhsa_system_vgpr_workitem_id 0
		.amdhsa_next_free_vgpr 1
		.amdhsa_next_free_sgpr 0
		.amdhsa_accum_offset 4
		.amdhsa_reserve_vcc 0
		.amdhsa_reserve_flat_scratch 0
		.amdhsa_float_round_mode_32 0
		.amdhsa_float_round_mode_16_64 0
		.amdhsa_float_denorm_mode_32 3
		.amdhsa_float_denorm_mode_16_64 3
		.amdhsa_dx10_clamp 1
		.amdhsa_ieee_mode 1
		.amdhsa_fp16_overflow 0
		.amdhsa_tg_split 0
		.amdhsa_exception_fp_ieee_invalid_op 0
		.amdhsa_exception_fp_denorm_src 0
		.amdhsa_exception_fp_ieee_div_zero 0
		.amdhsa_exception_fp_ieee_overflow 0
		.amdhsa_exception_fp_ieee_underflow 0
		.amdhsa_exception_fp_ieee_inexact 0
		.amdhsa_exception_int_div_zero 0
	.end_amdhsa_kernel
	.section	.text._ZN7rocprim17ROCPRIM_400000_NS6detail17trampoline_kernelINS0_14default_configENS1_21merge_config_selectorIfNS0_10empty_typeEEEZNS1_10merge_implIS3_N6thrust23THRUST_200600_302600_NS6detail15normal_iteratorINS9_10device_ptrIKfEEEESF_NSB_INSC_IfEEEEPS5_SI_SI_NS9_4lessIfEEEE10hipError_tPvRmT0_T1_T2_T3_T4_T5_mmT6_P12ihipStream_tbEUlT_E0_NS1_11comp_targetILNS1_3genE9ELNS1_11target_archE1100ELNS1_3gpuE3ELNS1_3repE0EEENS1_30default_config_static_selectorELNS0_4arch9wavefront6targetE1EEEvSP_,"axG",@progbits,_ZN7rocprim17ROCPRIM_400000_NS6detail17trampoline_kernelINS0_14default_configENS1_21merge_config_selectorIfNS0_10empty_typeEEEZNS1_10merge_implIS3_N6thrust23THRUST_200600_302600_NS6detail15normal_iteratorINS9_10device_ptrIKfEEEESF_NSB_INSC_IfEEEEPS5_SI_SI_NS9_4lessIfEEEE10hipError_tPvRmT0_T1_T2_T3_T4_T5_mmT6_P12ihipStream_tbEUlT_E0_NS1_11comp_targetILNS1_3genE9ELNS1_11target_archE1100ELNS1_3gpuE3ELNS1_3repE0EEENS1_30default_config_static_selectorELNS0_4arch9wavefront6targetE1EEEvSP_,comdat
.Lfunc_end75:
	.size	_ZN7rocprim17ROCPRIM_400000_NS6detail17trampoline_kernelINS0_14default_configENS1_21merge_config_selectorIfNS0_10empty_typeEEEZNS1_10merge_implIS3_N6thrust23THRUST_200600_302600_NS6detail15normal_iteratorINS9_10device_ptrIKfEEEESF_NSB_INSC_IfEEEEPS5_SI_SI_NS9_4lessIfEEEE10hipError_tPvRmT0_T1_T2_T3_T4_T5_mmT6_P12ihipStream_tbEUlT_E0_NS1_11comp_targetILNS1_3genE9ELNS1_11target_archE1100ELNS1_3gpuE3ELNS1_3repE0EEENS1_30default_config_static_selectorELNS0_4arch9wavefront6targetE1EEEvSP_, .Lfunc_end75-_ZN7rocprim17ROCPRIM_400000_NS6detail17trampoline_kernelINS0_14default_configENS1_21merge_config_selectorIfNS0_10empty_typeEEEZNS1_10merge_implIS3_N6thrust23THRUST_200600_302600_NS6detail15normal_iteratorINS9_10device_ptrIKfEEEESF_NSB_INSC_IfEEEEPS5_SI_SI_NS9_4lessIfEEEE10hipError_tPvRmT0_T1_T2_T3_T4_T5_mmT6_P12ihipStream_tbEUlT_E0_NS1_11comp_targetILNS1_3genE9ELNS1_11target_archE1100ELNS1_3gpuE3ELNS1_3repE0EEENS1_30default_config_static_selectorELNS0_4arch9wavefront6targetE1EEEvSP_
                                        ; -- End function
	.section	.AMDGPU.csdata,"",@progbits
; Kernel info:
; codeLenInByte = 0
; NumSgprs: 4
; NumVgprs: 0
; NumAgprs: 0
; TotalNumVgprs: 0
; ScratchSize: 0
; MemoryBound: 0
; FloatMode: 240
; IeeeMode: 1
; LDSByteSize: 0 bytes/workgroup (compile time only)
; SGPRBlocks: 0
; VGPRBlocks: 0
; NumSGPRsForWavesPerEU: 4
; NumVGPRsForWavesPerEU: 1
; AccumOffset: 4
; Occupancy: 8
; WaveLimiterHint : 0
; COMPUTE_PGM_RSRC2:SCRATCH_EN: 0
; COMPUTE_PGM_RSRC2:USER_SGPR: 6
; COMPUTE_PGM_RSRC2:TRAP_HANDLER: 0
; COMPUTE_PGM_RSRC2:TGID_X_EN: 1
; COMPUTE_PGM_RSRC2:TGID_Y_EN: 0
; COMPUTE_PGM_RSRC2:TGID_Z_EN: 0
; COMPUTE_PGM_RSRC2:TIDIG_COMP_CNT: 0
; COMPUTE_PGM_RSRC3_GFX90A:ACCUM_OFFSET: 0
; COMPUTE_PGM_RSRC3_GFX90A:TG_SPLIT: 0
	.section	.text._ZN7rocprim17ROCPRIM_400000_NS6detail17trampoline_kernelINS0_14default_configENS1_21merge_config_selectorIfNS0_10empty_typeEEEZNS1_10merge_implIS3_N6thrust23THRUST_200600_302600_NS6detail15normal_iteratorINS9_10device_ptrIKfEEEESF_NSB_INSC_IfEEEEPS5_SI_SI_NS9_4lessIfEEEE10hipError_tPvRmT0_T1_T2_T3_T4_T5_mmT6_P12ihipStream_tbEUlT_E0_NS1_11comp_targetILNS1_3genE8ELNS1_11target_archE1030ELNS1_3gpuE2ELNS1_3repE0EEENS1_30default_config_static_selectorELNS0_4arch9wavefront6targetE1EEEvSP_,"axG",@progbits,_ZN7rocprim17ROCPRIM_400000_NS6detail17trampoline_kernelINS0_14default_configENS1_21merge_config_selectorIfNS0_10empty_typeEEEZNS1_10merge_implIS3_N6thrust23THRUST_200600_302600_NS6detail15normal_iteratorINS9_10device_ptrIKfEEEESF_NSB_INSC_IfEEEEPS5_SI_SI_NS9_4lessIfEEEE10hipError_tPvRmT0_T1_T2_T3_T4_T5_mmT6_P12ihipStream_tbEUlT_E0_NS1_11comp_targetILNS1_3genE8ELNS1_11target_archE1030ELNS1_3gpuE2ELNS1_3repE0EEENS1_30default_config_static_selectorELNS0_4arch9wavefront6targetE1EEEvSP_,comdat
	.protected	_ZN7rocprim17ROCPRIM_400000_NS6detail17trampoline_kernelINS0_14default_configENS1_21merge_config_selectorIfNS0_10empty_typeEEEZNS1_10merge_implIS3_N6thrust23THRUST_200600_302600_NS6detail15normal_iteratorINS9_10device_ptrIKfEEEESF_NSB_INSC_IfEEEEPS5_SI_SI_NS9_4lessIfEEEE10hipError_tPvRmT0_T1_T2_T3_T4_T5_mmT6_P12ihipStream_tbEUlT_E0_NS1_11comp_targetILNS1_3genE8ELNS1_11target_archE1030ELNS1_3gpuE2ELNS1_3repE0EEENS1_30default_config_static_selectorELNS0_4arch9wavefront6targetE1EEEvSP_ ; -- Begin function _ZN7rocprim17ROCPRIM_400000_NS6detail17trampoline_kernelINS0_14default_configENS1_21merge_config_selectorIfNS0_10empty_typeEEEZNS1_10merge_implIS3_N6thrust23THRUST_200600_302600_NS6detail15normal_iteratorINS9_10device_ptrIKfEEEESF_NSB_INSC_IfEEEEPS5_SI_SI_NS9_4lessIfEEEE10hipError_tPvRmT0_T1_T2_T3_T4_T5_mmT6_P12ihipStream_tbEUlT_E0_NS1_11comp_targetILNS1_3genE8ELNS1_11target_archE1030ELNS1_3gpuE2ELNS1_3repE0EEENS1_30default_config_static_selectorELNS0_4arch9wavefront6targetE1EEEvSP_
	.globl	_ZN7rocprim17ROCPRIM_400000_NS6detail17trampoline_kernelINS0_14default_configENS1_21merge_config_selectorIfNS0_10empty_typeEEEZNS1_10merge_implIS3_N6thrust23THRUST_200600_302600_NS6detail15normal_iteratorINS9_10device_ptrIKfEEEESF_NSB_INSC_IfEEEEPS5_SI_SI_NS9_4lessIfEEEE10hipError_tPvRmT0_T1_T2_T3_T4_T5_mmT6_P12ihipStream_tbEUlT_E0_NS1_11comp_targetILNS1_3genE8ELNS1_11target_archE1030ELNS1_3gpuE2ELNS1_3repE0EEENS1_30default_config_static_selectorELNS0_4arch9wavefront6targetE1EEEvSP_
	.p2align	8
	.type	_ZN7rocprim17ROCPRIM_400000_NS6detail17trampoline_kernelINS0_14default_configENS1_21merge_config_selectorIfNS0_10empty_typeEEEZNS1_10merge_implIS3_N6thrust23THRUST_200600_302600_NS6detail15normal_iteratorINS9_10device_ptrIKfEEEESF_NSB_INSC_IfEEEEPS5_SI_SI_NS9_4lessIfEEEE10hipError_tPvRmT0_T1_T2_T3_T4_T5_mmT6_P12ihipStream_tbEUlT_E0_NS1_11comp_targetILNS1_3genE8ELNS1_11target_archE1030ELNS1_3gpuE2ELNS1_3repE0EEENS1_30default_config_static_selectorELNS0_4arch9wavefront6targetE1EEEvSP_,@function
_ZN7rocprim17ROCPRIM_400000_NS6detail17trampoline_kernelINS0_14default_configENS1_21merge_config_selectorIfNS0_10empty_typeEEEZNS1_10merge_implIS3_N6thrust23THRUST_200600_302600_NS6detail15normal_iteratorINS9_10device_ptrIKfEEEESF_NSB_INSC_IfEEEEPS5_SI_SI_NS9_4lessIfEEEE10hipError_tPvRmT0_T1_T2_T3_T4_T5_mmT6_P12ihipStream_tbEUlT_E0_NS1_11comp_targetILNS1_3genE8ELNS1_11target_archE1030ELNS1_3gpuE2ELNS1_3repE0EEENS1_30default_config_static_selectorELNS0_4arch9wavefront6targetE1EEEvSP_: ; @_ZN7rocprim17ROCPRIM_400000_NS6detail17trampoline_kernelINS0_14default_configENS1_21merge_config_selectorIfNS0_10empty_typeEEEZNS1_10merge_implIS3_N6thrust23THRUST_200600_302600_NS6detail15normal_iteratorINS9_10device_ptrIKfEEEESF_NSB_INSC_IfEEEEPS5_SI_SI_NS9_4lessIfEEEE10hipError_tPvRmT0_T1_T2_T3_T4_T5_mmT6_P12ihipStream_tbEUlT_E0_NS1_11comp_targetILNS1_3genE8ELNS1_11target_archE1030ELNS1_3gpuE2ELNS1_3repE0EEENS1_30default_config_static_selectorELNS0_4arch9wavefront6targetE1EEEvSP_
; %bb.0:
	.section	.rodata,"a",@progbits
	.p2align	6, 0x0
	.amdhsa_kernel _ZN7rocprim17ROCPRIM_400000_NS6detail17trampoline_kernelINS0_14default_configENS1_21merge_config_selectorIfNS0_10empty_typeEEEZNS1_10merge_implIS3_N6thrust23THRUST_200600_302600_NS6detail15normal_iteratorINS9_10device_ptrIKfEEEESF_NSB_INSC_IfEEEEPS5_SI_SI_NS9_4lessIfEEEE10hipError_tPvRmT0_T1_T2_T3_T4_T5_mmT6_P12ihipStream_tbEUlT_E0_NS1_11comp_targetILNS1_3genE8ELNS1_11target_archE1030ELNS1_3gpuE2ELNS1_3repE0EEENS1_30default_config_static_selectorELNS0_4arch9wavefront6targetE1EEEvSP_
		.amdhsa_group_segment_fixed_size 0
		.amdhsa_private_segment_fixed_size 0
		.amdhsa_kernarg_size 88
		.amdhsa_user_sgpr_count 6
		.amdhsa_user_sgpr_private_segment_buffer 1
		.amdhsa_user_sgpr_dispatch_ptr 0
		.amdhsa_user_sgpr_queue_ptr 0
		.amdhsa_user_sgpr_kernarg_segment_ptr 1
		.amdhsa_user_sgpr_dispatch_id 0
		.amdhsa_user_sgpr_flat_scratch_init 0
		.amdhsa_user_sgpr_kernarg_preload_length 0
		.amdhsa_user_sgpr_kernarg_preload_offset 0
		.amdhsa_user_sgpr_private_segment_size 0
		.amdhsa_uses_dynamic_stack 0
		.amdhsa_system_sgpr_private_segment_wavefront_offset 0
		.amdhsa_system_sgpr_workgroup_id_x 1
		.amdhsa_system_sgpr_workgroup_id_y 0
		.amdhsa_system_sgpr_workgroup_id_z 0
		.amdhsa_system_sgpr_workgroup_info 0
		.amdhsa_system_vgpr_workitem_id 0
		.amdhsa_next_free_vgpr 1
		.amdhsa_next_free_sgpr 0
		.amdhsa_accum_offset 4
		.amdhsa_reserve_vcc 0
		.amdhsa_reserve_flat_scratch 0
		.amdhsa_float_round_mode_32 0
		.amdhsa_float_round_mode_16_64 0
		.amdhsa_float_denorm_mode_32 3
		.amdhsa_float_denorm_mode_16_64 3
		.amdhsa_dx10_clamp 1
		.amdhsa_ieee_mode 1
		.amdhsa_fp16_overflow 0
		.amdhsa_tg_split 0
		.amdhsa_exception_fp_ieee_invalid_op 0
		.amdhsa_exception_fp_denorm_src 0
		.amdhsa_exception_fp_ieee_div_zero 0
		.amdhsa_exception_fp_ieee_overflow 0
		.amdhsa_exception_fp_ieee_underflow 0
		.amdhsa_exception_fp_ieee_inexact 0
		.amdhsa_exception_int_div_zero 0
	.end_amdhsa_kernel
	.section	.text._ZN7rocprim17ROCPRIM_400000_NS6detail17trampoline_kernelINS0_14default_configENS1_21merge_config_selectorIfNS0_10empty_typeEEEZNS1_10merge_implIS3_N6thrust23THRUST_200600_302600_NS6detail15normal_iteratorINS9_10device_ptrIKfEEEESF_NSB_INSC_IfEEEEPS5_SI_SI_NS9_4lessIfEEEE10hipError_tPvRmT0_T1_T2_T3_T4_T5_mmT6_P12ihipStream_tbEUlT_E0_NS1_11comp_targetILNS1_3genE8ELNS1_11target_archE1030ELNS1_3gpuE2ELNS1_3repE0EEENS1_30default_config_static_selectorELNS0_4arch9wavefront6targetE1EEEvSP_,"axG",@progbits,_ZN7rocprim17ROCPRIM_400000_NS6detail17trampoline_kernelINS0_14default_configENS1_21merge_config_selectorIfNS0_10empty_typeEEEZNS1_10merge_implIS3_N6thrust23THRUST_200600_302600_NS6detail15normal_iteratorINS9_10device_ptrIKfEEEESF_NSB_INSC_IfEEEEPS5_SI_SI_NS9_4lessIfEEEE10hipError_tPvRmT0_T1_T2_T3_T4_T5_mmT6_P12ihipStream_tbEUlT_E0_NS1_11comp_targetILNS1_3genE8ELNS1_11target_archE1030ELNS1_3gpuE2ELNS1_3repE0EEENS1_30default_config_static_selectorELNS0_4arch9wavefront6targetE1EEEvSP_,comdat
.Lfunc_end76:
	.size	_ZN7rocprim17ROCPRIM_400000_NS6detail17trampoline_kernelINS0_14default_configENS1_21merge_config_selectorIfNS0_10empty_typeEEEZNS1_10merge_implIS3_N6thrust23THRUST_200600_302600_NS6detail15normal_iteratorINS9_10device_ptrIKfEEEESF_NSB_INSC_IfEEEEPS5_SI_SI_NS9_4lessIfEEEE10hipError_tPvRmT0_T1_T2_T3_T4_T5_mmT6_P12ihipStream_tbEUlT_E0_NS1_11comp_targetILNS1_3genE8ELNS1_11target_archE1030ELNS1_3gpuE2ELNS1_3repE0EEENS1_30default_config_static_selectorELNS0_4arch9wavefront6targetE1EEEvSP_, .Lfunc_end76-_ZN7rocprim17ROCPRIM_400000_NS6detail17trampoline_kernelINS0_14default_configENS1_21merge_config_selectorIfNS0_10empty_typeEEEZNS1_10merge_implIS3_N6thrust23THRUST_200600_302600_NS6detail15normal_iteratorINS9_10device_ptrIKfEEEESF_NSB_INSC_IfEEEEPS5_SI_SI_NS9_4lessIfEEEE10hipError_tPvRmT0_T1_T2_T3_T4_T5_mmT6_P12ihipStream_tbEUlT_E0_NS1_11comp_targetILNS1_3genE8ELNS1_11target_archE1030ELNS1_3gpuE2ELNS1_3repE0EEENS1_30default_config_static_selectorELNS0_4arch9wavefront6targetE1EEEvSP_
                                        ; -- End function
	.section	.AMDGPU.csdata,"",@progbits
; Kernel info:
; codeLenInByte = 0
; NumSgprs: 4
; NumVgprs: 0
; NumAgprs: 0
; TotalNumVgprs: 0
; ScratchSize: 0
; MemoryBound: 0
; FloatMode: 240
; IeeeMode: 1
; LDSByteSize: 0 bytes/workgroup (compile time only)
; SGPRBlocks: 0
; VGPRBlocks: 0
; NumSGPRsForWavesPerEU: 4
; NumVGPRsForWavesPerEU: 1
; AccumOffset: 4
; Occupancy: 8
; WaveLimiterHint : 0
; COMPUTE_PGM_RSRC2:SCRATCH_EN: 0
; COMPUTE_PGM_RSRC2:USER_SGPR: 6
; COMPUTE_PGM_RSRC2:TRAP_HANDLER: 0
; COMPUTE_PGM_RSRC2:TGID_X_EN: 1
; COMPUTE_PGM_RSRC2:TGID_Y_EN: 0
; COMPUTE_PGM_RSRC2:TGID_Z_EN: 0
; COMPUTE_PGM_RSRC2:TIDIG_COMP_CNT: 0
; COMPUTE_PGM_RSRC3_GFX90A:ACCUM_OFFSET: 0
; COMPUTE_PGM_RSRC3_GFX90A:TG_SPLIT: 0
	.section	.text._ZN7rocprim17ROCPRIM_400000_NS6detail17trampoline_kernelINS0_14default_configENS1_22reduce_config_selectorIN6thrust23THRUST_200600_302600_NS5tupleIblNS6_9null_typeES8_S8_S8_S8_S8_S8_S8_EEEEZNS1_11reduce_implILb1ES3_NS6_12zip_iteratorINS7_INS6_11hip_rocprim26transform_input_iterator_tIbNSD_35transform_pair_of_input_iterators_tIbNS6_6detail15normal_iteratorINS6_10device_ptrIKfEEEESL_NS6_8equal_toIfEEEENSG_9not_fun_tINSD_8identityEEEEENSD_19counting_iterator_tIlEES8_S8_S8_S8_S8_S8_S8_S8_EEEEPS9_S9_NSD_9__find_if7functorIS9_EEEE10hipError_tPvRmT1_T2_T3_mT4_P12ihipStream_tbEUlT_E0_NS1_11comp_targetILNS1_3genE0ELNS1_11target_archE4294967295ELNS1_3gpuE0ELNS1_3repE0EEENS1_30default_config_static_selectorELNS0_4arch9wavefront6targetE1EEEvS14_,"axG",@progbits,_ZN7rocprim17ROCPRIM_400000_NS6detail17trampoline_kernelINS0_14default_configENS1_22reduce_config_selectorIN6thrust23THRUST_200600_302600_NS5tupleIblNS6_9null_typeES8_S8_S8_S8_S8_S8_S8_EEEEZNS1_11reduce_implILb1ES3_NS6_12zip_iteratorINS7_INS6_11hip_rocprim26transform_input_iterator_tIbNSD_35transform_pair_of_input_iterators_tIbNS6_6detail15normal_iteratorINS6_10device_ptrIKfEEEESL_NS6_8equal_toIfEEEENSG_9not_fun_tINSD_8identityEEEEENSD_19counting_iterator_tIlEES8_S8_S8_S8_S8_S8_S8_S8_EEEEPS9_S9_NSD_9__find_if7functorIS9_EEEE10hipError_tPvRmT1_T2_T3_mT4_P12ihipStream_tbEUlT_E0_NS1_11comp_targetILNS1_3genE0ELNS1_11target_archE4294967295ELNS1_3gpuE0ELNS1_3repE0EEENS1_30default_config_static_selectorELNS0_4arch9wavefront6targetE1EEEvS14_,comdat
	.protected	_ZN7rocprim17ROCPRIM_400000_NS6detail17trampoline_kernelINS0_14default_configENS1_22reduce_config_selectorIN6thrust23THRUST_200600_302600_NS5tupleIblNS6_9null_typeES8_S8_S8_S8_S8_S8_S8_EEEEZNS1_11reduce_implILb1ES3_NS6_12zip_iteratorINS7_INS6_11hip_rocprim26transform_input_iterator_tIbNSD_35transform_pair_of_input_iterators_tIbNS6_6detail15normal_iteratorINS6_10device_ptrIKfEEEESL_NS6_8equal_toIfEEEENSG_9not_fun_tINSD_8identityEEEEENSD_19counting_iterator_tIlEES8_S8_S8_S8_S8_S8_S8_S8_EEEEPS9_S9_NSD_9__find_if7functorIS9_EEEE10hipError_tPvRmT1_T2_T3_mT4_P12ihipStream_tbEUlT_E0_NS1_11comp_targetILNS1_3genE0ELNS1_11target_archE4294967295ELNS1_3gpuE0ELNS1_3repE0EEENS1_30default_config_static_selectorELNS0_4arch9wavefront6targetE1EEEvS14_ ; -- Begin function _ZN7rocprim17ROCPRIM_400000_NS6detail17trampoline_kernelINS0_14default_configENS1_22reduce_config_selectorIN6thrust23THRUST_200600_302600_NS5tupleIblNS6_9null_typeES8_S8_S8_S8_S8_S8_S8_EEEEZNS1_11reduce_implILb1ES3_NS6_12zip_iteratorINS7_INS6_11hip_rocprim26transform_input_iterator_tIbNSD_35transform_pair_of_input_iterators_tIbNS6_6detail15normal_iteratorINS6_10device_ptrIKfEEEESL_NS6_8equal_toIfEEEENSG_9not_fun_tINSD_8identityEEEEENSD_19counting_iterator_tIlEES8_S8_S8_S8_S8_S8_S8_S8_EEEEPS9_S9_NSD_9__find_if7functorIS9_EEEE10hipError_tPvRmT1_T2_T3_mT4_P12ihipStream_tbEUlT_E0_NS1_11comp_targetILNS1_3genE0ELNS1_11target_archE4294967295ELNS1_3gpuE0ELNS1_3repE0EEENS1_30default_config_static_selectorELNS0_4arch9wavefront6targetE1EEEvS14_
	.globl	_ZN7rocprim17ROCPRIM_400000_NS6detail17trampoline_kernelINS0_14default_configENS1_22reduce_config_selectorIN6thrust23THRUST_200600_302600_NS5tupleIblNS6_9null_typeES8_S8_S8_S8_S8_S8_S8_EEEEZNS1_11reduce_implILb1ES3_NS6_12zip_iteratorINS7_INS6_11hip_rocprim26transform_input_iterator_tIbNSD_35transform_pair_of_input_iterators_tIbNS6_6detail15normal_iteratorINS6_10device_ptrIKfEEEESL_NS6_8equal_toIfEEEENSG_9not_fun_tINSD_8identityEEEEENSD_19counting_iterator_tIlEES8_S8_S8_S8_S8_S8_S8_S8_EEEEPS9_S9_NSD_9__find_if7functorIS9_EEEE10hipError_tPvRmT1_T2_T3_mT4_P12ihipStream_tbEUlT_E0_NS1_11comp_targetILNS1_3genE0ELNS1_11target_archE4294967295ELNS1_3gpuE0ELNS1_3repE0EEENS1_30default_config_static_selectorELNS0_4arch9wavefront6targetE1EEEvS14_
	.p2align	8
	.type	_ZN7rocprim17ROCPRIM_400000_NS6detail17trampoline_kernelINS0_14default_configENS1_22reduce_config_selectorIN6thrust23THRUST_200600_302600_NS5tupleIblNS6_9null_typeES8_S8_S8_S8_S8_S8_S8_EEEEZNS1_11reduce_implILb1ES3_NS6_12zip_iteratorINS7_INS6_11hip_rocprim26transform_input_iterator_tIbNSD_35transform_pair_of_input_iterators_tIbNS6_6detail15normal_iteratorINS6_10device_ptrIKfEEEESL_NS6_8equal_toIfEEEENSG_9not_fun_tINSD_8identityEEEEENSD_19counting_iterator_tIlEES8_S8_S8_S8_S8_S8_S8_S8_EEEEPS9_S9_NSD_9__find_if7functorIS9_EEEE10hipError_tPvRmT1_T2_T3_mT4_P12ihipStream_tbEUlT_E0_NS1_11comp_targetILNS1_3genE0ELNS1_11target_archE4294967295ELNS1_3gpuE0ELNS1_3repE0EEENS1_30default_config_static_selectorELNS0_4arch9wavefront6targetE1EEEvS14_,@function
_ZN7rocprim17ROCPRIM_400000_NS6detail17trampoline_kernelINS0_14default_configENS1_22reduce_config_selectorIN6thrust23THRUST_200600_302600_NS5tupleIblNS6_9null_typeES8_S8_S8_S8_S8_S8_S8_EEEEZNS1_11reduce_implILb1ES3_NS6_12zip_iteratorINS7_INS6_11hip_rocprim26transform_input_iterator_tIbNSD_35transform_pair_of_input_iterators_tIbNS6_6detail15normal_iteratorINS6_10device_ptrIKfEEEESL_NS6_8equal_toIfEEEENSG_9not_fun_tINSD_8identityEEEEENSD_19counting_iterator_tIlEES8_S8_S8_S8_S8_S8_S8_S8_EEEEPS9_S9_NSD_9__find_if7functorIS9_EEEE10hipError_tPvRmT1_T2_T3_mT4_P12ihipStream_tbEUlT_E0_NS1_11comp_targetILNS1_3genE0ELNS1_11target_archE4294967295ELNS1_3gpuE0ELNS1_3repE0EEENS1_30default_config_static_selectorELNS0_4arch9wavefront6targetE1EEEvS14_: ; @_ZN7rocprim17ROCPRIM_400000_NS6detail17trampoline_kernelINS0_14default_configENS1_22reduce_config_selectorIN6thrust23THRUST_200600_302600_NS5tupleIblNS6_9null_typeES8_S8_S8_S8_S8_S8_S8_EEEEZNS1_11reduce_implILb1ES3_NS6_12zip_iteratorINS7_INS6_11hip_rocprim26transform_input_iterator_tIbNSD_35transform_pair_of_input_iterators_tIbNS6_6detail15normal_iteratorINS6_10device_ptrIKfEEEESL_NS6_8equal_toIfEEEENSG_9not_fun_tINSD_8identityEEEEENSD_19counting_iterator_tIlEES8_S8_S8_S8_S8_S8_S8_S8_EEEEPS9_S9_NSD_9__find_if7functorIS9_EEEE10hipError_tPvRmT1_T2_T3_mT4_P12ihipStream_tbEUlT_E0_NS1_11comp_targetILNS1_3genE0ELNS1_11target_archE4294967295ELNS1_3gpuE0ELNS1_3repE0EEENS1_30default_config_static_selectorELNS0_4arch9wavefront6targetE1EEEvS14_
; %bb.0:
	.section	.rodata,"a",@progbits
	.p2align	6, 0x0
	.amdhsa_kernel _ZN7rocprim17ROCPRIM_400000_NS6detail17trampoline_kernelINS0_14default_configENS1_22reduce_config_selectorIN6thrust23THRUST_200600_302600_NS5tupleIblNS6_9null_typeES8_S8_S8_S8_S8_S8_S8_EEEEZNS1_11reduce_implILb1ES3_NS6_12zip_iteratorINS7_INS6_11hip_rocprim26transform_input_iterator_tIbNSD_35transform_pair_of_input_iterators_tIbNS6_6detail15normal_iteratorINS6_10device_ptrIKfEEEESL_NS6_8equal_toIfEEEENSG_9not_fun_tINSD_8identityEEEEENSD_19counting_iterator_tIlEES8_S8_S8_S8_S8_S8_S8_S8_EEEEPS9_S9_NSD_9__find_if7functorIS9_EEEE10hipError_tPvRmT1_T2_T3_mT4_P12ihipStream_tbEUlT_E0_NS1_11comp_targetILNS1_3genE0ELNS1_11target_archE4294967295ELNS1_3gpuE0ELNS1_3repE0EEENS1_30default_config_static_selectorELNS0_4arch9wavefront6targetE1EEEvS14_
		.amdhsa_group_segment_fixed_size 0
		.amdhsa_private_segment_fixed_size 0
		.amdhsa_kernarg_size 104
		.amdhsa_user_sgpr_count 6
		.amdhsa_user_sgpr_private_segment_buffer 1
		.amdhsa_user_sgpr_dispatch_ptr 0
		.amdhsa_user_sgpr_queue_ptr 0
		.amdhsa_user_sgpr_kernarg_segment_ptr 1
		.amdhsa_user_sgpr_dispatch_id 0
		.amdhsa_user_sgpr_flat_scratch_init 0
		.amdhsa_user_sgpr_kernarg_preload_length 0
		.amdhsa_user_sgpr_kernarg_preload_offset 0
		.amdhsa_user_sgpr_private_segment_size 0
		.amdhsa_uses_dynamic_stack 0
		.amdhsa_system_sgpr_private_segment_wavefront_offset 0
		.amdhsa_system_sgpr_workgroup_id_x 1
		.amdhsa_system_sgpr_workgroup_id_y 0
		.amdhsa_system_sgpr_workgroup_id_z 0
		.amdhsa_system_sgpr_workgroup_info 0
		.amdhsa_system_vgpr_workitem_id 0
		.amdhsa_next_free_vgpr 1
		.amdhsa_next_free_sgpr 0
		.amdhsa_accum_offset 4
		.amdhsa_reserve_vcc 0
		.amdhsa_reserve_flat_scratch 0
		.amdhsa_float_round_mode_32 0
		.amdhsa_float_round_mode_16_64 0
		.amdhsa_float_denorm_mode_32 3
		.amdhsa_float_denorm_mode_16_64 3
		.amdhsa_dx10_clamp 1
		.amdhsa_ieee_mode 1
		.amdhsa_fp16_overflow 0
		.amdhsa_tg_split 0
		.amdhsa_exception_fp_ieee_invalid_op 0
		.amdhsa_exception_fp_denorm_src 0
		.amdhsa_exception_fp_ieee_div_zero 0
		.amdhsa_exception_fp_ieee_overflow 0
		.amdhsa_exception_fp_ieee_underflow 0
		.amdhsa_exception_fp_ieee_inexact 0
		.amdhsa_exception_int_div_zero 0
	.end_amdhsa_kernel
	.section	.text._ZN7rocprim17ROCPRIM_400000_NS6detail17trampoline_kernelINS0_14default_configENS1_22reduce_config_selectorIN6thrust23THRUST_200600_302600_NS5tupleIblNS6_9null_typeES8_S8_S8_S8_S8_S8_S8_EEEEZNS1_11reduce_implILb1ES3_NS6_12zip_iteratorINS7_INS6_11hip_rocprim26transform_input_iterator_tIbNSD_35transform_pair_of_input_iterators_tIbNS6_6detail15normal_iteratorINS6_10device_ptrIKfEEEESL_NS6_8equal_toIfEEEENSG_9not_fun_tINSD_8identityEEEEENSD_19counting_iterator_tIlEES8_S8_S8_S8_S8_S8_S8_S8_EEEEPS9_S9_NSD_9__find_if7functorIS9_EEEE10hipError_tPvRmT1_T2_T3_mT4_P12ihipStream_tbEUlT_E0_NS1_11comp_targetILNS1_3genE0ELNS1_11target_archE4294967295ELNS1_3gpuE0ELNS1_3repE0EEENS1_30default_config_static_selectorELNS0_4arch9wavefront6targetE1EEEvS14_,"axG",@progbits,_ZN7rocprim17ROCPRIM_400000_NS6detail17trampoline_kernelINS0_14default_configENS1_22reduce_config_selectorIN6thrust23THRUST_200600_302600_NS5tupleIblNS6_9null_typeES8_S8_S8_S8_S8_S8_S8_EEEEZNS1_11reduce_implILb1ES3_NS6_12zip_iteratorINS7_INS6_11hip_rocprim26transform_input_iterator_tIbNSD_35transform_pair_of_input_iterators_tIbNS6_6detail15normal_iteratorINS6_10device_ptrIKfEEEESL_NS6_8equal_toIfEEEENSG_9not_fun_tINSD_8identityEEEEENSD_19counting_iterator_tIlEES8_S8_S8_S8_S8_S8_S8_S8_EEEEPS9_S9_NSD_9__find_if7functorIS9_EEEE10hipError_tPvRmT1_T2_T3_mT4_P12ihipStream_tbEUlT_E0_NS1_11comp_targetILNS1_3genE0ELNS1_11target_archE4294967295ELNS1_3gpuE0ELNS1_3repE0EEENS1_30default_config_static_selectorELNS0_4arch9wavefront6targetE1EEEvS14_,comdat
.Lfunc_end77:
	.size	_ZN7rocprim17ROCPRIM_400000_NS6detail17trampoline_kernelINS0_14default_configENS1_22reduce_config_selectorIN6thrust23THRUST_200600_302600_NS5tupleIblNS6_9null_typeES8_S8_S8_S8_S8_S8_S8_EEEEZNS1_11reduce_implILb1ES3_NS6_12zip_iteratorINS7_INS6_11hip_rocprim26transform_input_iterator_tIbNSD_35transform_pair_of_input_iterators_tIbNS6_6detail15normal_iteratorINS6_10device_ptrIKfEEEESL_NS6_8equal_toIfEEEENSG_9not_fun_tINSD_8identityEEEEENSD_19counting_iterator_tIlEES8_S8_S8_S8_S8_S8_S8_S8_EEEEPS9_S9_NSD_9__find_if7functorIS9_EEEE10hipError_tPvRmT1_T2_T3_mT4_P12ihipStream_tbEUlT_E0_NS1_11comp_targetILNS1_3genE0ELNS1_11target_archE4294967295ELNS1_3gpuE0ELNS1_3repE0EEENS1_30default_config_static_selectorELNS0_4arch9wavefront6targetE1EEEvS14_, .Lfunc_end77-_ZN7rocprim17ROCPRIM_400000_NS6detail17trampoline_kernelINS0_14default_configENS1_22reduce_config_selectorIN6thrust23THRUST_200600_302600_NS5tupleIblNS6_9null_typeES8_S8_S8_S8_S8_S8_S8_EEEEZNS1_11reduce_implILb1ES3_NS6_12zip_iteratorINS7_INS6_11hip_rocprim26transform_input_iterator_tIbNSD_35transform_pair_of_input_iterators_tIbNS6_6detail15normal_iteratorINS6_10device_ptrIKfEEEESL_NS6_8equal_toIfEEEENSG_9not_fun_tINSD_8identityEEEEENSD_19counting_iterator_tIlEES8_S8_S8_S8_S8_S8_S8_S8_EEEEPS9_S9_NSD_9__find_if7functorIS9_EEEE10hipError_tPvRmT1_T2_T3_mT4_P12ihipStream_tbEUlT_E0_NS1_11comp_targetILNS1_3genE0ELNS1_11target_archE4294967295ELNS1_3gpuE0ELNS1_3repE0EEENS1_30default_config_static_selectorELNS0_4arch9wavefront6targetE1EEEvS14_
                                        ; -- End function
	.section	.AMDGPU.csdata,"",@progbits
; Kernel info:
; codeLenInByte = 0
; NumSgprs: 4
; NumVgprs: 0
; NumAgprs: 0
; TotalNumVgprs: 0
; ScratchSize: 0
; MemoryBound: 0
; FloatMode: 240
; IeeeMode: 1
; LDSByteSize: 0 bytes/workgroup (compile time only)
; SGPRBlocks: 0
; VGPRBlocks: 0
; NumSGPRsForWavesPerEU: 4
; NumVGPRsForWavesPerEU: 1
; AccumOffset: 4
; Occupancy: 8
; WaveLimiterHint : 0
; COMPUTE_PGM_RSRC2:SCRATCH_EN: 0
; COMPUTE_PGM_RSRC2:USER_SGPR: 6
; COMPUTE_PGM_RSRC2:TRAP_HANDLER: 0
; COMPUTE_PGM_RSRC2:TGID_X_EN: 1
; COMPUTE_PGM_RSRC2:TGID_Y_EN: 0
; COMPUTE_PGM_RSRC2:TGID_Z_EN: 0
; COMPUTE_PGM_RSRC2:TIDIG_COMP_CNT: 0
; COMPUTE_PGM_RSRC3_GFX90A:ACCUM_OFFSET: 0
; COMPUTE_PGM_RSRC3_GFX90A:TG_SPLIT: 0
	.section	.text._ZN7rocprim17ROCPRIM_400000_NS6detail17trampoline_kernelINS0_14default_configENS1_22reduce_config_selectorIN6thrust23THRUST_200600_302600_NS5tupleIblNS6_9null_typeES8_S8_S8_S8_S8_S8_S8_EEEEZNS1_11reduce_implILb1ES3_NS6_12zip_iteratorINS7_INS6_11hip_rocprim26transform_input_iterator_tIbNSD_35transform_pair_of_input_iterators_tIbNS6_6detail15normal_iteratorINS6_10device_ptrIKfEEEESL_NS6_8equal_toIfEEEENSG_9not_fun_tINSD_8identityEEEEENSD_19counting_iterator_tIlEES8_S8_S8_S8_S8_S8_S8_S8_EEEEPS9_S9_NSD_9__find_if7functorIS9_EEEE10hipError_tPvRmT1_T2_T3_mT4_P12ihipStream_tbEUlT_E0_NS1_11comp_targetILNS1_3genE5ELNS1_11target_archE942ELNS1_3gpuE9ELNS1_3repE0EEENS1_30default_config_static_selectorELNS0_4arch9wavefront6targetE1EEEvS14_,"axG",@progbits,_ZN7rocprim17ROCPRIM_400000_NS6detail17trampoline_kernelINS0_14default_configENS1_22reduce_config_selectorIN6thrust23THRUST_200600_302600_NS5tupleIblNS6_9null_typeES8_S8_S8_S8_S8_S8_S8_EEEEZNS1_11reduce_implILb1ES3_NS6_12zip_iteratorINS7_INS6_11hip_rocprim26transform_input_iterator_tIbNSD_35transform_pair_of_input_iterators_tIbNS6_6detail15normal_iteratorINS6_10device_ptrIKfEEEESL_NS6_8equal_toIfEEEENSG_9not_fun_tINSD_8identityEEEEENSD_19counting_iterator_tIlEES8_S8_S8_S8_S8_S8_S8_S8_EEEEPS9_S9_NSD_9__find_if7functorIS9_EEEE10hipError_tPvRmT1_T2_T3_mT4_P12ihipStream_tbEUlT_E0_NS1_11comp_targetILNS1_3genE5ELNS1_11target_archE942ELNS1_3gpuE9ELNS1_3repE0EEENS1_30default_config_static_selectorELNS0_4arch9wavefront6targetE1EEEvS14_,comdat
	.protected	_ZN7rocprim17ROCPRIM_400000_NS6detail17trampoline_kernelINS0_14default_configENS1_22reduce_config_selectorIN6thrust23THRUST_200600_302600_NS5tupleIblNS6_9null_typeES8_S8_S8_S8_S8_S8_S8_EEEEZNS1_11reduce_implILb1ES3_NS6_12zip_iteratorINS7_INS6_11hip_rocprim26transform_input_iterator_tIbNSD_35transform_pair_of_input_iterators_tIbNS6_6detail15normal_iteratorINS6_10device_ptrIKfEEEESL_NS6_8equal_toIfEEEENSG_9not_fun_tINSD_8identityEEEEENSD_19counting_iterator_tIlEES8_S8_S8_S8_S8_S8_S8_S8_EEEEPS9_S9_NSD_9__find_if7functorIS9_EEEE10hipError_tPvRmT1_T2_T3_mT4_P12ihipStream_tbEUlT_E0_NS1_11comp_targetILNS1_3genE5ELNS1_11target_archE942ELNS1_3gpuE9ELNS1_3repE0EEENS1_30default_config_static_selectorELNS0_4arch9wavefront6targetE1EEEvS14_ ; -- Begin function _ZN7rocprim17ROCPRIM_400000_NS6detail17trampoline_kernelINS0_14default_configENS1_22reduce_config_selectorIN6thrust23THRUST_200600_302600_NS5tupleIblNS6_9null_typeES8_S8_S8_S8_S8_S8_S8_EEEEZNS1_11reduce_implILb1ES3_NS6_12zip_iteratorINS7_INS6_11hip_rocprim26transform_input_iterator_tIbNSD_35transform_pair_of_input_iterators_tIbNS6_6detail15normal_iteratorINS6_10device_ptrIKfEEEESL_NS6_8equal_toIfEEEENSG_9not_fun_tINSD_8identityEEEEENSD_19counting_iterator_tIlEES8_S8_S8_S8_S8_S8_S8_S8_EEEEPS9_S9_NSD_9__find_if7functorIS9_EEEE10hipError_tPvRmT1_T2_T3_mT4_P12ihipStream_tbEUlT_E0_NS1_11comp_targetILNS1_3genE5ELNS1_11target_archE942ELNS1_3gpuE9ELNS1_3repE0EEENS1_30default_config_static_selectorELNS0_4arch9wavefront6targetE1EEEvS14_
	.globl	_ZN7rocprim17ROCPRIM_400000_NS6detail17trampoline_kernelINS0_14default_configENS1_22reduce_config_selectorIN6thrust23THRUST_200600_302600_NS5tupleIblNS6_9null_typeES8_S8_S8_S8_S8_S8_S8_EEEEZNS1_11reduce_implILb1ES3_NS6_12zip_iteratorINS7_INS6_11hip_rocprim26transform_input_iterator_tIbNSD_35transform_pair_of_input_iterators_tIbNS6_6detail15normal_iteratorINS6_10device_ptrIKfEEEESL_NS6_8equal_toIfEEEENSG_9not_fun_tINSD_8identityEEEEENSD_19counting_iterator_tIlEES8_S8_S8_S8_S8_S8_S8_S8_EEEEPS9_S9_NSD_9__find_if7functorIS9_EEEE10hipError_tPvRmT1_T2_T3_mT4_P12ihipStream_tbEUlT_E0_NS1_11comp_targetILNS1_3genE5ELNS1_11target_archE942ELNS1_3gpuE9ELNS1_3repE0EEENS1_30default_config_static_selectorELNS0_4arch9wavefront6targetE1EEEvS14_
	.p2align	8
	.type	_ZN7rocprim17ROCPRIM_400000_NS6detail17trampoline_kernelINS0_14default_configENS1_22reduce_config_selectorIN6thrust23THRUST_200600_302600_NS5tupleIblNS6_9null_typeES8_S8_S8_S8_S8_S8_S8_EEEEZNS1_11reduce_implILb1ES3_NS6_12zip_iteratorINS7_INS6_11hip_rocprim26transform_input_iterator_tIbNSD_35transform_pair_of_input_iterators_tIbNS6_6detail15normal_iteratorINS6_10device_ptrIKfEEEESL_NS6_8equal_toIfEEEENSG_9not_fun_tINSD_8identityEEEEENSD_19counting_iterator_tIlEES8_S8_S8_S8_S8_S8_S8_S8_EEEEPS9_S9_NSD_9__find_if7functorIS9_EEEE10hipError_tPvRmT1_T2_T3_mT4_P12ihipStream_tbEUlT_E0_NS1_11comp_targetILNS1_3genE5ELNS1_11target_archE942ELNS1_3gpuE9ELNS1_3repE0EEENS1_30default_config_static_selectorELNS0_4arch9wavefront6targetE1EEEvS14_,@function
_ZN7rocprim17ROCPRIM_400000_NS6detail17trampoline_kernelINS0_14default_configENS1_22reduce_config_selectorIN6thrust23THRUST_200600_302600_NS5tupleIblNS6_9null_typeES8_S8_S8_S8_S8_S8_S8_EEEEZNS1_11reduce_implILb1ES3_NS6_12zip_iteratorINS7_INS6_11hip_rocprim26transform_input_iterator_tIbNSD_35transform_pair_of_input_iterators_tIbNS6_6detail15normal_iteratorINS6_10device_ptrIKfEEEESL_NS6_8equal_toIfEEEENSG_9not_fun_tINSD_8identityEEEEENSD_19counting_iterator_tIlEES8_S8_S8_S8_S8_S8_S8_S8_EEEEPS9_S9_NSD_9__find_if7functorIS9_EEEE10hipError_tPvRmT1_T2_T3_mT4_P12ihipStream_tbEUlT_E0_NS1_11comp_targetILNS1_3genE5ELNS1_11target_archE942ELNS1_3gpuE9ELNS1_3repE0EEENS1_30default_config_static_selectorELNS0_4arch9wavefront6targetE1EEEvS14_: ; @_ZN7rocprim17ROCPRIM_400000_NS6detail17trampoline_kernelINS0_14default_configENS1_22reduce_config_selectorIN6thrust23THRUST_200600_302600_NS5tupleIblNS6_9null_typeES8_S8_S8_S8_S8_S8_S8_EEEEZNS1_11reduce_implILb1ES3_NS6_12zip_iteratorINS7_INS6_11hip_rocprim26transform_input_iterator_tIbNSD_35transform_pair_of_input_iterators_tIbNS6_6detail15normal_iteratorINS6_10device_ptrIKfEEEESL_NS6_8equal_toIfEEEENSG_9not_fun_tINSD_8identityEEEEENSD_19counting_iterator_tIlEES8_S8_S8_S8_S8_S8_S8_S8_EEEEPS9_S9_NSD_9__find_if7functorIS9_EEEE10hipError_tPvRmT1_T2_T3_mT4_P12ihipStream_tbEUlT_E0_NS1_11comp_targetILNS1_3genE5ELNS1_11target_archE942ELNS1_3gpuE9ELNS1_3repE0EEENS1_30default_config_static_selectorELNS0_4arch9wavefront6targetE1EEEvS14_
; %bb.0:
	.section	.rodata,"a",@progbits
	.p2align	6, 0x0
	.amdhsa_kernel _ZN7rocprim17ROCPRIM_400000_NS6detail17trampoline_kernelINS0_14default_configENS1_22reduce_config_selectorIN6thrust23THRUST_200600_302600_NS5tupleIblNS6_9null_typeES8_S8_S8_S8_S8_S8_S8_EEEEZNS1_11reduce_implILb1ES3_NS6_12zip_iteratorINS7_INS6_11hip_rocprim26transform_input_iterator_tIbNSD_35transform_pair_of_input_iterators_tIbNS6_6detail15normal_iteratorINS6_10device_ptrIKfEEEESL_NS6_8equal_toIfEEEENSG_9not_fun_tINSD_8identityEEEEENSD_19counting_iterator_tIlEES8_S8_S8_S8_S8_S8_S8_S8_EEEEPS9_S9_NSD_9__find_if7functorIS9_EEEE10hipError_tPvRmT1_T2_T3_mT4_P12ihipStream_tbEUlT_E0_NS1_11comp_targetILNS1_3genE5ELNS1_11target_archE942ELNS1_3gpuE9ELNS1_3repE0EEENS1_30default_config_static_selectorELNS0_4arch9wavefront6targetE1EEEvS14_
		.amdhsa_group_segment_fixed_size 0
		.amdhsa_private_segment_fixed_size 0
		.amdhsa_kernarg_size 104
		.amdhsa_user_sgpr_count 6
		.amdhsa_user_sgpr_private_segment_buffer 1
		.amdhsa_user_sgpr_dispatch_ptr 0
		.amdhsa_user_sgpr_queue_ptr 0
		.amdhsa_user_sgpr_kernarg_segment_ptr 1
		.amdhsa_user_sgpr_dispatch_id 0
		.amdhsa_user_sgpr_flat_scratch_init 0
		.amdhsa_user_sgpr_kernarg_preload_length 0
		.amdhsa_user_sgpr_kernarg_preload_offset 0
		.amdhsa_user_sgpr_private_segment_size 0
		.amdhsa_uses_dynamic_stack 0
		.amdhsa_system_sgpr_private_segment_wavefront_offset 0
		.amdhsa_system_sgpr_workgroup_id_x 1
		.amdhsa_system_sgpr_workgroup_id_y 0
		.amdhsa_system_sgpr_workgroup_id_z 0
		.amdhsa_system_sgpr_workgroup_info 0
		.amdhsa_system_vgpr_workitem_id 0
		.amdhsa_next_free_vgpr 1
		.amdhsa_next_free_sgpr 0
		.amdhsa_accum_offset 4
		.amdhsa_reserve_vcc 0
		.amdhsa_reserve_flat_scratch 0
		.amdhsa_float_round_mode_32 0
		.amdhsa_float_round_mode_16_64 0
		.amdhsa_float_denorm_mode_32 3
		.amdhsa_float_denorm_mode_16_64 3
		.amdhsa_dx10_clamp 1
		.amdhsa_ieee_mode 1
		.amdhsa_fp16_overflow 0
		.amdhsa_tg_split 0
		.amdhsa_exception_fp_ieee_invalid_op 0
		.amdhsa_exception_fp_denorm_src 0
		.amdhsa_exception_fp_ieee_div_zero 0
		.amdhsa_exception_fp_ieee_overflow 0
		.amdhsa_exception_fp_ieee_underflow 0
		.amdhsa_exception_fp_ieee_inexact 0
		.amdhsa_exception_int_div_zero 0
	.end_amdhsa_kernel
	.section	.text._ZN7rocprim17ROCPRIM_400000_NS6detail17trampoline_kernelINS0_14default_configENS1_22reduce_config_selectorIN6thrust23THRUST_200600_302600_NS5tupleIblNS6_9null_typeES8_S8_S8_S8_S8_S8_S8_EEEEZNS1_11reduce_implILb1ES3_NS6_12zip_iteratorINS7_INS6_11hip_rocprim26transform_input_iterator_tIbNSD_35transform_pair_of_input_iterators_tIbNS6_6detail15normal_iteratorINS6_10device_ptrIKfEEEESL_NS6_8equal_toIfEEEENSG_9not_fun_tINSD_8identityEEEEENSD_19counting_iterator_tIlEES8_S8_S8_S8_S8_S8_S8_S8_EEEEPS9_S9_NSD_9__find_if7functorIS9_EEEE10hipError_tPvRmT1_T2_T3_mT4_P12ihipStream_tbEUlT_E0_NS1_11comp_targetILNS1_3genE5ELNS1_11target_archE942ELNS1_3gpuE9ELNS1_3repE0EEENS1_30default_config_static_selectorELNS0_4arch9wavefront6targetE1EEEvS14_,"axG",@progbits,_ZN7rocprim17ROCPRIM_400000_NS6detail17trampoline_kernelINS0_14default_configENS1_22reduce_config_selectorIN6thrust23THRUST_200600_302600_NS5tupleIblNS6_9null_typeES8_S8_S8_S8_S8_S8_S8_EEEEZNS1_11reduce_implILb1ES3_NS6_12zip_iteratorINS7_INS6_11hip_rocprim26transform_input_iterator_tIbNSD_35transform_pair_of_input_iterators_tIbNS6_6detail15normal_iteratorINS6_10device_ptrIKfEEEESL_NS6_8equal_toIfEEEENSG_9not_fun_tINSD_8identityEEEEENSD_19counting_iterator_tIlEES8_S8_S8_S8_S8_S8_S8_S8_EEEEPS9_S9_NSD_9__find_if7functorIS9_EEEE10hipError_tPvRmT1_T2_T3_mT4_P12ihipStream_tbEUlT_E0_NS1_11comp_targetILNS1_3genE5ELNS1_11target_archE942ELNS1_3gpuE9ELNS1_3repE0EEENS1_30default_config_static_selectorELNS0_4arch9wavefront6targetE1EEEvS14_,comdat
.Lfunc_end78:
	.size	_ZN7rocprim17ROCPRIM_400000_NS6detail17trampoline_kernelINS0_14default_configENS1_22reduce_config_selectorIN6thrust23THRUST_200600_302600_NS5tupleIblNS6_9null_typeES8_S8_S8_S8_S8_S8_S8_EEEEZNS1_11reduce_implILb1ES3_NS6_12zip_iteratorINS7_INS6_11hip_rocprim26transform_input_iterator_tIbNSD_35transform_pair_of_input_iterators_tIbNS6_6detail15normal_iteratorINS6_10device_ptrIKfEEEESL_NS6_8equal_toIfEEEENSG_9not_fun_tINSD_8identityEEEEENSD_19counting_iterator_tIlEES8_S8_S8_S8_S8_S8_S8_S8_EEEEPS9_S9_NSD_9__find_if7functorIS9_EEEE10hipError_tPvRmT1_T2_T3_mT4_P12ihipStream_tbEUlT_E0_NS1_11comp_targetILNS1_3genE5ELNS1_11target_archE942ELNS1_3gpuE9ELNS1_3repE0EEENS1_30default_config_static_selectorELNS0_4arch9wavefront6targetE1EEEvS14_, .Lfunc_end78-_ZN7rocprim17ROCPRIM_400000_NS6detail17trampoline_kernelINS0_14default_configENS1_22reduce_config_selectorIN6thrust23THRUST_200600_302600_NS5tupleIblNS6_9null_typeES8_S8_S8_S8_S8_S8_S8_EEEEZNS1_11reduce_implILb1ES3_NS6_12zip_iteratorINS7_INS6_11hip_rocprim26transform_input_iterator_tIbNSD_35transform_pair_of_input_iterators_tIbNS6_6detail15normal_iteratorINS6_10device_ptrIKfEEEESL_NS6_8equal_toIfEEEENSG_9not_fun_tINSD_8identityEEEEENSD_19counting_iterator_tIlEES8_S8_S8_S8_S8_S8_S8_S8_EEEEPS9_S9_NSD_9__find_if7functorIS9_EEEE10hipError_tPvRmT1_T2_T3_mT4_P12ihipStream_tbEUlT_E0_NS1_11comp_targetILNS1_3genE5ELNS1_11target_archE942ELNS1_3gpuE9ELNS1_3repE0EEENS1_30default_config_static_selectorELNS0_4arch9wavefront6targetE1EEEvS14_
                                        ; -- End function
	.section	.AMDGPU.csdata,"",@progbits
; Kernel info:
; codeLenInByte = 0
; NumSgprs: 4
; NumVgprs: 0
; NumAgprs: 0
; TotalNumVgprs: 0
; ScratchSize: 0
; MemoryBound: 0
; FloatMode: 240
; IeeeMode: 1
; LDSByteSize: 0 bytes/workgroup (compile time only)
; SGPRBlocks: 0
; VGPRBlocks: 0
; NumSGPRsForWavesPerEU: 4
; NumVGPRsForWavesPerEU: 1
; AccumOffset: 4
; Occupancy: 8
; WaveLimiterHint : 0
; COMPUTE_PGM_RSRC2:SCRATCH_EN: 0
; COMPUTE_PGM_RSRC2:USER_SGPR: 6
; COMPUTE_PGM_RSRC2:TRAP_HANDLER: 0
; COMPUTE_PGM_RSRC2:TGID_X_EN: 1
; COMPUTE_PGM_RSRC2:TGID_Y_EN: 0
; COMPUTE_PGM_RSRC2:TGID_Z_EN: 0
; COMPUTE_PGM_RSRC2:TIDIG_COMP_CNT: 0
; COMPUTE_PGM_RSRC3_GFX90A:ACCUM_OFFSET: 0
; COMPUTE_PGM_RSRC3_GFX90A:TG_SPLIT: 0
	.section	.text._ZN7rocprim17ROCPRIM_400000_NS6detail17trampoline_kernelINS0_14default_configENS1_22reduce_config_selectorIN6thrust23THRUST_200600_302600_NS5tupleIblNS6_9null_typeES8_S8_S8_S8_S8_S8_S8_EEEEZNS1_11reduce_implILb1ES3_NS6_12zip_iteratorINS7_INS6_11hip_rocprim26transform_input_iterator_tIbNSD_35transform_pair_of_input_iterators_tIbNS6_6detail15normal_iteratorINS6_10device_ptrIKfEEEESL_NS6_8equal_toIfEEEENSG_9not_fun_tINSD_8identityEEEEENSD_19counting_iterator_tIlEES8_S8_S8_S8_S8_S8_S8_S8_EEEEPS9_S9_NSD_9__find_if7functorIS9_EEEE10hipError_tPvRmT1_T2_T3_mT4_P12ihipStream_tbEUlT_E0_NS1_11comp_targetILNS1_3genE4ELNS1_11target_archE910ELNS1_3gpuE8ELNS1_3repE0EEENS1_30default_config_static_selectorELNS0_4arch9wavefront6targetE1EEEvS14_,"axG",@progbits,_ZN7rocprim17ROCPRIM_400000_NS6detail17trampoline_kernelINS0_14default_configENS1_22reduce_config_selectorIN6thrust23THRUST_200600_302600_NS5tupleIblNS6_9null_typeES8_S8_S8_S8_S8_S8_S8_EEEEZNS1_11reduce_implILb1ES3_NS6_12zip_iteratorINS7_INS6_11hip_rocprim26transform_input_iterator_tIbNSD_35transform_pair_of_input_iterators_tIbNS6_6detail15normal_iteratorINS6_10device_ptrIKfEEEESL_NS6_8equal_toIfEEEENSG_9not_fun_tINSD_8identityEEEEENSD_19counting_iterator_tIlEES8_S8_S8_S8_S8_S8_S8_S8_EEEEPS9_S9_NSD_9__find_if7functorIS9_EEEE10hipError_tPvRmT1_T2_T3_mT4_P12ihipStream_tbEUlT_E0_NS1_11comp_targetILNS1_3genE4ELNS1_11target_archE910ELNS1_3gpuE8ELNS1_3repE0EEENS1_30default_config_static_selectorELNS0_4arch9wavefront6targetE1EEEvS14_,comdat
	.protected	_ZN7rocprim17ROCPRIM_400000_NS6detail17trampoline_kernelINS0_14default_configENS1_22reduce_config_selectorIN6thrust23THRUST_200600_302600_NS5tupleIblNS6_9null_typeES8_S8_S8_S8_S8_S8_S8_EEEEZNS1_11reduce_implILb1ES3_NS6_12zip_iteratorINS7_INS6_11hip_rocprim26transform_input_iterator_tIbNSD_35transform_pair_of_input_iterators_tIbNS6_6detail15normal_iteratorINS6_10device_ptrIKfEEEESL_NS6_8equal_toIfEEEENSG_9not_fun_tINSD_8identityEEEEENSD_19counting_iterator_tIlEES8_S8_S8_S8_S8_S8_S8_S8_EEEEPS9_S9_NSD_9__find_if7functorIS9_EEEE10hipError_tPvRmT1_T2_T3_mT4_P12ihipStream_tbEUlT_E0_NS1_11comp_targetILNS1_3genE4ELNS1_11target_archE910ELNS1_3gpuE8ELNS1_3repE0EEENS1_30default_config_static_selectorELNS0_4arch9wavefront6targetE1EEEvS14_ ; -- Begin function _ZN7rocprim17ROCPRIM_400000_NS6detail17trampoline_kernelINS0_14default_configENS1_22reduce_config_selectorIN6thrust23THRUST_200600_302600_NS5tupleIblNS6_9null_typeES8_S8_S8_S8_S8_S8_S8_EEEEZNS1_11reduce_implILb1ES3_NS6_12zip_iteratorINS7_INS6_11hip_rocprim26transform_input_iterator_tIbNSD_35transform_pair_of_input_iterators_tIbNS6_6detail15normal_iteratorINS6_10device_ptrIKfEEEESL_NS6_8equal_toIfEEEENSG_9not_fun_tINSD_8identityEEEEENSD_19counting_iterator_tIlEES8_S8_S8_S8_S8_S8_S8_S8_EEEEPS9_S9_NSD_9__find_if7functorIS9_EEEE10hipError_tPvRmT1_T2_T3_mT4_P12ihipStream_tbEUlT_E0_NS1_11comp_targetILNS1_3genE4ELNS1_11target_archE910ELNS1_3gpuE8ELNS1_3repE0EEENS1_30default_config_static_selectorELNS0_4arch9wavefront6targetE1EEEvS14_
	.globl	_ZN7rocprim17ROCPRIM_400000_NS6detail17trampoline_kernelINS0_14default_configENS1_22reduce_config_selectorIN6thrust23THRUST_200600_302600_NS5tupleIblNS6_9null_typeES8_S8_S8_S8_S8_S8_S8_EEEEZNS1_11reduce_implILb1ES3_NS6_12zip_iteratorINS7_INS6_11hip_rocprim26transform_input_iterator_tIbNSD_35transform_pair_of_input_iterators_tIbNS6_6detail15normal_iteratorINS6_10device_ptrIKfEEEESL_NS6_8equal_toIfEEEENSG_9not_fun_tINSD_8identityEEEEENSD_19counting_iterator_tIlEES8_S8_S8_S8_S8_S8_S8_S8_EEEEPS9_S9_NSD_9__find_if7functorIS9_EEEE10hipError_tPvRmT1_T2_T3_mT4_P12ihipStream_tbEUlT_E0_NS1_11comp_targetILNS1_3genE4ELNS1_11target_archE910ELNS1_3gpuE8ELNS1_3repE0EEENS1_30default_config_static_selectorELNS0_4arch9wavefront6targetE1EEEvS14_
	.p2align	8
	.type	_ZN7rocprim17ROCPRIM_400000_NS6detail17trampoline_kernelINS0_14default_configENS1_22reduce_config_selectorIN6thrust23THRUST_200600_302600_NS5tupleIblNS6_9null_typeES8_S8_S8_S8_S8_S8_S8_EEEEZNS1_11reduce_implILb1ES3_NS6_12zip_iteratorINS7_INS6_11hip_rocprim26transform_input_iterator_tIbNSD_35transform_pair_of_input_iterators_tIbNS6_6detail15normal_iteratorINS6_10device_ptrIKfEEEESL_NS6_8equal_toIfEEEENSG_9not_fun_tINSD_8identityEEEEENSD_19counting_iterator_tIlEES8_S8_S8_S8_S8_S8_S8_S8_EEEEPS9_S9_NSD_9__find_if7functorIS9_EEEE10hipError_tPvRmT1_T2_T3_mT4_P12ihipStream_tbEUlT_E0_NS1_11comp_targetILNS1_3genE4ELNS1_11target_archE910ELNS1_3gpuE8ELNS1_3repE0EEENS1_30default_config_static_selectorELNS0_4arch9wavefront6targetE1EEEvS14_,@function
_ZN7rocprim17ROCPRIM_400000_NS6detail17trampoline_kernelINS0_14default_configENS1_22reduce_config_selectorIN6thrust23THRUST_200600_302600_NS5tupleIblNS6_9null_typeES8_S8_S8_S8_S8_S8_S8_EEEEZNS1_11reduce_implILb1ES3_NS6_12zip_iteratorINS7_INS6_11hip_rocprim26transform_input_iterator_tIbNSD_35transform_pair_of_input_iterators_tIbNS6_6detail15normal_iteratorINS6_10device_ptrIKfEEEESL_NS6_8equal_toIfEEEENSG_9not_fun_tINSD_8identityEEEEENSD_19counting_iterator_tIlEES8_S8_S8_S8_S8_S8_S8_S8_EEEEPS9_S9_NSD_9__find_if7functorIS9_EEEE10hipError_tPvRmT1_T2_T3_mT4_P12ihipStream_tbEUlT_E0_NS1_11comp_targetILNS1_3genE4ELNS1_11target_archE910ELNS1_3gpuE8ELNS1_3repE0EEENS1_30default_config_static_selectorELNS0_4arch9wavefront6targetE1EEEvS14_: ; @_ZN7rocprim17ROCPRIM_400000_NS6detail17trampoline_kernelINS0_14default_configENS1_22reduce_config_selectorIN6thrust23THRUST_200600_302600_NS5tupleIblNS6_9null_typeES8_S8_S8_S8_S8_S8_S8_EEEEZNS1_11reduce_implILb1ES3_NS6_12zip_iteratorINS7_INS6_11hip_rocprim26transform_input_iterator_tIbNSD_35transform_pair_of_input_iterators_tIbNS6_6detail15normal_iteratorINS6_10device_ptrIKfEEEESL_NS6_8equal_toIfEEEENSG_9not_fun_tINSD_8identityEEEEENSD_19counting_iterator_tIlEES8_S8_S8_S8_S8_S8_S8_S8_EEEEPS9_S9_NSD_9__find_if7functorIS9_EEEE10hipError_tPvRmT1_T2_T3_mT4_P12ihipStream_tbEUlT_E0_NS1_11comp_targetILNS1_3genE4ELNS1_11target_archE910ELNS1_3gpuE8ELNS1_3repE0EEENS1_30default_config_static_selectorELNS0_4arch9wavefront6targetE1EEEvS14_
; %bb.0:
	s_load_dwordx8 s[8:15], s[4:5], 0x20
	s_load_dwordx4 s[0:3], s[4:5], 0x0
	s_load_dwordx4 s[16:19], s[4:5], 0x40
	s_mov_b32 s25, 0
	s_mov_b32 s7, s25
	s_waitcnt lgkmcnt(0)
	s_lshl_b64 s[20:21], s[10:11], 2
	s_add_u32 s22, s0, s20
	s_addc_u32 s23, s1, s21
	s_add_u32 s26, s2, s20
	s_addc_u32 s27, s3, s21
	s_lshl_b32 s24, s6, 9
	s_lshr_b64 s[0:1], s[12:13], 9
	s_lshl_b64 s[2:3], s[24:25], 2
	s_add_u32 s20, s22, s2
	s_addc_u32 s21, s23, s3
	s_add_u32 s22, s26, s2
	s_addc_u32 s23, s27, s3
	;; [unrolled: 2-line block ×4, first 2 shown]
	s_cmp_lg_u64 s[0:1], s[6:7]
	v_lshlrev_b32_e32 v1, 2, v0
	s_cbranch_scc0 .LBB79_18
; %bb.1:
	global_load_dword v2, v1, s[22:23] offset:1024
	global_load_dword v3, v1, s[22:23]
	global_load_dword v4, v1, s[20:21] offset:1024
	global_load_dword v5, v1, s[20:21]
	v_mov_b32_e32 v6, s9
	v_add_co_u32_e32 v7, vcc, s8, v0
	v_addc_co_u32_e32 v6, vcc, 0, v6, vcc
	v_add_co_u32_e32 v8, vcc, 0x100, v7
	v_addc_co_u32_e32 v9, vcc, 0, v6, vcc
	s_waitcnt vmcnt(1)
	v_cmp_neq_f32_e32 vcc, v4, v2
	s_waitcnt vmcnt(0)
	v_cmp_neq_f32_e64 s[0:1], v5, v3
	v_cndmask_b32_e64 v3, v9, v6, s[0:1]
	v_cndmask_b32_e64 v2, v8, v7, s[0:1]
	s_or_b64 s[0:1], s[0:1], vcc
	v_cndmask_b32_e64 v6, 0, 1, s[0:1]
	v_mov_b32_dpp v4, v2 quad_perm:[1,0,3,2] row_mask:0xf bank_mask:0xf bound_ctrl:1
	v_mov_b32_dpp v5, v3 quad_perm:[1,0,3,2] row_mask:0xf bank_mask:0xf bound_ctrl:1
	;; [unrolled: 1-line block ×3, first 2 shown]
	v_and_b32_e32 v8, 1, v7
	v_cmp_eq_u32_e32 vcc, 1, v8
	s_and_saveexec_b64 s[2:3], vcc
; %bb.2:
	v_cmp_lt_i64_e32 vcc, v[2:3], v[4:5]
	v_cndmask_b32_e64 v7, v7, 1, s[0:1]
	s_and_b64 vcc, s[0:1], vcc
	v_cndmask_b32_e32 v2, v4, v2, vcc
	v_and_b32_e32 v4, 1, v7
	v_cndmask_b32_e32 v3, v5, v3, vcc
	v_cmp_eq_u32_e32 vcc, 1, v4
	s_andn2_b64 s[0:1], s[0:1], exec
	s_and_b64 s[10:11], vcc, exec
	v_and_b32_e32 v6, 0xff, v7
	s_or_b64 s[0:1], s[0:1], s[10:11]
; %bb.3:
	s_or_b64 exec, exec, s[2:3]
	v_mov_b32_dpp v7, v6 quad_perm:[2,3,0,1] row_mask:0xf bank_mask:0xf bound_ctrl:1
	v_and_b32_e32 v8, 1, v7
	v_mov_b32_dpp v4, v2 quad_perm:[2,3,0,1] row_mask:0xf bank_mask:0xf bound_ctrl:1
	v_mov_b32_dpp v5, v3 quad_perm:[2,3,0,1] row_mask:0xf bank_mask:0xf bound_ctrl:1
	v_cmp_eq_u32_e32 vcc, 1, v8
	s_and_saveexec_b64 s[2:3], vcc
; %bb.4:
	v_cmp_lt_i64_e32 vcc, v[2:3], v[4:5]
	v_cndmask_b32_e64 v7, v7, 1, s[0:1]
	s_and_b64 vcc, s[0:1], vcc
	v_cndmask_b32_e32 v2, v4, v2, vcc
	v_and_b32_e32 v4, 1, v7
	v_cndmask_b32_e32 v3, v5, v3, vcc
	v_cmp_eq_u32_e32 vcc, 1, v4
	s_andn2_b64 s[0:1], s[0:1], exec
	s_and_b64 s[10:11], vcc, exec
	v_and_b32_e32 v6, 0xff, v7
	s_or_b64 s[0:1], s[0:1], s[10:11]
; %bb.5:
	s_or_b64 exec, exec, s[2:3]
	v_mov_b32_dpp v7, v6 row_ror:4 row_mask:0xf bank_mask:0xf bound_ctrl:1
	v_and_b32_e32 v8, 1, v7
	v_mov_b32_dpp v4, v2 row_ror:4 row_mask:0xf bank_mask:0xf bound_ctrl:1
	v_mov_b32_dpp v5, v3 row_ror:4 row_mask:0xf bank_mask:0xf bound_ctrl:1
	v_cmp_eq_u32_e32 vcc, 1, v8
	s_and_saveexec_b64 s[2:3], vcc
; %bb.6:
	v_cmp_lt_i64_e32 vcc, v[2:3], v[4:5]
	v_cndmask_b32_e64 v7, v7, 1, s[0:1]
	s_and_b64 vcc, s[0:1], vcc
	v_cndmask_b32_e32 v2, v4, v2, vcc
	v_and_b32_e32 v4, 1, v7
	v_cndmask_b32_e32 v3, v5, v3, vcc
	v_cmp_eq_u32_e32 vcc, 1, v4
	s_andn2_b64 s[0:1], s[0:1], exec
	s_and_b64 s[10:11], vcc, exec
	v_and_b32_e32 v6, 0xff, v7
	s_or_b64 s[0:1], s[0:1], s[10:11]
; %bb.7:
	s_or_b64 exec, exec, s[2:3]
	v_mov_b32_dpp v7, v6 row_ror:8 row_mask:0xf bank_mask:0xf bound_ctrl:1
	v_and_b32_e32 v8, 1, v7
	v_mov_b32_dpp v4, v2 row_ror:8 row_mask:0xf bank_mask:0xf bound_ctrl:1
	v_mov_b32_dpp v5, v3 row_ror:8 row_mask:0xf bank_mask:0xf bound_ctrl:1
	v_cmp_eq_u32_e32 vcc, 1, v8
	s_and_saveexec_b64 s[2:3], vcc
; %bb.8:
	v_cmp_lt_i64_e32 vcc, v[2:3], v[4:5]
	v_cndmask_b32_e64 v7, v7, 1, s[0:1]
	s_and_b64 vcc, s[0:1], vcc
	v_cndmask_b32_e32 v2, v4, v2, vcc
	v_and_b32_e32 v4, 1, v7
	v_cndmask_b32_e32 v3, v5, v3, vcc
	v_cmp_eq_u32_e32 vcc, 1, v4
	s_andn2_b64 s[0:1], s[0:1], exec
	s_and_b64 s[10:11], vcc, exec
	v_and_b32_e32 v6, 0xff, v7
	s_or_b64 s[0:1], s[0:1], s[10:11]
; %bb.9:
	s_or_b64 exec, exec, s[2:3]
	v_mov_b32_dpp v7, v6 row_bcast:15 row_mask:0xf bank_mask:0xf bound_ctrl:1
	v_and_b32_e32 v8, 1, v7
	v_mov_b32_dpp v4, v2 row_bcast:15 row_mask:0xf bank_mask:0xf bound_ctrl:1
	v_mov_b32_dpp v5, v3 row_bcast:15 row_mask:0xf bank_mask:0xf bound_ctrl:1
	v_cmp_eq_u32_e32 vcc, 1, v8
	s_and_saveexec_b64 s[2:3], vcc
; %bb.10:
	v_cmp_lt_i64_e32 vcc, v[2:3], v[4:5]
	v_cndmask_b32_e64 v7, v7, 1, s[0:1]
	s_and_b64 vcc, s[0:1], vcc
	v_cndmask_b32_e32 v2, v4, v2, vcc
	v_and_b32_e32 v4, 1, v7
	v_cndmask_b32_e32 v3, v5, v3, vcc
	v_cmp_eq_u32_e32 vcc, 1, v4
	s_andn2_b64 s[0:1], s[0:1], exec
	s_and_b64 s[10:11], vcc, exec
	v_and_b32_e32 v6, 0xff, v7
	s_or_b64 s[0:1], s[0:1], s[10:11]
; %bb.11:
	s_or_b64 exec, exec, s[2:3]
	v_mov_b32_dpp v7, v6 row_bcast:31 row_mask:0xf bank_mask:0xf bound_ctrl:1
	v_and_b32_e32 v8, 1, v7
	v_mov_b32_dpp v4, v2 row_bcast:31 row_mask:0xf bank_mask:0xf bound_ctrl:1
	v_mov_b32_dpp v5, v3 row_bcast:31 row_mask:0xf bank_mask:0xf bound_ctrl:1
	v_cmp_eq_u32_e32 vcc, 1, v8
	s_and_saveexec_b64 s[2:3], vcc
; %bb.12:
	v_cmp_lt_i64_e32 vcc, v[2:3], v[4:5]
	v_and_b32_e32 v6, 0xff, v7
	s_and_b64 vcc, s[0:1], vcc
	v_cndmask_b32_e32 v2, v4, v2, vcc
	v_cndmask_b32_e32 v3, v5, v3, vcc
	v_cndmask_b32_e64 v6, v6, 1, s[0:1]
; %bb.13:
	s_or_b64 exec, exec, s[2:3]
	v_mbcnt_lo_u32_b32 v4, -1, 0
	v_mbcnt_hi_u32_b32 v4, -1, v4
	v_bfrev_b32_e32 v5, 0.5
	v_lshl_or_b32 v5, v4, 2, v5
	ds_bpermute_b32 v6, v5, v6
	ds_bpermute_b32 v2, v5, v2
	;; [unrolled: 1-line block ×3, first 2 shown]
	v_cmp_eq_u32_e32 vcc, 0, v4
	s_and_saveexec_b64 s[0:1], vcc
	s_cbranch_execz .LBB79_15
; %bb.14:
	v_lshrrev_b32_e32 v5, 2, v0
	v_and_b32_e32 v5, 48, v5
	s_waitcnt lgkmcnt(2)
	ds_write_b8 v5, v6
	s_waitcnt lgkmcnt(1)
	ds_write_b64 v5, v[2:3] offset:8
.LBB79_15:
	s_or_b64 exec, exec, s[0:1]
	v_cmp_gt_u32_e32 vcc, 64, v0
	s_waitcnt lgkmcnt(0)
	s_barrier
	s_and_saveexec_b64 s[2:3], vcc
	s_cbranch_execz .LBB79_17
; %bb.16:
	v_and_b32_e32 v5, 3, v4
	v_lshlrev_b32_e32 v2, 4, v5
	ds_read_u8 v8, v2
	ds_read_b64 v[2:3], v2 offset:8
	v_cmp_ne_u32_e32 vcc, 3, v5
	v_addc_co_u32_e32 v6, vcc, 0, v4, vcc
	s_waitcnt lgkmcnt(1)
	v_and_b32_e32 v7, 0xff, v8
	v_lshlrev_b32_e32 v9, 2, v6
	ds_bpermute_b32 v10, v9, v7
	s_waitcnt lgkmcnt(1)
	ds_bpermute_b32 v6, v9, v2
	ds_bpermute_b32 v7, v9, v3
	v_and_b32_e32 v9, 1, v8
	s_waitcnt lgkmcnt(2)
	v_and_b32_e32 v11, 1, v10
	v_cmp_eq_u32_e64 s[0:1], 1, v11
	s_waitcnt lgkmcnt(0)
	v_cmp_lt_i64_e32 vcc, v[6:7], v[2:3]
	s_and_b64 vcc, s[0:1], vcc
	v_cndmask_b32_e64 v8, v8, 1, s[0:1]
	v_cndmask_b32_e32 v2, v2, v6, vcc
	v_cndmask_b32_e32 v3, v3, v7, vcc
	v_cmp_eq_u32_e32 vcc, 1, v9
	v_cndmask_b32_e32 v8, v10, v8, vcc
	v_cndmask_b32_e32 v3, v7, v3, vcc
	;; [unrolled: 1-line block ×3, first 2 shown]
	v_cmp_gt_u32_e32 vcc, 2, v5
	v_cndmask_b32_e64 v5, 0, 1, vcc
	v_lshlrev_b32_e32 v5, 1, v5
	v_and_b32_e32 v6, 0xff, v8
	v_add_lshl_u32 v5, v5, v4, 2
	ds_bpermute_b32 v6, v5, v6
	ds_bpermute_b32 v4, v5, v2
	;; [unrolled: 1-line block ×3, first 2 shown]
	v_and_b32_e32 v7, 1, v8
	s_waitcnt lgkmcnt(2)
	v_and_b32_e32 v9, 1, v6
	v_cmp_eq_u32_e64 s[0:1], 1, v9
	s_waitcnt lgkmcnt(0)
	v_cmp_lt_i64_e32 vcc, v[4:5], v[2:3]
	s_and_b64 vcc, s[0:1], vcc
	v_cndmask_b32_e64 v8, v8, 1, s[0:1]
	v_cndmask_b32_e32 v2, v2, v4, vcc
	v_cndmask_b32_e32 v3, v3, v5, vcc
	v_cmp_eq_u32_e32 vcc, 1, v7
	v_cndmask_b32_e32 v6, v6, v8, vcc
	v_cndmask_b32_e32 v3, v5, v3, vcc
	;; [unrolled: 1-line block ×3, first 2 shown]
	v_and_b32_e32 v6, 0xff, v6
.LBB79_17:
	s_or_b64 exec, exec, s[2:3]
	s_load_dword s10, s[4:5], 0x50
	s_load_dwordx2 s[2:3], s[4:5], 0x58
	s_branch .LBB79_46
.LBB79_18:
                                        ; implicit-def: $vgpr2_vgpr3
                                        ; implicit-def: $vgpr6
	s_load_dword s10, s[4:5], 0x50
	s_load_dwordx2 s[2:3], s[4:5], 0x58
	s_cbranch_execz .LBB79_46
; %bb.19:
	s_sub_i32 s11, s12, s24
	v_pk_mov_b32 v[4:5], 0, 0
	v_cmp_gt_u32_e32 vcc, s11, v0
	v_mov_b32_e32 v6, 0
	v_pk_mov_b32 v[2:3], v[4:5], v[4:5] op_sel:[0,1]
	v_mov_b32_e32 v7, 0
	s_and_saveexec_b64 s[0:1], vcc
	s_cbranch_execz .LBB79_21
; %bb.20:
	global_load_dword v7, v1, s[20:21]
	global_load_dword v8, v1, s[22:23]
	v_mov_b32_e32 v3, s9
	v_add_co_u32_e32 v2, vcc, s8, v0
	v_addc_co_u32_e32 v3, vcc, 0, v3, vcc
	s_waitcnt vmcnt(0)
	v_cmp_neq_f32_e32 vcc, v7, v8
	v_cndmask_b32_e64 v7, 0, 1, vcc
.LBB79_21:
	s_or_b64 exec, exec, s[0:1]
	v_or_b32_e32 v8, 0x100, v0
	v_cmp_gt_u32_e32 vcc, s11, v8
	s_and_saveexec_b64 s[4:5], vcc
	s_cbranch_execz .LBB79_23
; %bb.22:
	global_load_dword v6, v1, s[20:21] offset:1024
	global_load_dword v9, v1, s[22:23] offset:1024
	v_mov_b32_e32 v1, s9
	v_add_co_u32_e64 v4, s[0:1], s8, v8
	v_addc_co_u32_e64 v5, s[0:1], 0, v1, s[0:1]
	s_waitcnt vmcnt(0)
	v_cmp_neq_f32_e64 s[0:1], v6, v9
	v_cndmask_b32_e64 v6, 0, 1, s[0:1]
.LBB79_23:
	s_or_b64 exec, exec, s[4:5]
	s_and_saveexec_b64 s[4:5], vcc
	s_cbranch_execz .LBB79_25
; %bb.24:
	v_and_b32_e32 v8, 1, v6
	v_cmp_lt_i64_e32 vcc, v[4:5], v[2:3]
	v_cmp_eq_u32_e64 s[0:1], 1, v8
	v_and_b32_e32 v1, 1, v7
	s_and_b64 vcc, s[0:1], vcc
	v_cndmask_b32_e64 v7, v7, 1, s[0:1]
	v_cndmask_b32_e32 v2, v2, v4, vcc
	v_cndmask_b32_e32 v3, v3, v5, vcc
	v_cmp_eq_u32_e32 vcc, 1, v1
	v_cndmask_b32_e32 v7, v6, v7, vcc
	v_cndmask_b32_e32 v3, v5, v3, vcc
	;; [unrolled: 1-line block ×3, first 2 shown]
.LBB79_25:
	s_or_b64 exec, exec, s[4:5]
	v_mbcnt_lo_u32_b32 v1, -1, 0
	v_mbcnt_hi_u32_b32 v1, -1, v1
	v_and_b32_e32 v8, 63, v1
	v_cmp_ne_u32_e32 vcc, 63, v8
	v_addc_co_u32_e32 v4, vcc, 0, v1, vcc
	v_and_b32_e32 v6, 0xffff, v7
	v_lshlrev_b32_e32 v5, 2, v4
	ds_bpermute_b32 v10, v5, v6
	ds_bpermute_b32 v4, v5, v2
	;; [unrolled: 1-line block ×3, first 2 shown]
	s_min_u32 s8, s11, 0x100
	v_and_b32_e32 v9, 0xc0, v0
	v_sub_u32_e64 v9, s8, v9 clamp
	v_add_u32_e32 v11, 1, v8
	v_cmp_lt_u32_e32 vcc, v11, v9
	s_and_saveexec_b64 s[4:5], vcc
	s_cbranch_execz .LBB79_27
; %bb.26:
	s_waitcnt lgkmcnt(0)
	v_and_b32_e32 v11, 1, v10
	v_cmp_lt_i64_e32 vcc, v[4:5], v[2:3]
	v_cmp_eq_u32_e64 s[0:1], 1, v11
	v_and_b32_e32 v6, 1, v7
	s_and_b64 vcc, s[0:1], vcc
	v_cndmask_b32_e64 v7, v7, 1, s[0:1]
	v_cndmask_b32_e32 v2, v2, v4, vcc
	v_cndmask_b32_e32 v3, v3, v5, vcc
	v_cmp_eq_u32_e32 vcc, 1, v6
	v_cndmask_b32_e32 v7, v10, v7, vcc
	v_cndmask_b32_e32 v3, v5, v3, vcc
	;; [unrolled: 1-line block ×3, first 2 shown]
	v_and_b32_e32 v6, 0xff, v7
.LBB79_27:
	s_or_b64 exec, exec, s[4:5]
	v_cmp_gt_u32_e32 vcc, 62, v8
	s_waitcnt lgkmcnt(0)
	v_cndmask_b32_e64 v4, 0, 1, vcc
	v_lshlrev_b32_e32 v4, 1, v4
	v_add_lshl_u32 v5, v4, v1, 2
	ds_bpermute_b32 v10, v5, v6
	ds_bpermute_b32 v4, v5, v2
	ds_bpermute_b32 v5, v5, v3
	v_add_u32_e32 v11, 2, v8
	v_cmp_lt_u32_e32 vcc, v11, v9
	s_and_saveexec_b64 s[4:5], vcc
	s_cbranch_execz .LBB79_29
; %bb.28:
	s_waitcnt lgkmcnt(2)
	v_and_b32_e32 v11, 1, v10
	s_waitcnt lgkmcnt(0)
	v_cmp_lt_i64_e32 vcc, v[4:5], v[2:3]
	v_cmp_eq_u32_e64 s[0:1], 1, v11
	v_and_b32_e32 v6, 1, v7
	s_and_b64 vcc, s[0:1], vcc
	v_cndmask_b32_e64 v7, v7, 1, s[0:1]
	v_cndmask_b32_e32 v2, v2, v4, vcc
	v_cndmask_b32_e32 v3, v3, v5, vcc
	v_cmp_eq_u32_e32 vcc, 1, v6
	v_cndmask_b32_e32 v7, v10, v7, vcc
	v_cndmask_b32_e32 v3, v5, v3, vcc
	v_cndmask_b32_e32 v2, v4, v2, vcc
	v_and_b32_e32 v6, 0xff, v7
.LBB79_29:
	s_or_b64 exec, exec, s[4:5]
	v_cmp_gt_u32_e32 vcc, 60, v8
	s_waitcnt lgkmcnt(1)
	v_cndmask_b32_e64 v4, 0, 1, vcc
	v_lshlrev_b32_e32 v4, 2, v4
	s_waitcnt lgkmcnt(0)
	v_add_lshl_u32 v5, v4, v1, 2
	ds_bpermute_b32 v10, v5, v6
	ds_bpermute_b32 v4, v5, v2
	ds_bpermute_b32 v5, v5, v3
	v_add_u32_e32 v11, 4, v8
	v_cmp_lt_u32_e32 vcc, v11, v9
	s_and_saveexec_b64 s[4:5], vcc
	s_cbranch_execz .LBB79_31
; %bb.30:
	s_waitcnt lgkmcnt(2)
	v_and_b32_e32 v11, 1, v10
	s_waitcnt lgkmcnt(0)
	v_cmp_lt_i64_e32 vcc, v[4:5], v[2:3]
	v_cmp_eq_u32_e64 s[0:1], 1, v11
	v_and_b32_e32 v6, 1, v7
	s_and_b64 vcc, s[0:1], vcc
	v_cndmask_b32_e64 v7, v7, 1, s[0:1]
	v_cndmask_b32_e32 v2, v2, v4, vcc
	v_cndmask_b32_e32 v3, v3, v5, vcc
	v_cmp_eq_u32_e32 vcc, 1, v6
	v_cndmask_b32_e32 v7, v10, v7, vcc
	v_cndmask_b32_e32 v3, v5, v3, vcc
	v_cndmask_b32_e32 v2, v4, v2, vcc
	v_and_b32_e32 v6, 0xff, v7
.LBB79_31:
	s_or_b64 exec, exec, s[4:5]
	v_cmp_gt_u32_e32 vcc, 56, v8
	s_waitcnt lgkmcnt(1)
	v_cndmask_b32_e64 v4, 0, 1, vcc
	v_lshlrev_b32_e32 v4, 3, v4
	s_waitcnt lgkmcnt(0)
	;; [unrolled: 31-line block ×4, first 2 shown]
	v_add_lshl_u32 v5, v4, v1, 2
	ds_bpermute_b32 v10, v5, v6
	ds_bpermute_b32 v4, v5, v2
	;; [unrolled: 1-line block ×3, first 2 shown]
	v_add_u32_e32 v8, 32, v8
	v_cmp_lt_u32_e32 vcc, v8, v9
	s_and_saveexec_b64 s[4:5], vcc
	s_cbranch_execz .LBB79_37
; %bb.36:
	s_waitcnt lgkmcnt(2)
	v_and_b32_e32 v8, 1, v10
	s_waitcnt lgkmcnt(0)
	v_cmp_lt_i64_e32 vcc, v[4:5], v[2:3]
	v_cmp_eq_u32_e64 s[0:1], 1, v8
	v_and_b32_e32 v6, 1, v7
	s_and_b64 vcc, s[0:1], vcc
	v_cndmask_b32_e64 v7, v7, 1, s[0:1]
	v_cndmask_b32_e32 v2, v2, v4, vcc
	v_cndmask_b32_e32 v3, v3, v5, vcc
	v_cmp_eq_u32_e32 vcc, 1, v6
	v_cndmask_b32_e32 v7, v10, v7, vcc
	v_cndmask_b32_e32 v3, v5, v3, vcc
	;; [unrolled: 1-line block ×3, first 2 shown]
	v_and_b32_e32 v6, 0xff, v7
.LBB79_37:
	s_or_b64 exec, exec, s[4:5]
	v_cmp_eq_u32_e32 vcc, 0, v1
	s_and_saveexec_b64 s[0:1], vcc
	s_cbranch_execz .LBB79_39
; %bb.38:
	s_waitcnt lgkmcnt(1)
	v_lshrrev_b32_e32 v4, 2, v0
	v_and_b32_e32 v4, 48, v4
	ds_write_b8 v4, v7 offset:64
	ds_write_b64 v4, v[2:3] offset:72
.LBB79_39:
	s_or_b64 exec, exec, s[0:1]
	v_cmp_gt_u32_e32 vcc, 4, v0
	s_waitcnt lgkmcnt(0)
	s_barrier
	s_and_saveexec_b64 s[4:5], vcc
	s_cbranch_execz .LBB79_45
; %bb.40:
	v_lshlrev_b32_e32 v2, 4, v1
	ds_read_u8 v7, v2 offset:64
	ds_read_b64 v[2:3], v2 offset:72
	v_and_b32_e32 v8, 3, v1
	v_cmp_ne_u32_e32 vcc, 3, v8
	v_addc_co_u32_e32 v4, vcc, 0, v1, vcc
	s_waitcnt lgkmcnt(1)
	v_and_b32_e32 v6, 0xff, v7
	v_lshlrev_b32_e32 v5, 2, v4
	ds_bpermute_b32 v9, v5, v6
	s_waitcnt lgkmcnt(1)
	ds_bpermute_b32 v4, v5, v2
	ds_bpermute_b32 v5, v5, v3
	s_add_i32 s8, s8, 63
	s_lshr_b32 s11, s8, 6
	v_add_u32_e32 v10, 1, v8
	v_cmp_gt_u32_e32 vcc, s11, v10
	s_and_saveexec_b64 s[8:9], vcc
	s_cbranch_execz .LBB79_42
; %bb.41:
	s_waitcnt lgkmcnt(2)
	v_and_b32_e32 v10, 1, v9
	s_waitcnt lgkmcnt(0)
	v_cmp_lt_i64_e32 vcc, v[4:5], v[2:3]
	v_cmp_eq_u32_e64 s[0:1], 1, v10
	v_and_b32_e32 v6, 1, v7
	s_and_b64 vcc, s[0:1], vcc
	v_cndmask_b32_e64 v7, v7, 1, s[0:1]
	v_cndmask_b32_e32 v2, v2, v4, vcc
	v_cndmask_b32_e32 v3, v3, v5, vcc
	v_cmp_eq_u32_e32 vcc, 1, v6
	v_cndmask_b32_e32 v7, v9, v7, vcc
	v_cndmask_b32_e32 v3, v5, v3, vcc
	v_cndmask_b32_e32 v2, v4, v2, vcc
	v_and_b32_e32 v6, 0xff, v7
.LBB79_42:
	s_or_b64 exec, exec, s[8:9]
	v_cmp_gt_u32_e32 vcc, 2, v8
	s_waitcnt lgkmcnt(1)
	v_cndmask_b32_e64 v4, 0, 1, vcc
	v_lshlrev_b32_e32 v4, 1, v4
	s_waitcnt lgkmcnt(0)
	v_add_lshl_u32 v5, v4, v1, 2
	ds_bpermute_b32 v1, v5, v6
	ds_bpermute_b32 v4, v5, v2
	;; [unrolled: 1-line block ×3, first 2 shown]
	v_add_u32_e32 v8, 2, v8
	v_cmp_gt_u32_e32 vcc, s11, v8
	s_and_saveexec_b64 s[8:9], vcc
	s_cbranch_execz .LBB79_44
; %bb.43:
	s_waitcnt lgkmcnt(2)
	v_and_b32_e32 v8, 1, v1
	s_waitcnt lgkmcnt(0)
	v_cmp_lt_i64_e32 vcc, v[4:5], v[2:3]
	v_cmp_eq_u32_e64 s[0:1], 1, v8
	v_and_b32_e32 v6, 1, v7
	s_and_b64 vcc, s[0:1], vcc
	v_cndmask_b32_e64 v7, v7, 1, s[0:1]
	v_cndmask_b32_e32 v2, v2, v4, vcc
	v_cndmask_b32_e32 v3, v3, v5, vcc
	v_cmp_eq_u32_e32 vcc, 1, v6
	v_cndmask_b32_e32 v1, v1, v7, vcc
	v_cndmask_b32_e32 v3, v5, v3, vcc
	;; [unrolled: 1-line block ×3, first 2 shown]
	v_and_b32_e32 v6, 0xff, v1
.LBB79_44:
	s_or_b64 exec, exec, s[8:9]
.LBB79_45:
	s_or_b64 exec, exec, s[4:5]
.LBB79_46:
	v_cmp_eq_u32_e32 vcc, 0, v0
	s_and_saveexec_b64 s[0:1], vcc
	s_cbranch_execnz .LBB79_48
; %bb.47:
	s_endpgm
.LBB79_48:
	s_mul_i32 s0, s18, s17
	s_mul_hi_u32 s1, s18, s16
	s_add_i32 s0, s1, s0
	s_mul_i32 s1, s19, s16
	s_add_i32 s1, s0, s1
	s_mul_i32 s0, s18, s16
	s_lshl_b64 s[0:1], s[0:1], 4
	s_add_u32 s4, s14, s0
	s_addc_u32 s5, s15, s1
	s_cmp_eq_u64 s[12:13], 0
	s_waitcnt lgkmcnt(0)
	v_mov_b32_e32 v0, s3
	s_cselect_b64 vcc, -1, 0
	v_cndmask_b32_e32 v1, v3, v0, vcc
	v_mov_b32_e32 v0, s2
	s_lshl_b64 s[0:1], s[6:7], 4
	v_cndmask_b32_e32 v0, v2, v0, vcc
	v_mov_b32_e32 v2, s10
	s_add_u32 s0, s4, s0
	v_cndmask_b32_e32 v2, v6, v2, vcc
	s_addc_u32 s1, s5, s1
	v_mov_b32_e32 v3, 0
	global_store_byte v3, v2, s[0:1]
	global_store_dwordx2 v3, v[0:1], s[0:1] offset:8
	s_endpgm
	.section	.rodata,"a",@progbits
	.p2align	6, 0x0
	.amdhsa_kernel _ZN7rocprim17ROCPRIM_400000_NS6detail17trampoline_kernelINS0_14default_configENS1_22reduce_config_selectorIN6thrust23THRUST_200600_302600_NS5tupleIblNS6_9null_typeES8_S8_S8_S8_S8_S8_S8_EEEEZNS1_11reduce_implILb1ES3_NS6_12zip_iteratorINS7_INS6_11hip_rocprim26transform_input_iterator_tIbNSD_35transform_pair_of_input_iterators_tIbNS6_6detail15normal_iteratorINS6_10device_ptrIKfEEEESL_NS6_8equal_toIfEEEENSG_9not_fun_tINSD_8identityEEEEENSD_19counting_iterator_tIlEES8_S8_S8_S8_S8_S8_S8_S8_EEEEPS9_S9_NSD_9__find_if7functorIS9_EEEE10hipError_tPvRmT1_T2_T3_mT4_P12ihipStream_tbEUlT_E0_NS1_11comp_targetILNS1_3genE4ELNS1_11target_archE910ELNS1_3gpuE8ELNS1_3repE0EEENS1_30default_config_static_selectorELNS0_4arch9wavefront6targetE1EEEvS14_
		.amdhsa_group_segment_fixed_size 128
		.amdhsa_private_segment_fixed_size 0
		.amdhsa_kernarg_size 104
		.amdhsa_user_sgpr_count 6
		.amdhsa_user_sgpr_private_segment_buffer 1
		.amdhsa_user_sgpr_dispatch_ptr 0
		.amdhsa_user_sgpr_queue_ptr 0
		.amdhsa_user_sgpr_kernarg_segment_ptr 1
		.amdhsa_user_sgpr_dispatch_id 0
		.amdhsa_user_sgpr_flat_scratch_init 0
		.amdhsa_user_sgpr_kernarg_preload_length 0
		.amdhsa_user_sgpr_kernarg_preload_offset 0
		.amdhsa_user_sgpr_private_segment_size 0
		.amdhsa_uses_dynamic_stack 0
		.amdhsa_system_sgpr_private_segment_wavefront_offset 0
		.amdhsa_system_sgpr_workgroup_id_x 1
		.amdhsa_system_sgpr_workgroup_id_y 0
		.amdhsa_system_sgpr_workgroup_id_z 0
		.amdhsa_system_sgpr_workgroup_info 0
		.amdhsa_system_vgpr_workitem_id 0
		.amdhsa_next_free_vgpr 12
		.amdhsa_next_free_sgpr 28
		.amdhsa_accum_offset 12
		.amdhsa_reserve_vcc 1
		.amdhsa_reserve_flat_scratch 0
		.amdhsa_float_round_mode_32 0
		.amdhsa_float_round_mode_16_64 0
		.amdhsa_float_denorm_mode_32 3
		.amdhsa_float_denorm_mode_16_64 3
		.amdhsa_dx10_clamp 1
		.amdhsa_ieee_mode 1
		.amdhsa_fp16_overflow 0
		.amdhsa_tg_split 0
		.amdhsa_exception_fp_ieee_invalid_op 0
		.amdhsa_exception_fp_denorm_src 0
		.amdhsa_exception_fp_ieee_div_zero 0
		.amdhsa_exception_fp_ieee_overflow 0
		.amdhsa_exception_fp_ieee_underflow 0
		.amdhsa_exception_fp_ieee_inexact 0
		.amdhsa_exception_int_div_zero 0
	.end_amdhsa_kernel
	.section	.text._ZN7rocprim17ROCPRIM_400000_NS6detail17trampoline_kernelINS0_14default_configENS1_22reduce_config_selectorIN6thrust23THRUST_200600_302600_NS5tupleIblNS6_9null_typeES8_S8_S8_S8_S8_S8_S8_EEEEZNS1_11reduce_implILb1ES3_NS6_12zip_iteratorINS7_INS6_11hip_rocprim26transform_input_iterator_tIbNSD_35transform_pair_of_input_iterators_tIbNS6_6detail15normal_iteratorINS6_10device_ptrIKfEEEESL_NS6_8equal_toIfEEEENSG_9not_fun_tINSD_8identityEEEEENSD_19counting_iterator_tIlEES8_S8_S8_S8_S8_S8_S8_S8_EEEEPS9_S9_NSD_9__find_if7functorIS9_EEEE10hipError_tPvRmT1_T2_T3_mT4_P12ihipStream_tbEUlT_E0_NS1_11comp_targetILNS1_3genE4ELNS1_11target_archE910ELNS1_3gpuE8ELNS1_3repE0EEENS1_30default_config_static_selectorELNS0_4arch9wavefront6targetE1EEEvS14_,"axG",@progbits,_ZN7rocprim17ROCPRIM_400000_NS6detail17trampoline_kernelINS0_14default_configENS1_22reduce_config_selectorIN6thrust23THRUST_200600_302600_NS5tupleIblNS6_9null_typeES8_S8_S8_S8_S8_S8_S8_EEEEZNS1_11reduce_implILb1ES3_NS6_12zip_iteratorINS7_INS6_11hip_rocprim26transform_input_iterator_tIbNSD_35transform_pair_of_input_iterators_tIbNS6_6detail15normal_iteratorINS6_10device_ptrIKfEEEESL_NS6_8equal_toIfEEEENSG_9not_fun_tINSD_8identityEEEEENSD_19counting_iterator_tIlEES8_S8_S8_S8_S8_S8_S8_S8_EEEEPS9_S9_NSD_9__find_if7functorIS9_EEEE10hipError_tPvRmT1_T2_T3_mT4_P12ihipStream_tbEUlT_E0_NS1_11comp_targetILNS1_3genE4ELNS1_11target_archE910ELNS1_3gpuE8ELNS1_3repE0EEENS1_30default_config_static_selectorELNS0_4arch9wavefront6targetE1EEEvS14_,comdat
.Lfunc_end79:
	.size	_ZN7rocprim17ROCPRIM_400000_NS6detail17trampoline_kernelINS0_14default_configENS1_22reduce_config_selectorIN6thrust23THRUST_200600_302600_NS5tupleIblNS6_9null_typeES8_S8_S8_S8_S8_S8_S8_EEEEZNS1_11reduce_implILb1ES3_NS6_12zip_iteratorINS7_INS6_11hip_rocprim26transform_input_iterator_tIbNSD_35transform_pair_of_input_iterators_tIbNS6_6detail15normal_iteratorINS6_10device_ptrIKfEEEESL_NS6_8equal_toIfEEEENSG_9not_fun_tINSD_8identityEEEEENSD_19counting_iterator_tIlEES8_S8_S8_S8_S8_S8_S8_S8_EEEEPS9_S9_NSD_9__find_if7functorIS9_EEEE10hipError_tPvRmT1_T2_T3_mT4_P12ihipStream_tbEUlT_E0_NS1_11comp_targetILNS1_3genE4ELNS1_11target_archE910ELNS1_3gpuE8ELNS1_3repE0EEENS1_30default_config_static_selectorELNS0_4arch9wavefront6targetE1EEEvS14_, .Lfunc_end79-_ZN7rocprim17ROCPRIM_400000_NS6detail17trampoline_kernelINS0_14default_configENS1_22reduce_config_selectorIN6thrust23THRUST_200600_302600_NS5tupleIblNS6_9null_typeES8_S8_S8_S8_S8_S8_S8_EEEEZNS1_11reduce_implILb1ES3_NS6_12zip_iteratorINS7_INS6_11hip_rocprim26transform_input_iterator_tIbNSD_35transform_pair_of_input_iterators_tIbNS6_6detail15normal_iteratorINS6_10device_ptrIKfEEEESL_NS6_8equal_toIfEEEENSG_9not_fun_tINSD_8identityEEEEENSD_19counting_iterator_tIlEES8_S8_S8_S8_S8_S8_S8_S8_EEEEPS9_S9_NSD_9__find_if7functorIS9_EEEE10hipError_tPvRmT1_T2_T3_mT4_P12ihipStream_tbEUlT_E0_NS1_11comp_targetILNS1_3genE4ELNS1_11target_archE910ELNS1_3gpuE8ELNS1_3repE0EEENS1_30default_config_static_selectorELNS0_4arch9wavefront6targetE1EEEvS14_
                                        ; -- End function
	.section	.AMDGPU.csdata,"",@progbits
; Kernel info:
; codeLenInByte = 2844
; NumSgprs: 32
; NumVgprs: 12
; NumAgprs: 0
; TotalNumVgprs: 12
; ScratchSize: 0
; MemoryBound: 0
; FloatMode: 240
; IeeeMode: 1
; LDSByteSize: 128 bytes/workgroup (compile time only)
; SGPRBlocks: 3
; VGPRBlocks: 1
; NumSGPRsForWavesPerEU: 32
; NumVGPRsForWavesPerEU: 12
; AccumOffset: 12
; Occupancy: 8
; WaveLimiterHint : 0
; COMPUTE_PGM_RSRC2:SCRATCH_EN: 0
; COMPUTE_PGM_RSRC2:USER_SGPR: 6
; COMPUTE_PGM_RSRC2:TRAP_HANDLER: 0
; COMPUTE_PGM_RSRC2:TGID_X_EN: 1
; COMPUTE_PGM_RSRC2:TGID_Y_EN: 0
; COMPUTE_PGM_RSRC2:TGID_Z_EN: 0
; COMPUTE_PGM_RSRC2:TIDIG_COMP_CNT: 0
; COMPUTE_PGM_RSRC3_GFX90A:ACCUM_OFFSET: 2
; COMPUTE_PGM_RSRC3_GFX90A:TG_SPLIT: 0
	.section	.text._ZN7rocprim17ROCPRIM_400000_NS6detail17trampoline_kernelINS0_14default_configENS1_22reduce_config_selectorIN6thrust23THRUST_200600_302600_NS5tupleIblNS6_9null_typeES8_S8_S8_S8_S8_S8_S8_EEEEZNS1_11reduce_implILb1ES3_NS6_12zip_iteratorINS7_INS6_11hip_rocprim26transform_input_iterator_tIbNSD_35transform_pair_of_input_iterators_tIbNS6_6detail15normal_iteratorINS6_10device_ptrIKfEEEESL_NS6_8equal_toIfEEEENSG_9not_fun_tINSD_8identityEEEEENSD_19counting_iterator_tIlEES8_S8_S8_S8_S8_S8_S8_S8_EEEEPS9_S9_NSD_9__find_if7functorIS9_EEEE10hipError_tPvRmT1_T2_T3_mT4_P12ihipStream_tbEUlT_E0_NS1_11comp_targetILNS1_3genE3ELNS1_11target_archE908ELNS1_3gpuE7ELNS1_3repE0EEENS1_30default_config_static_selectorELNS0_4arch9wavefront6targetE1EEEvS14_,"axG",@progbits,_ZN7rocprim17ROCPRIM_400000_NS6detail17trampoline_kernelINS0_14default_configENS1_22reduce_config_selectorIN6thrust23THRUST_200600_302600_NS5tupleIblNS6_9null_typeES8_S8_S8_S8_S8_S8_S8_EEEEZNS1_11reduce_implILb1ES3_NS6_12zip_iteratorINS7_INS6_11hip_rocprim26transform_input_iterator_tIbNSD_35transform_pair_of_input_iterators_tIbNS6_6detail15normal_iteratorINS6_10device_ptrIKfEEEESL_NS6_8equal_toIfEEEENSG_9not_fun_tINSD_8identityEEEEENSD_19counting_iterator_tIlEES8_S8_S8_S8_S8_S8_S8_S8_EEEEPS9_S9_NSD_9__find_if7functorIS9_EEEE10hipError_tPvRmT1_T2_T3_mT4_P12ihipStream_tbEUlT_E0_NS1_11comp_targetILNS1_3genE3ELNS1_11target_archE908ELNS1_3gpuE7ELNS1_3repE0EEENS1_30default_config_static_selectorELNS0_4arch9wavefront6targetE1EEEvS14_,comdat
	.protected	_ZN7rocprim17ROCPRIM_400000_NS6detail17trampoline_kernelINS0_14default_configENS1_22reduce_config_selectorIN6thrust23THRUST_200600_302600_NS5tupleIblNS6_9null_typeES8_S8_S8_S8_S8_S8_S8_EEEEZNS1_11reduce_implILb1ES3_NS6_12zip_iteratorINS7_INS6_11hip_rocprim26transform_input_iterator_tIbNSD_35transform_pair_of_input_iterators_tIbNS6_6detail15normal_iteratorINS6_10device_ptrIKfEEEESL_NS6_8equal_toIfEEEENSG_9not_fun_tINSD_8identityEEEEENSD_19counting_iterator_tIlEES8_S8_S8_S8_S8_S8_S8_S8_EEEEPS9_S9_NSD_9__find_if7functorIS9_EEEE10hipError_tPvRmT1_T2_T3_mT4_P12ihipStream_tbEUlT_E0_NS1_11comp_targetILNS1_3genE3ELNS1_11target_archE908ELNS1_3gpuE7ELNS1_3repE0EEENS1_30default_config_static_selectorELNS0_4arch9wavefront6targetE1EEEvS14_ ; -- Begin function _ZN7rocprim17ROCPRIM_400000_NS6detail17trampoline_kernelINS0_14default_configENS1_22reduce_config_selectorIN6thrust23THRUST_200600_302600_NS5tupleIblNS6_9null_typeES8_S8_S8_S8_S8_S8_S8_EEEEZNS1_11reduce_implILb1ES3_NS6_12zip_iteratorINS7_INS6_11hip_rocprim26transform_input_iterator_tIbNSD_35transform_pair_of_input_iterators_tIbNS6_6detail15normal_iteratorINS6_10device_ptrIKfEEEESL_NS6_8equal_toIfEEEENSG_9not_fun_tINSD_8identityEEEEENSD_19counting_iterator_tIlEES8_S8_S8_S8_S8_S8_S8_S8_EEEEPS9_S9_NSD_9__find_if7functorIS9_EEEE10hipError_tPvRmT1_T2_T3_mT4_P12ihipStream_tbEUlT_E0_NS1_11comp_targetILNS1_3genE3ELNS1_11target_archE908ELNS1_3gpuE7ELNS1_3repE0EEENS1_30default_config_static_selectorELNS0_4arch9wavefront6targetE1EEEvS14_
	.globl	_ZN7rocprim17ROCPRIM_400000_NS6detail17trampoline_kernelINS0_14default_configENS1_22reduce_config_selectorIN6thrust23THRUST_200600_302600_NS5tupleIblNS6_9null_typeES8_S8_S8_S8_S8_S8_S8_EEEEZNS1_11reduce_implILb1ES3_NS6_12zip_iteratorINS7_INS6_11hip_rocprim26transform_input_iterator_tIbNSD_35transform_pair_of_input_iterators_tIbNS6_6detail15normal_iteratorINS6_10device_ptrIKfEEEESL_NS6_8equal_toIfEEEENSG_9not_fun_tINSD_8identityEEEEENSD_19counting_iterator_tIlEES8_S8_S8_S8_S8_S8_S8_S8_EEEEPS9_S9_NSD_9__find_if7functorIS9_EEEE10hipError_tPvRmT1_T2_T3_mT4_P12ihipStream_tbEUlT_E0_NS1_11comp_targetILNS1_3genE3ELNS1_11target_archE908ELNS1_3gpuE7ELNS1_3repE0EEENS1_30default_config_static_selectorELNS0_4arch9wavefront6targetE1EEEvS14_
	.p2align	8
	.type	_ZN7rocprim17ROCPRIM_400000_NS6detail17trampoline_kernelINS0_14default_configENS1_22reduce_config_selectorIN6thrust23THRUST_200600_302600_NS5tupleIblNS6_9null_typeES8_S8_S8_S8_S8_S8_S8_EEEEZNS1_11reduce_implILb1ES3_NS6_12zip_iteratorINS7_INS6_11hip_rocprim26transform_input_iterator_tIbNSD_35transform_pair_of_input_iterators_tIbNS6_6detail15normal_iteratorINS6_10device_ptrIKfEEEESL_NS6_8equal_toIfEEEENSG_9not_fun_tINSD_8identityEEEEENSD_19counting_iterator_tIlEES8_S8_S8_S8_S8_S8_S8_S8_EEEEPS9_S9_NSD_9__find_if7functorIS9_EEEE10hipError_tPvRmT1_T2_T3_mT4_P12ihipStream_tbEUlT_E0_NS1_11comp_targetILNS1_3genE3ELNS1_11target_archE908ELNS1_3gpuE7ELNS1_3repE0EEENS1_30default_config_static_selectorELNS0_4arch9wavefront6targetE1EEEvS14_,@function
_ZN7rocprim17ROCPRIM_400000_NS6detail17trampoline_kernelINS0_14default_configENS1_22reduce_config_selectorIN6thrust23THRUST_200600_302600_NS5tupleIblNS6_9null_typeES8_S8_S8_S8_S8_S8_S8_EEEEZNS1_11reduce_implILb1ES3_NS6_12zip_iteratorINS7_INS6_11hip_rocprim26transform_input_iterator_tIbNSD_35transform_pair_of_input_iterators_tIbNS6_6detail15normal_iteratorINS6_10device_ptrIKfEEEESL_NS6_8equal_toIfEEEENSG_9not_fun_tINSD_8identityEEEEENSD_19counting_iterator_tIlEES8_S8_S8_S8_S8_S8_S8_S8_EEEEPS9_S9_NSD_9__find_if7functorIS9_EEEE10hipError_tPvRmT1_T2_T3_mT4_P12ihipStream_tbEUlT_E0_NS1_11comp_targetILNS1_3genE3ELNS1_11target_archE908ELNS1_3gpuE7ELNS1_3repE0EEENS1_30default_config_static_selectorELNS0_4arch9wavefront6targetE1EEEvS14_: ; @_ZN7rocprim17ROCPRIM_400000_NS6detail17trampoline_kernelINS0_14default_configENS1_22reduce_config_selectorIN6thrust23THRUST_200600_302600_NS5tupleIblNS6_9null_typeES8_S8_S8_S8_S8_S8_S8_EEEEZNS1_11reduce_implILb1ES3_NS6_12zip_iteratorINS7_INS6_11hip_rocprim26transform_input_iterator_tIbNSD_35transform_pair_of_input_iterators_tIbNS6_6detail15normal_iteratorINS6_10device_ptrIKfEEEESL_NS6_8equal_toIfEEEENSG_9not_fun_tINSD_8identityEEEEENSD_19counting_iterator_tIlEES8_S8_S8_S8_S8_S8_S8_S8_EEEEPS9_S9_NSD_9__find_if7functorIS9_EEEE10hipError_tPvRmT1_T2_T3_mT4_P12ihipStream_tbEUlT_E0_NS1_11comp_targetILNS1_3genE3ELNS1_11target_archE908ELNS1_3gpuE7ELNS1_3repE0EEENS1_30default_config_static_selectorELNS0_4arch9wavefront6targetE1EEEvS14_
; %bb.0:
	.section	.rodata,"a",@progbits
	.p2align	6, 0x0
	.amdhsa_kernel _ZN7rocprim17ROCPRIM_400000_NS6detail17trampoline_kernelINS0_14default_configENS1_22reduce_config_selectorIN6thrust23THRUST_200600_302600_NS5tupleIblNS6_9null_typeES8_S8_S8_S8_S8_S8_S8_EEEEZNS1_11reduce_implILb1ES3_NS6_12zip_iteratorINS7_INS6_11hip_rocprim26transform_input_iterator_tIbNSD_35transform_pair_of_input_iterators_tIbNS6_6detail15normal_iteratorINS6_10device_ptrIKfEEEESL_NS6_8equal_toIfEEEENSG_9not_fun_tINSD_8identityEEEEENSD_19counting_iterator_tIlEES8_S8_S8_S8_S8_S8_S8_S8_EEEEPS9_S9_NSD_9__find_if7functorIS9_EEEE10hipError_tPvRmT1_T2_T3_mT4_P12ihipStream_tbEUlT_E0_NS1_11comp_targetILNS1_3genE3ELNS1_11target_archE908ELNS1_3gpuE7ELNS1_3repE0EEENS1_30default_config_static_selectorELNS0_4arch9wavefront6targetE1EEEvS14_
		.amdhsa_group_segment_fixed_size 0
		.amdhsa_private_segment_fixed_size 0
		.amdhsa_kernarg_size 104
		.amdhsa_user_sgpr_count 6
		.amdhsa_user_sgpr_private_segment_buffer 1
		.amdhsa_user_sgpr_dispatch_ptr 0
		.amdhsa_user_sgpr_queue_ptr 0
		.amdhsa_user_sgpr_kernarg_segment_ptr 1
		.amdhsa_user_sgpr_dispatch_id 0
		.amdhsa_user_sgpr_flat_scratch_init 0
		.amdhsa_user_sgpr_kernarg_preload_length 0
		.amdhsa_user_sgpr_kernarg_preload_offset 0
		.amdhsa_user_sgpr_private_segment_size 0
		.amdhsa_uses_dynamic_stack 0
		.amdhsa_system_sgpr_private_segment_wavefront_offset 0
		.amdhsa_system_sgpr_workgroup_id_x 1
		.amdhsa_system_sgpr_workgroup_id_y 0
		.amdhsa_system_sgpr_workgroup_id_z 0
		.amdhsa_system_sgpr_workgroup_info 0
		.amdhsa_system_vgpr_workitem_id 0
		.amdhsa_next_free_vgpr 1
		.amdhsa_next_free_sgpr 0
		.amdhsa_accum_offset 4
		.amdhsa_reserve_vcc 0
		.amdhsa_reserve_flat_scratch 0
		.amdhsa_float_round_mode_32 0
		.amdhsa_float_round_mode_16_64 0
		.amdhsa_float_denorm_mode_32 3
		.amdhsa_float_denorm_mode_16_64 3
		.amdhsa_dx10_clamp 1
		.amdhsa_ieee_mode 1
		.amdhsa_fp16_overflow 0
		.amdhsa_tg_split 0
		.amdhsa_exception_fp_ieee_invalid_op 0
		.amdhsa_exception_fp_denorm_src 0
		.amdhsa_exception_fp_ieee_div_zero 0
		.amdhsa_exception_fp_ieee_overflow 0
		.amdhsa_exception_fp_ieee_underflow 0
		.amdhsa_exception_fp_ieee_inexact 0
		.amdhsa_exception_int_div_zero 0
	.end_amdhsa_kernel
	.section	.text._ZN7rocprim17ROCPRIM_400000_NS6detail17trampoline_kernelINS0_14default_configENS1_22reduce_config_selectorIN6thrust23THRUST_200600_302600_NS5tupleIblNS6_9null_typeES8_S8_S8_S8_S8_S8_S8_EEEEZNS1_11reduce_implILb1ES3_NS6_12zip_iteratorINS7_INS6_11hip_rocprim26transform_input_iterator_tIbNSD_35transform_pair_of_input_iterators_tIbNS6_6detail15normal_iteratorINS6_10device_ptrIKfEEEESL_NS6_8equal_toIfEEEENSG_9not_fun_tINSD_8identityEEEEENSD_19counting_iterator_tIlEES8_S8_S8_S8_S8_S8_S8_S8_EEEEPS9_S9_NSD_9__find_if7functorIS9_EEEE10hipError_tPvRmT1_T2_T3_mT4_P12ihipStream_tbEUlT_E0_NS1_11comp_targetILNS1_3genE3ELNS1_11target_archE908ELNS1_3gpuE7ELNS1_3repE0EEENS1_30default_config_static_selectorELNS0_4arch9wavefront6targetE1EEEvS14_,"axG",@progbits,_ZN7rocprim17ROCPRIM_400000_NS6detail17trampoline_kernelINS0_14default_configENS1_22reduce_config_selectorIN6thrust23THRUST_200600_302600_NS5tupleIblNS6_9null_typeES8_S8_S8_S8_S8_S8_S8_EEEEZNS1_11reduce_implILb1ES3_NS6_12zip_iteratorINS7_INS6_11hip_rocprim26transform_input_iterator_tIbNSD_35transform_pair_of_input_iterators_tIbNS6_6detail15normal_iteratorINS6_10device_ptrIKfEEEESL_NS6_8equal_toIfEEEENSG_9not_fun_tINSD_8identityEEEEENSD_19counting_iterator_tIlEES8_S8_S8_S8_S8_S8_S8_S8_EEEEPS9_S9_NSD_9__find_if7functorIS9_EEEE10hipError_tPvRmT1_T2_T3_mT4_P12ihipStream_tbEUlT_E0_NS1_11comp_targetILNS1_3genE3ELNS1_11target_archE908ELNS1_3gpuE7ELNS1_3repE0EEENS1_30default_config_static_selectorELNS0_4arch9wavefront6targetE1EEEvS14_,comdat
.Lfunc_end80:
	.size	_ZN7rocprim17ROCPRIM_400000_NS6detail17trampoline_kernelINS0_14default_configENS1_22reduce_config_selectorIN6thrust23THRUST_200600_302600_NS5tupleIblNS6_9null_typeES8_S8_S8_S8_S8_S8_S8_EEEEZNS1_11reduce_implILb1ES3_NS6_12zip_iteratorINS7_INS6_11hip_rocprim26transform_input_iterator_tIbNSD_35transform_pair_of_input_iterators_tIbNS6_6detail15normal_iteratorINS6_10device_ptrIKfEEEESL_NS6_8equal_toIfEEEENSG_9not_fun_tINSD_8identityEEEEENSD_19counting_iterator_tIlEES8_S8_S8_S8_S8_S8_S8_S8_EEEEPS9_S9_NSD_9__find_if7functorIS9_EEEE10hipError_tPvRmT1_T2_T3_mT4_P12ihipStream_tbEUlT_E0_NS1_11comp_targetILNS1_3genE3ELNS1_11target_archE908ELNS1_3gpuE7ELNS1_3repE0EEENS1_30default_config_static_selectorELNS0_4arch9wavefront6targetE1EEEvS14_, .Lfunc_end80-_ZN7rocprim17ROCPRIM_400000_NS6detail17trampoline_kernelINS0_14default_configENS1_22reduce_config_selectorIN6thrust23THRUST_200600_302600_NS5tupleIblNS6_9null_typeES8_S8_S8_S8_S8_S8_S8_EEEEZNS1_11reduce_implILb1ES3_NS6_12zip_iteratorINS7_INS6_11hip_rocprim26transform_input_iterator_tIbNSD_35transform_pair_of_input_iterators_tIbNS6_6detail15normal_iteratorINS6_10device_ptrIKfEEEESL_NS6_8equal_toIfEEEENSG_9not_fun_tINSD_8identityEEEEENSD_19counting_iterator_tIlEES8_S8_S8_S8_S8_S8_S8_S8_EEEEPS9_S9_NSD_9__find_if7functorIS9_EEEE10hipError_tPvRmT1_T2_T3_mT4_P12ihipStream_tbEUlT_E0_NS1_11comp_targetILNS1_3genE3ELNS1_11target_archE908ELNS1_3gpuE7ELNS1_3repE0EEENS1_30default_config_static_selectorELNS0_4arch9wavefront6targetE1EEEvS14_
                                        ; -- End function
	.section	.AMDGPU.csdata,"",@progbits
; Kernel info:
; codeLenInByte = 0
; NumSgprs: 4
; NumVgprs: 0
; NumAgprs: 0
; TotalNumVgprs: 0
; ScratchSize: 0
; MemoryBound: 0
; FloatMode: 240
; IeeeMode: 1
; LDSByteSize: 0 bytes/workgroup (compile time only)
; SGPRBlocks: 0
; VGPRBlocks: 0
; NumSGPRsForWavesPerEU: 4
; NumVGPRsForWavesPerEU: 1
; AccumOffset: 4
; Occupancy: 8
; WaveLimiterHint : 0
; COMPUTE_PGM_RSRC2:SCRATCH_EN: 0
; COMPUTE_PGM_RSRC2:USER_SGPR: 6
; COMPUTE_PGM_RSRC2:TRAP_HANDLER: 0
; COMPUTE_PGM_RSRC2:TGID_X_EN: 1
; COMPUTE_PGM_RSRC2:TGID_Y_EN: 0
; COMPUTE_PGM_RSRC2:TGID_Z_EN: 0
; COMPUTE_PGM_RSRC2:TIDIG_COMP_CNT: 0
; COMPUTE_PGM_RSRC3_GFX90A:ACCUM_OFFSET: 0
; COMPUTE_PGM_RSRC3_GFX90A:TG_SPLIT: 0
	.section	.text._ZN7rocprim17ROCPRIM_400000_NS6detail17trampoline_kernelINS0_14default_configENS1_22reduce_config_selectorIN6thrust23THRUST_200600_302600_NS5tupleIblNS6_9null_typeES8_S8_S8_S8_S8_S8_S8_EEEEZNS1_11reduce_implILb1ES3_NS6_12zip_iteratorINS7_INS6_11hip_rocprim26transform_input_iterator_tIbNSD_35transform_pair_of_input_iterators_tIbNS6_6detail15normal_iteratorINS6_10device_ptrIKfEEEESL_NS6_8equal_toIfEEEENSG_9not_fun_tINSD_8identityEEEEENSD_19counting_iterator_tIlEES8_S8_S8_S8_S8_S8_S8_S8_EEEEPS9_S9_NSD_9__find_if7functorIS9_EEEE10hipError_tPvRmT1_T2_T3_mT4_P12ihipStream_tbEUlT_E0_NS1_11comp_targetILNS1_3genE2ELNS1_11target_archE906ELNS1_3gpuE6ELNS1_3repE0EEENS1_30default_config_static_selectorELNS0_4arch9wavefront6targetE1EEEvS14_,"axG",@progbits,_ZN7rocprim17ROCPRIM_400000_NS6detail17trampoline_kernelINS0_14default_configENS1_22reduce_config_selectorIN6thrust23THRUST_200600_302600_NS5tupleIblNS6_9null_typeES8_S8_S8_S8_S8_S8_S8_EEEEZNS1_11reduce_implILb1ES3_NS6_12zip_iteratorINS7_INS6_11hip_rocprim26transform_input_iterator_tIbNSD_35transform_pair_of_input_iterators_tIbNS6_6detail15normal_iteratorINS6_10device_ptrIKfEEEESL_NS6_8equal_toIfEEEENSG_9not_fun_tINSD_8identityEEEEENSD_19counting_iterator_tIlEES8_S8_S8_S8_S8_S8_S8_S8_EEEEPS9_S9_NSD_9__find_if7functorIS9_EEEE10hipError_tPvRmT1_T2_T3_mT4_P12ihipStream_tbEUlT_E0_NS1_11comp_targetILNS1_3genE2ELNS1_11target_archE906ELNS1_3gpuE6ELNS1_3repE0EEENS1_30default_config_static_selectorELNS0_4arch9wavefront6targetE1EEEvS14_,comdat
	.protected	_ZN7rocprim17ROCPRIM_400000_NS6detail17trampoline_kernelINS0_14default_configENS1_22reduce_config_selectorIN6thrust23THRUST_200600_302600_NS5tupleIblNS6_9null_typeES8_S8_S8_S8_S8_S8_S8_EEEEZNS1_11reduce_implILb1ES3_NS6_12zip_iteratorINS7_INS6_11hip_rocprim26transform_input_iterator_tIbNSD_35transform_pair_of_input_iterators_tIbNS6_6detail15normal_iteratorINS6_10device_ptrIKfEEEESL_NS6_8equal_toIfEEEENSG_9not_fun_tINSD_8identityEEEEENSD_19counting_iterator_tIlEES8_S8_S8_S8_S8_S8_S8_S8_EEEEPS9_S9_NSD_9__find_if7functorIS9_EEEE10hipError_tPvRmT1_T2_T3_mT4_P12ihipStream_tbEUlT_E0_NS1_11comp_targetILNS1_3genE2ELNS1_11target_archE906ELNS1_3gpuE6ELNS1_3repE0EEENS1_30default_config_static_selectorELNS0_4arch9wavefront6targetE1EEEvS14_ ; -- Begin function _ZN7rocprim17ROCPRIM_400000_NS6detail17trampoline_kernelINS0_14default_configENS1_22reduce_config_selectorIN6thrust23THRUST_200600_302600_NS5tupleIblNS6_9null_typeES8_S8_S8_S8_S8_S8_S8_EEEEZNS1_11reduce_implILb1ES3_NS6_12zip_iteratorINS7_INS6_11hip_rocprim26transform_input_iterator_tIbNSD_35transform_pair_of_input_iterators_tIbNS6_6detail15normal_iteratorINS6_10device_ptrIKfEEEESL_NS6_8equal_toIfEEEENSG_9not_fun_tINSD_8identityEEEEENSD_19counting_iterator_tIlEES8_S8_S8_S8_S8_S8_S8_S8_EEEEPS9_S9_NSD_9__find_if7functorIS9_EEEE10hipError_tPvRmT1_T2_T3_mT4_P12ihipStream_tbEUlT_E0_NS1_11comp_targetILNS1_3genE2ELNS1_11target_archE906ELNS1_3gpuE6ELNS1_3repE0EEENS1_30default_config_static_selectorELNS0_4arch9wavefront6targetE1EEEvS14_
	.globl	_ZN7rocprim17ROCPRIM_400000_NS6detail17trampoline_kernelINS0_14default_configENS1_22reduce_config_selectorIN6thrust23THRUST_200600_302600_NS5tupleIblNS6_9null_typeES8_S8_S8_S8_S8_S8_S8_EEEEZNS1_11reduce_implILb1ES3_NS6_12zip_iteratorINS7_INS6_11hip_rocprim26transform_input_iterator_tIbNSD_35transform_pair_of_input_iterators_tIbNS6_6detail15normal_iteratorINS6_10device_ptrIKfEEEESL_NS6_8equal_toIfEEEENSG_9not_fun_tINSD_8identityEEEEENSD_19counting_iterator_tIlEES8_S8_S8_S8_S8_S8_S8_S8_EEEEPS9_S9_NSD_9__find_if7functorIS9_EEEE10hipError_tPvRmT1_T2_T3_mT4_P12ihipStream_tbEUlT_E0_NS1_11comp_targetILNS1_3genE2ELNS1_11target_archE906ELNS1_3gpuE6ELNS1_3repE0EEENS1_30default_config_static_selectorELNS0_4arch9wavefront6targetE1EEEvS14_
	.p2align	8
	.type	_ZN7rocprim17ROCPRIM_400000_NS6detail17trampoline_kernelINS0_14default_configENS1_22reduce_config_selectorIN6thrust23THRUST_200600_302600_NS5tupleIblNS6_9null_typeES8_S8_S8_S8_S8_S8_S8_EEEEZNS1_11reduce_implILb1ES3_NS6_12zip_iteratorINS7_INS6_11hip_rocprim26transform_input_iterator_tIbNSD_35transform_pair_of_input_iterators_tIbNS6_6detail15normal_iteratorINS6_10device_ptrIKfEEEESL_NS6_8equal_toIfEEEENSG_9not_fun_tINSD_8identityEEEEENSD_19counting_iterator_tIlEES8_S8_S8_S8_S8_S8_S8_S8_EEEEPS9_S9_NSD_9__find_if7functorIS9_EEEE10hipError_tPvRmT1_T2_T3_mT4_P12ihipStream_tbEUlT_E0_NS1_11comp_targetILNS1_3genE2ELNS1_11target_archE906ELNS1_3gpuE6ELNS1_3repE0EEENS1_30default_config_static_selectorELNS0_4arch9wavefront6targetE1EEEvS14_,@function
_ZN7rocprim17ROCPRIM_400000_NS6detail17trampoline_kernelINS0_14default_configENS1_22reduce_config_selectorIN6thrust23THRUST_200600_302600_NS5tupleIblNS6_9null_typeES8_S8_S8_S8_S8_S8_S8_EEEEZNS1_11reduce_implILb1ES3_NS6_12zip_iteratorINS7_INS6_11hip_rocprim26transform_input_iterator_tIbNSD_35transform_pair_of_input_iterators_tIbNS6_6detail15normal_iteratorINS6_10device_ptrIKfEEEESL_NS6_8equal_toIfEEEENSG_9not_fun_tINSD_8identityEEEEENSD_19counting_iterator_tIlEES8_S8_S8_S8_S8_S8_S8_S8_EEEEPS9_S9_NSD_9__find_if7functorIS9_EEEE10hipError_tPvRmT1_T2_T3_mT4_P12ihipStream_tbEUlT_E0_NS1_11comp_targetILNS1_3genE2ELNS1_11target_archE906ELNS1_3gpuE6ELNS1_3repE0EEENS1_30default_config_static_selectorELNS0_4arch9wavefront6targetE1EEEvS14_: ; @_ZN7rocprim17ROCPRIM_400000_NS6detail17trampoline_kernelINS0_14default_configENS1_22reduce_config_selectorIN6thrust23THRUST_200600_302600_NS5tupleIblNS6_9null_typeES8_S8_S8_S8_S8_S8_S8_EEEEZNS1_11reduce_implILb1ES3_NS6_12zip_iteratorINS7_INS6_11hip_rocprim26transform_input_iterator_tIbNSD_35transform_pair_of_input_iterators_tIbNS6_6detail15normal_iteratorINS6_10device_ptrIKfEEEESL_NS6_8equal_toIfEEEENSG_9not_fun_tINSD_8identityEEEEENSD_19counting_iterator_tIlEES8_S8_S8_S8_S8_S8_S8_S8_EEEEPS9_S9_NSD_9__find_if7functorIS9_EEEE10hipError_tPvRmT1_T2_T3_mT4_P12ihipStream_tbEUlT_E0_NS1_11comp_targetILNS1_3genE2ELNS1_11target_archE906ELNS1_3gpuE6ELNS1_3repE0EEENS1_30default_config_static_selectorELNS0_4arch9wavefront6targetE1EEEvS14_
; %bb.0:
	.section	.rodata,"a",@progbits
	.p2align	6, 0x0
	.amdhsa_kernel _ZN7rocprim17ROCPRIM_400000_NS6detail17trampoline_kernelINS0_14default_configENS1_22reduce_config_selectorIN6thrust23THRUST_200600_302600_NS5tupleIblNS6_9null_typeES8_S8_S8_S8_S8_S8_S8_EEEEZNS1_11reduce_implILb1ES3_NS6_12zip_iteratorINS7_INS6_11hip_rocprim26transform_input_iterator_tIbNSD_35transform_pair_of_input_iterators_tIbNS6_6detail15normal_iteratorINS6_10device_ptrIKfEEEESL_NS6_8equal_toIfEEEENSG_9not_fun_tINSD_8identityEEEEENSD_19counting_iterator_tIlEES8_S8_S8_S8_S8_S8_S8_S8_EEEEPS9_S9_NSD_9__find_if7functorIS9_EEEE10hipError_tPvRmT1_T2_T3_mT4_P12ihipStream_tbEUlT_E0_NS1_11comp_targetILNS1_3genE2ELNS1_11target_archE906ELNS1_3gpuE6ELNS1_3repE0EEENS1_30default_config_static_selectorELNS0_4arch9wavefront6targetE1EEEvS14_
		.amdhsa_group_segment_fixed_size 0
		.amdhsa_private_segment_fixed_size 0
		.amdhsa_kernarg_size 104
		.amdhsa_user_sgpr_count 6
		.amdhsa_user_sgpr_private_segment_buffer 1
		.amdhsa_user_sgpr_dispatch_ptr 0
		.amdhsa_user_sgpr_queue_ptr 0
		.amdhsa_user_sgpr_kernarg_segment_ptr 1
		.amdhsa_user_sgpr_dispatch_id 0
		.amdhsa_user_sgpr_flat_scratch_init 0
		.amdhsa_user_sgpr_kernarg_preload_length 0
		.amdhsa_user_sgpr_kernarg_preload_offset 0
		.amdhsa_user_sgpr_private_segment_size 0
		.amdhsa_uses_dynamic_stack 0
		.amdhsa_system_sgpr_private_segment_wavefront_offset 0
		.amdhsa_system_sgpr_workgroup_id_x 1
		.amdhsa_system_sgpr_workgroup_id_y 0
		.amdhsa_system_sgpr_workgroup_id_z 0
		.amdhsa_system_sgpr_workgroup_info 0
		.amdhsa_system_vgpr_workitem_id 0
		.amdhsa_next_free_vgpr 1
		.amdhsa_next_free_sgpr 0
		.amdhsa_accum_offset 4
		.amdhsa_reserve_vcc 0
		.amdhsa_reserve_flat_scratch 0
		.amdhsa_float_round_mode_32 0
		.amdhsa_float_round_mode_16_64 0
		.amdhsa_float_denorm_mode_32 3
		.amdhsa_float_denorm_mode_16_64 3
		.amdhsa_dx10_clamp 1
		.amdhsa_ieee_mode 1
		.amdhsa_fp16_overflow 0
		.amdhsa_tg_split 0
		.amdhsa_exception_fp_ieee_invalid_op 0
		.amdhsa_exception_fp_denorm_src 0
		.amdhsa_exception_fp_ieee_div_zero 0
		.amdhsa_exception_fp_ieee_overflow 0
		.amdhsa_exception_fp_ieee_underflow 0
		.amdhsa_exception_fp_ieee_inexact 0
		.amdhsa_exception_int_div_zero 0
	.end_amdhsa_kernel
	.section	.text._ZN7rocprim17ROCPRIM_400000_NS6detail17trampoline_kernelINS0_14default_configENS1_22reduce_config_selectorIN6thrust23THRUST_200600_302600_NS5tupleIblNS6_9null_typeES8_S8_S8_S8_S8_S8_S8_EEEEZNS1_11reduce_implILb1ES3_NS6_12zip_iteratorINS7_INS6_11hip_rocprim26transform_input_iterator_tIbNSD_35transform_pair_of_input_iterators_tIbNS6_6detail15normal_iteratorINS6_10device_ptrIKfEEEESL_NS6_8equal_toIfEEEENSG_9not_fun_tINSD_8identityEEEEENSD_19counting_iterator_tIlEES8_S8_S8_S8_S8_S8_S8_S8_EEEEPS9_S9_NSD_9__find_if7functorIS9_EEEE10hipError_tPvRmT1_T2_T3_mT4_P12ihipStream_tbEUlT_E0_NS1_11comp_targetILNS1_3genE2ELNS1_11target_archE906ELNS1_3gpuE6ELNS1_3repE0EEENS1_30default_config_static_selectorELNS0_4arch9wavefront6targetE1EEEvS14_,"axG",@progbits,_ZN7rocprim17ROCPRIM_400000_NS6detail17trampoline_kernelINS0_14default_configENS1_22reduce_config_selectorIN6thrust23THRUST_200600_302600_NS5tupleIblNS6_9null_typeES8_S8_S8_S8_S8_S8_S8_EEEEZNS1_11reduce_implILb1ES3_NS6_12zip_iteratorINS7_INS6_11hip_rocprim26transform_input_iterator_tIbNSD_35transform_pair_of_input_iterators_tIbNS6_6detail15normal_iteratorINS6_10device_ptrIKfEEEESL_NS6_8equal_toIfEEEENSG_9not_fun_tINSD_8identityEEEEENSD_19counting_iterator_tIlEES8_S8_S8_S8_S8_S8_S8_S8_EEEEPS9_S9_NSD_9__find_if7functorIS9_EEEE10hipError_tPvRmT1_T2_T3_mT4_P12ihipStream_tbEUlT_E0_NS1_11comp_targetILNS1_3genE2ELNS1_11target_archE906ELNS1_3gpuE6ELNS1_3repE0EEENS1_30default_config_static_selectorELNS0_4arch9wavefront6targetE1EEEvS14_,comdat
.Lfunc_end81:
	.size	_ZN7rocprim17ROCPRIM_400000_NS6detail17trampoline_kernelINS0_14default_configENS1_22reduce_config_selectorIN6thrust23THRUST_200600_302600_NS5tupleIblNS6_9null_typeES8_S8_S8_S8_S8_S8_S8_EEEEZNS1_11reduce_implILb1ES3_NS6_12zip_iteratorINS7_INS6_11hip_rocprim26transform_input_iterator_tIbNSD_35transform_pair_of_input_iterators_tIbNS6_6detail15normal_iteratorINS6_10device_ptrIKfEEEESL_NS6_8equal_toIfEEEENSG_9not_fun_tINSD_8identityEEEEENSD_19counting_iterator_tIlEES8_S8_S8_S8_S8_S8_S8_S8_EEEEPS9_S9_NSD_9__find_if7functorIS9_EEEE10hipError_tPvRmT1_T2_T3_mT4_P12ihipStream_tbEUlT_E0_NS1_11comp_targetILNS1_3genE2ELNS1_11target_archE906ELNS1_3gpuE6ELNS1_3repE0EEENS1_30default_config_static_selectorELNS0_4arch9wavefront6targetE1EEEvS14_, .Lfunc_end81-_ZN7rocprim17ROCPRIM_400000_NS6detail17trampoline_kernelINS0_14default_configENS1_22reduce_config_selectorIN6thrust23THRUST_200600_302600_NS5tupleIblNS6_9null_typeES8_S8_S8_S8_S8_S8_S8_EEEEZNS1_11reduce_implILb1ES3_NS6_12zip_iteratorINS7_INS6_11hip_rocprim26transform_input_iterator_tIbNSD_35transform_pair_of_input_iterators_tIbNS6_6detail15normal_iteratorINS6_10device_ptrIKfEEEESL_NS6_8equal_toIfEEEENSG_9not_fun_tINSD_8identityEEEEENSD_19counting_iterator_tIlEES8_S8_S8_S8_S8_S8_S8_S8_EEEEPS9_S9_NSD_9__find_if7functorIS9_EEEE10hipError_tPvRmT1_T2_T3_mT4_P12ihipStream_tbEUlT_E0_NS1_11comp_targetILNS1_3genE2ELNS1_11target_archE906ELNS1_3gpuE6ELNS1_3repE0EEENS1_30default_config_static_selectorELNS0_4arch9wavefront6targetE1EEEvS14_
                                        ; -- End function
	.section	.AMDGPU.csdata,"",@progbits
; Kernel info:
; codeLenInByte = 0
; NumSgprs: 4
; NumVgprs: 0
; NumAgprs: 0
; TotalNumVgprs: 0
; ScratchSize: 0
; MemoryBound: 0
; FloatMode: 240
; IeeeMode: 1
; LDSByteSize: 0 bytes/workgroup (compile time only)
; SGPRBlocks: 0
; VGPRBlocks: 0
; NumSGPRsForWavesPerEU: 4
; NumVGPRsForWavesPerEU: 1
; AccumOffset: 4
; Occupancy: 8
; WaveLimiterHint : 0
; COMPUTE_PGM_RSRC2:SCRATCH_EN: 0
; COMPUTE_PGM_RSRC2:USER_SGPR: 6
; COMPUTE_PGM_RSRC2:TRAP_HANDLER: 0
; COMPUTE_PGM_RSRC2:TGID_X_EN: 1
; COMPUTE_PGM_RSRC2:TGID_Y_EN: 0
; COMPUTE_PGM_RSRC2:TGID_Z_EN: 0
; COMPUTE_PGM_RSRC2:TIDIG_COMP_CNT: 0
; COMPUTE_PGM_RSRC3_GFX90A:ACCUM_OFFSET: 0
; COMPUTE_PGM_RSRC3_GFX90A:TG_SPLIT: 0
	.section	.text._ZN7rocprim17ROCPRIM_400000_NS6detail17trampoline_kernelINS0_14default_configENS1_22reduce_config_selectorIN6thrust23THRUST_200600_302600_NS5tupleIblNS6_9null_typeES8_S8_S8_S8_S8_S8_S8_EEEEZNS1_11reduce_implILb1ES3_NS6_12zip_iteratorINS7_INS6_11hip_rocprim26transform_input_iterator_tIbNSD_35transform_pair_of_input_iterators_tIbNS6_6detail15normal_iteratorINS6_10device_ptrIKfEEEESL_NS6_8equal_toIfEEEENSG_9not_fun_tINSD_8identityEEEEENSD_19counting_iterator_tIlEES8_S8_S8_S8_S8_S8_S8_S8_EEEEPS9_S9_NSD_9__find_if7functorIS9_EEEE10hipError_tPvRmT1_T2_T3_mT4_P12ihipStream_tbEUlT_E0_NS1_11comp_targetILNS1_3genE10ELNS1_11target_archE1201ELNS1_3gpuE5ELNS1_3repE0EEENS1_30default_config_static_selectorELNS0_4arch9wavefront6targetE1EEEvS14_,"axG",@progbits,_ZN7rocprim17ROCPRIM_400000_NS6detail17trampoline_kernelINS0_14default_configENS1_22reduce_config_selectorIN6thrust23THRUST_200600_302600_NS5tupleIblNS6_9null_typeES8_S8_S8_S8_S8_S8_S8_EEEEZNS1_11reduce_implILb1ES3_NS6_12zip_iteratorINS7_INS6_11hip_rocprim26transform_input_iterator_tIbNSD_35transform_pair_of_input_iterators_tIbNS6_6detail15normal_iteratorINS6_10device_ptrIKfEEEESL_NS6_8equal_toIfEEEENSG_9not_fun_tINSD_8identityEEEEENSD_19counting_iterator_tIlEES8_S8_S8_S8_S8_S8_S8_S8_EEEEPS9_S9_NSD_9__find_if7functorIS9_EEEE10hipError_tPvRmT1_T2_T3_mT4_P12ihipStream_tbEUlT_E0_NS1_11comp_targetILNS1_3genE10ELNS1_11target_archE1201ELNS1_3gpuE5ELNS1_3repE0EEENS1_30default_config_static_selectorELNS0_4arch9wavefront6targetE1EEEvS14_,comdat
	.protected	_ZN7rocprim17ROCPRIM_400000_NS6detail17trampoline_kernelINS0_14default_configENS1_22reduce_config_selectorIN6thrust23THRUST_200600_302600_NS5tupleIblNS6_9null_typeES8_S8_S8_S8_S8_S8_S8_EEEEZNS1_11reduce_implILb1ES3_NS6_12zip_iteratorINS7_INS6_11hip_rocprim26transform_input_iterator_tIbNSD_35transform_pair_of_input_iterators_tIbNS6_6detail15normal_iteratorINS6_10device_ptrIKfEEEESL_NS6_8equal_toIfEEEENSG_9not_fun_tINSD_8identityEEEEENSD_19counting_iterator_tIlEES8_S8_S8_S8_S8_S8_S8_S8_EEEEPS9_S9_NSD_9__find_if7functorIS9_EEEE10hipError_tPvRmT1_T2_T3_mT4_P12ihipStream_tbEUlT_E0_NS1_11comp_targetILNS1_3genE10ELNS1_11target_archE1201ELNS1_3gpuE5ELNS1_3repE0EEENS1_30default_config_static_selectorELNS0_4arch9wavefront6targetE1EEEvS14_ ; -- Begin function _ZN7rocprim17ROCPRIM_400000_NS6detail17trampoline_kernelINS0_14default_configENS1_22reduce_config_selectorIN6thrust23THRUST_200600_302600_NS5tupleIblNS6_9null_typeES8_S8_S8_S8_S8_S8_S8_EEEEZNS1_11reduce_implILb1ES3_NS6_12zip_iteratorINS7_INS6_11hip_rocprim26transform_input_iterator_tIbNSD_35transform_pair_of_input_iterators_tIbNS6_6detail15normal_iteratorINS6_10device_ptrIKfEEEESL_NS6_8equal_toIfEEEENSG_9not_fun_tINSD_8identityEEEEENSD_19counting_iterator_tIlEES8_S8_S8_S8_S8_S8_S8_S8_EEEEPS9_S9_NSD_9__find_if7functorIS9_EEEE10hipError_tPvRmT1_T2_T3_mT4_P12ihipStream_tbEUlT_E0_NS1_11comp_targetILNS1_3genE10ELNS1_11target_archE1201ELNS1_3gpuE5ELNS1_3repE0EEENS1_30default_config_static_selectorELNS0_4arch9wavefront6targetE1EEEvS14_
	.globl	_ZN7rocprim17ROCPRIM_400000_NS6detail17trampoline_kernelINS0_14default_configENS1_22reduce_config_selectorIN6thrust23THRUST_200600_302600_NS5tupleIblNS6_9null_typeES8_S8_S8_S8_S8_S8_S8_EEEEZNS1_11reduce_implILb1ES3_NS6_12zip_iteratorINS7_INS6_11hip_rocprim26transform_input_iterator_tIbNSD_35transform_pair_of_input_iterators_tIbNS6_6detail15normal_iteratorINS6_10device_ptrIKfEEEESL_NS6_8equal_toIfEEEENSG_9not_fun_tINSD_8identityEEEEENSD_19counting_iterator_tIlEES8_S8_S8_S8_S8_S8_S8_S8_EEEEPS9_S9_NSD_9__find_if7functorIS9_EEEE10hipError_tPvRmT1_T2_T3_mT4_P12ihipStream_tbEUlT_E0_NS1_11comp_targetILNS1_3genE10ELNS1_11target_archE1201ELNS1_3gpuE5ELNS1_3repE0EEENS1_30default_config_static_selectorELNS0_4arch9wavefront6targetE1EEEvS14_
	.p2align	8
	.type	_ZN7rocprim17ROCPRIM_400000_NS6detail17trampoline_kernelINS0_14default_configENS1_22reduce_config_selectorIN6thrust23THRUST_200600_302600_NS5tupleIblNS6_9null_typeES8_S8_S8_S8_S8_S8_S8_EEEEZNS1_11reduce_implILb1ES3_NS6_12zip_iteratorINS7_INS6_11hip_rocprim26transform_input_iterator_tIbNSD_35transform_pair_of_input_iterators_tIbNS6_6detail15normal_iteratorINS6_10device_ptrIKfEEEESL_NS6_8equal_toIfEEEENSG_9not_fun_tINSD_8identityEEEEENSD_19counting_iterator_tIlEES8_S8_S8_S8_S8_S8_S8_S8_EEEEPS9_S9_NSD_9__find_if7functorIS9_EEEE10hipError_tPvRmT1_T2_T3_mT4_P12ihipStream_tbEUlT_E0_NS1_11comp_targetILNS1_3genE10ELNS1_11target_archE1201ELNS1_3gpuE5ELNS1_3repE0EEENS1_30default_config_static_selectorELNS0_4arch9wavefront6targetE1EEEvS14_,@function
_ZN7rocprim17ROCPRIM_400000_NS6detail17trampoline_kernelINS0_14default_configENS1_22reduce_config_selectorIN6thrust23THRUST_200600_302600_NS5tupleIblNS6_9null_typeES8_S8_S8_S8_S8_S8_S8_EEEEZNS1_11reduce_implILb1ES3_NS6_12zip_iteratorINS7_INS6_11hip_rocprim26transform_input_iterator_tIbNSD_35transform_pair_of_input_iterators_tIbNS6_6detail15normal_iteratorINS6_10device_ptrIKfEEEESL_NS6_8equal_toIfEEEENSG_9not_fun_tINSD_8identityEEEEENSD_19counting_iterator_tIlEES8_S8_S8_S8_S8_S8_S8_S8_EEEEPS9_S9_NSD_9__find_if7functorIS9_EEEE10hipError_tPvRmT1_T2_T3_mT4_P12ihipStream_tbEUlT_E0_NS1_11comp_targetILNS1_3genE10ELNS1_11target_archE1201ELNS1_3gpuE5ELNS1_3repE0EEENS1_30default_config_static_selectorELNS0_4arch9wavefront6targetE1EEEvS14_: ; @_ZN7rocprim17ROCPRIM_400000_NS6detail17trampoline_kernelINS0_14default_configENS1_22reduce_config_selectorIN6thrust23THRUST_200600_302600_NS5tupleIblNS6_9null_typeES8_S8_S8_S8_S8_S8_S8_EEEEZNS1_11reduce_implILb1ES3_NS6_12zip_iteratorINS7_INS6_11hip_rocprim26transform_input_iterator_tIbNSD_35transform_pair_of_input_iterators_tIbNS6_6detail15normal_iteratorINS6_10device_ptrIKfEEEESL_NS6_8equal_toIfEEEENSG_9not_fun_tINSD_8identityEEEEENSD_19counting_iterator_tIlEES8_S8_S8_S8_S8_S8_S8_S8_EEEEPS9_S9_NSD_9__find_if7functorIS9_EEEE10hipError_tPvRmT1_T2_T3_mT4_P12ihipStream_tbEUlT_E0_NS1_11comp_targetILNS1_3genE10ELNS1_11target_archE1201ELNS1_3gpuE5ELNS1_3repE0EEENS1_30default_config_static_selectorELNS0_4arch9wavefront6targetE1EEEvS14_
; %bb.0:
	.section	.rodata,"a",@progbits
	.p2align	6, 0x0
	.amdhsa_kernel _ZN7rocprim17ROCPRIM_400000_NS6detail17trampoline_kernelINS0_14default_configENS1_22reduce_config_selectorIN6thrust23THRUST_200600_302600_NS5tupleIblNS6_9null_typeES8_S8_S8_S8_S8_S8_S8_EEEEZNS1_11reduce_implILb1ES3_NS6_12zip_iteratorINS7_INS6_11hip_rocprim26transform_input_iterator_tIbNSD_35transform_pair_of_input_iterators_tIbNS6_6detail15normal_iteratorINS6_10device_ptrIKfEEEESL_NS6_8equal_toIfEEEENSG_9not_fun_tINSD_8identityEEEEENSD_19counting_iterator_tIlEES8_S8_S8_S8_S8_S8_S8_S8_EEEEPS9_S9_NSD_9__find_if7functorIS9_EEEE10hipError_tPvRmT1_T2_T3_mT4_P12ihipStream_tbEUlT_E0_NS1_11comp_targetILNS1_3genE10ELNS1_11target_archE1201ELNS1_3gpuE5ELNS1_3repE0EEENS1_30default_config_static_selectorELNS0_4arch9wavefront6targetE1EEEvS14_
		.amdhsa_group_segment_fixed_size 0
		.amdhsa_private_segment_fixed_size 0
		.amdhsa_kernarg_size 104
		.amdhsa_user_sgpr_count 6
		.amdhsa_user_sgpr_private_segment_buffer 1
		.amdhsa_user_sgpr_dispatch_ptr 0
		.amdhsa_user_sgpr_queue_ptr 0
		.amdhsa_user_sgpr_kernarg_segment_ptr 1
		.amdhsa_user_sgpr_dispatch_id 0
		.amdhsa_user_sgpr_flat_scratch_init 0
		.amdhsa_user_sgpr_kernarg_preload_length 0
		.amdhsa_user_sgpr_kernarg_preload_offset 0
		.amdhsa_user_sgpr_private_segment_size 0
		.amdhsa_uses_dynamic_stack 0
		.amdhsa_system_sgpr_private_segment_wavefront_offset 0
		.amdhsa_system_sgpr_workgroup_id_x 1
		.amdhsa_system_sgpr_workgroup_id_y 0
		.amdhsa_system_sgpr_workgroup_id_z 0
		.amdhsa_system_sgpr_workgroup_info 0
		.amdhsa_system_vgpr_workitem_id 0
		.amdhsa_next_free_vgpr 1
		.amdhsa_next_free_sgpr 0
		.amdhsa_accum_offset 4
		.amdhsa_reserve_vcc 0
		.amdhsa_reserve_flat_scratch 0
		.amdhsa_float_round_mode_32 0
		.amdhsa_float_round_mode_16_64 0
		.amdhsa_float_denorm_mode_32 3
		.amdhsa_float_denorm_mode_16_64 3
		.amdhsa_dx10_clamp 1
		.amdhsa_ieee_mode 1
		.amdhsa_fp16_overflow 0
		.amdhsa_tg_split 0
		.amdhsa_exception_fp_ieee_invalid_op 0
		.amdhsa_exception_fp_denorm_src 0
		.amdhsa_exception_fp_ieee_div_zero 0
		.amdhsa_exception_fp_ieee_overflow 0
		.amdhsa_exception_fp_ieee_underflow 0
		.amdhsa_exception_fp_ieee_inexact 0
		.amdhsa_exception_int_div_zero 0
	.end_amdhsa_kernel
	.section	.text._ZN7rocprim17ROCPRIM_400000_NS6detail17trampoline_kernelINS0_14default_configENS1_22reduce_config_selectorIN6thrust23THRUST_200600_302600_NS5tupleIblNS6_9null_typeES8_S8_S8_S8_S8_S8_S8_EEEEZNS1_11reduce_implILb1ES3_NS6_12zip_iteratorINS7_INS6_11hip_rocprim26transform_input_iterator_tIbNSD_35transform_pair_of_input_iterators_tIbNS6_6detail15normal_iteratorINS6_10device_ptrIKfEEEESL_NS6_8equal_toIfEEEENSG_9not_fun_tINSD_8identityEEEEENSD_19counting_iterator_tIlEES8_S8_S8_S8_S8_S8_S8_S8_EEEEPS9_S9_NSD_9__find_if7functorIS9_EEEE10hipError_tPvRmT1_T2_T3_mT4_P12ihipStream_tbEUlT_E0_NS1_11comp_targetILNS1_3genE10ELNS1_11target_archE1201ELNS1_3gpuE5ELNS1_3repE0EEENS1_30default_config_static_selectorELNS0_4arch9wavefront6targetE1EEEvS14_,"axG",@progbits,_ZN7rocprim17ROCPRIM_400000_NS6detail17trampoline_kernelINS0_14default_configENS1_22reduce_config_selectorIN6thrust23THRUST_200600_302600_NS5tupleIblNS6_9null_typeES8_S8_S8_S8_S8_S8_S8_EEEEZNS1_11reduce_implILb1ES3_NS6_12zip_iteratorINS7_INS6_11hip_rocprim26transform_input_iterator_tIbNSD_35transform_pair_of_input_iterators_tIbNS6_6detail15normal_iteratorINS6_10device_ptrIKfEEEESL_NS6_8equal_toIfEEEENSG_9not_fun_tINSD_8identityEEEEENSD_19counting_iterator_tIlEES8_S8_S8_S8_S8_S8_S8_S8_EEEEPS9_S9_NSD_9__find_if7functorIS9_EEEE10hipError_tPvRmT1_T2_T3_mT4_P12ihipStream_tbEUlT_E0_NS1_11comp_targetILNS1_3genE10ELNS1_11target_archE1201ELNS1_3gpuE5ELNS1_3repE0EEENS1_30default_config_static_selectorELNS0_4arch9wavefront6targetE1EEEvS14_,comdat
.Lfunc_end82:
	.size	_ZN7rocprim17ROCPRIM_400000_NS6detail17trampoline_kernelINS0_14default_configENS1_22reduce_config_selectorIN6thrust23THRUST_200600_302600_NS5tupleIblNS6_9null_typeES8_S8_S8_S8_S8_S8_S8_EEEEZNS1_11reduce_implILb1ES3_NS6_12zip_iteratorINS7_INS6_11hip_rocprim26transform_input_iterator_tIbNSD_35transform_pair_of_input_iterators_tIbNS6_6detail15normal_iteratorINS6_10device_ptrIKfEEEESL_NS6_8equal_toIfEEEENSG_9not_fun_tINSD_8identityEEEEENSD_19counting_iterator_tIlEES8_S8_S8_S8_S8_S8_S8_S8_EEEEPS9_S9_NSD_9__find_if7functorIS9_EEEE10hipError_tPvRmT1_T2_T3_mT4_P12ihipStream_tbEUlT_E0_NS1_11comp_targetILNS1_3genE10ELNS1_11target_archE1201ELNS1_3gpuE5ELNS1_3repE0EEENS1_30default_config_static_selectorELNS0_4arch9wavefront6targetE1EEEvS14_, .Lfunc_end82-_ZN7rocprim17ROCPRIM_400000_NS6detail17trampoline_kernelINS0_14default_configENS1_22reduce_config_selectorIN6thrust23THRUST_200600_302600_NS5tupleIblNS6_9null_typeES8_S8_S8_S8_S8_S8_S8_EEEEZNS1_11reduce_implILb1ES3_NS6_12zip_iteratorINS7_INS6_11hip_rocprim26transform_input_iterator_tIbNSD_35transform_pair_of_input_iterators_tIbNS6_6detail15normal_iteratorINS6_10device_ptrIKfEEEESL_NS6_8equal_toIfEEEENSG_9not_fun_tINSD_8identityEEEEENSD_19counting_iterator_tIlEES8_S8_S8_S8_S8_S8_S8_S8_EEEEPS9_S9_NSD_9__find_if7functorIS9_EEEE10hipError_tPvRmT1_T2_T3_mT4_P12ihipStream_tbEUlT_E0_NS1_11comp_targetILNS1_3genE10ELNS1_11target_archE1201ELNS1_3gpuE5ELNS1_3repE0EEENS1_30default_config_static_selectorELNS0_4arch9wavefront6targetE1EEEvS14_
                                        ; -- End function
	.section	.AMDGPU.csdata,"",@progbits
; Kernel info:
; codeLenInByte = 0
; NumSgprs: 4
; NumVgprs: 0
; NumAgprs: 0
; TotalNumVgprs: 0
; ScratchSize: 0
; MemoryBound: 0
; FloatMode: 240
; IeeeMode: 1
; LDSByteSize: 0 bytes/workgroup (compile time only)
; SGPRBlocks: 0
; VGPRBlocks: 0
; NumSGPRsForWavesPerEU: 4
; NumVGPRsForWavesPerEU: 1
; AccumOffset: 4
; Occupancy: 8
; WaveLimiterHint : 0
; COMPUTE_PGM_RSRC2:SCRATCH_EN: 0
; COMPUTE_PGM_RSRC2:USER_SGPR: 6
; COMPUTE_PGM_RSRC2:TRAP_HANDLER: 0
; COMPUTE_PGM_RSRC2:TGID_X_EN: 1
; COMPUTE_PGM_RSRC2:TGID_Y_EN: 0
; COMPUTE_PGM_RSRC2:TGID_Z_EN: 0
; COMPUTE_PGM_RSRC2:TIDIG_COMP_CNT: 0
; COMPUTE_PGM_RSRC3_GFX90A:ACCUM_OFFSET: 0
; COMPUTE_PGM_RSRC3_GFX90A:TG_SPLIT: 0
	.section	.text._ZN7rocprim17ROCPRIM_400000_NS6detail17trampoline_kernelINS0_14default_configENS1_22reduce_config_selectorIN6thrust23THRUST_200600_302600_NS5tupleIblNS6_9null_typeES8_S8_S8_S8_S8_S8_S8_EEEEZNS1_11reduce_implILb1ES3_NS6_12zip_iteratorINS7_INS6_11hip_rocprim26transform_input_iterator_tIbNSD_35transform_pair_of_input_iterators_tIbNS6_6detail15normal_iteratorINS6_10device_ptrIKfEEEESL_NS6_8equal_toIfEEEENSG_9not_fun_tINSD_8identityEEEEENSD_19counting_iterator_tIlEES8_S8_S8_S8_S8_S8_S8_S8_EEEEPS9_S9_NSD_9__find_if7functorIS9_EEEE10hipError_tPvRmT1_T2_T3_mT4_P12ihipStream_tbEUlT_E0_NS1_11comp_targetILNS1_3genE10ELNS1_11target_archE1200ELNS1_3gpuE4ELNS1_3repE0EEENS1_30default_config_static_selectorELNS0_4arch9wavefront6targetE1EEEvS14_,"axG",@progbits,_ZN7rocprim17ROCPRIM_400000_NS6detail17trampoline_kernelINS0_14default_configENS1_22reduce_config_selectorIN6thrust23THRUST_200600_302600_NS5tupleIblNS6_9null_typeES8_S8_S8_S8_S8_S8_S8_EEEEZNS1_11reduce_implILb1ES3_NS6_12zip_iteratorINS7_INS6_11hip_rocprim26transform_input_iterator_tIbNSD_35transform_pair_of_input_iterators_tIbNS6_6detail15normal_iteratorINS6_10device_ptrIKfEEEESL_NS6_8equal_toIfEEEENSG_9not_fun_tINSD_8identityEEEEENSD_19counting_iterator_tIlEES8_S8_S8_S8_S8_S8_S8_S8_EEEEPS9_S9_NSD_9__find_if7functorIS9_EEEE10hipError_tPvRmT1_T2_T3_mT4_P12ihipStream_tbEUlT_E0_NS1_11comp_targetILNS1_3genE10ELNS1_11target_archE1200ELNS1_3gpuE4ELNS1_3repE0EEENS1_30default_config_static_selectorELNS0_4arch9wavefront6targetE1EEEvS14_,comdat
	.protected	_ZN7rocprim17ROCPRIM_400000_NS6detail17trampoline_kernelINS0_14default_configENS1_22reduce_config_selectorIN6thrust23THRUST_200600_302600_NS5tupleIblNS6_9null_typeES8_S8_S8_S8_S8_S8_S8_EEEEZNS1_11reduce_implILb1ES3_NS6_12zip_iteratorINS7_INS6_11hip_rocprim26transform_input_iterator_tIbNSD_35transform_pair_of_input_iterators_tIbNS6_6detail15normal_iteratorINS6_10device_ptrIKfEEEESL_NS6_8equal_toIfEEEENSG_9not_fun_tINSD_8identityEEEEENSD_19counting_iterator_tIlEES8_S8_S8_S8_S8_S8_S8_S8_EEEEPS9_S9_NSD_9__find_if7functorIS9_EEEE10hipError_tPvRmT1_T2_T3_mT4_P12ihipStream_tbEUlT_E0_NS1_11comp_targetILNS1_3genE10ELNS1_11target_archE1200ELNS1_3gpuE4ELNS1_3repE0EEENS1_30default_config_static_selectorELNS0_4arch9wavefront6targetE1EEEvS14_ ; -- Begin function _ZN7rocprim17ROCPRIM_400000_NS6detail17trampoline_kernelINS0_14default_configENS1_22reduce_config_selectorIN6thrust23THRUST_200600_302600_NS5tupleIblNS6_9null_typeES8_S8_S8_S8_S8_S8_S8_EEEEZNS1_11reduce_implILb1ES3_NS6_12zip_iteratorINS7_INS6_11hip_rocprim26transform_input_iterator_tIbNSD_35transform_pair_of_input_iterators_tIbNS6_6detail15normal_iteratorINS6_10device_ptrIKfEEEESL_NS6_8equal_toIfEEEENSG_9not_fun_tINSD_8identityEEEEENSD_19counting_iterator_tIlEES8_S8_S8_S8_S8_S8_S8_S8_EEEEPS9_S9_NSD_9__find_if7functorIS9_EEEE10hipError_tPvRmT1_T2_T3_mT4_P12ihipStream_tbEUlT_E0_NS1_11comp_targetILNS1_3genE10ELNS1_11target_archE1200ELNS1_3gpuE4ELNS1_3repE0EEENS1_30default_config_static_selectorELNS0_4arch9wavefront6targetE1EEEvS14_
	.globl	_ZN7rocprim17ROCPRIM_400000_NS6detail17trampoline_kernelINS0_14default_configENS1_22reduce_config_selectorIN6thrust23THRUST_200600_302600_NS5tupleIblNS6_9null_typeES8_S8_S8_S8_S8_S8_S8_EEEEZNS1_11reduce_implILb1ES3_NS6_12zip_iteratorINS7_INS6_11hip_rocprim26transform_input_iterator_tIbNSD_35transform_pair_of_input_iterators_tIbNS6_6detail15normal_iteratorINS6_10device_ptrIKfEEEESL_NS6_8equal_toIfEEEENSG_9not_fun_tINSD_8identityEEEEENSD_19counting_iterator_tIlEES8_S8_S8_S8_S8_S8_S8_S8_EEEEPS9_S9_NSD_9__find_if7functorIS9_EEEE10hipError_tPvRmT1_T2_T3_mT4_P12ihipStream_tbEUlT_E0_NS1_11comp_targetILNS1_3genE10ELNS1_11target_archE1200ELNS1_3gpuE4ELNS1_3repE0EEENS1_30default_config_static_selectorELNS0_4arch9wavefront6targetE1EEEvS14_
	.p2align	8
	.type	_ZN7rocprim17ROCPRIM_400000_NS6detail17trampoline_kernelINS0_14default_configENS1_22reduce_config_selectorIN6thrust23THRUST_200600_302600_NS5tupleIblNS6_9null_typeES8_S8_S8_S8_S8_S8_S8_EEEEZNS1_11reduce_implILb1ES3_NS6_12zip_iteratorINS7_INS6_11hip_rocprim26transform_input_iterator_tIbNSD_35transform_pair_of_input_iterators_tIbNS6_6detail15normal_iteratorINS6_10device_ptrIKfEEEESL_NS6_8equal_toIfEEEENSG_9not_fun_tINSD_8identityEEEEENSD_19counting_iterator_tIlEES8_S8_S8_S8_S8_S8_S8_S8_EEEEPS9_S9_NSD_9__find_if7functorIS9_EEEE10hipError_tPvRmT1_T2_T3_mT4_P12ihipStream_tbEUlT_E0_NS1_11comp_targetILNS1_3genE10ELNS1_11target_archE1200ELNS1_3gpuE4ELNS1_3repE0EEENS1_30default_config_static_selectorELNS0_4arch9wavefront6targetE1EEEvS14_,@function
_ZN7rocprim17ROCPRIM_400000_NS6detail17trampoline_kernelINS0_14default_configENS1_22reduce_config_selectorIN6thrust23THRUST_200600_302600_NS5tupleIblNS6_9null_typeES8_S8_S8_S8_S8_S8_S8_EEEEZNS1_11reduce_implILb1ES3_NS6_12zip_iteratorINS7_INS6_11hip_rocprim26transform_input_iterator_tIbNSD_35transform_pair_of_input_iterators_tIbNS6_6detail15normal_iteratorINS6_10device_ptrIKfEEEESL_NS6_8equal_toIfEEEENSG_9not_fun_tINSD_8identityEEEEENSD_19counting_iterator_tIlEES8_S8_S8_S8_S8_S8_S8_S8_EEEEPS9_S9_NSD_9__find_if7functorIS9_EEEE10hipError_tPvRmT1_T2_T3_mT4_P12ihipStream_tbEUlT_E0_NS1_11comp_targetILNS1_3genE10ELNS1_11target_archE1200ELNS1_3gpuE4ELNS1_3repE0EEENS1_30default_config_static_selectorELNS0_4arch9wavefront6targetE1EEEvS14_: ; @_ZN7rocprim17ROCPRIM_400000_NS6detail17trampoline_kernelINS0_14default_configENS1_22reduce_config_selectorIN6thrust23THRUST_200600_302600_NS5tupleIblNS6_9null_typeES8_S8_S8_S8_S8_S8_S8_EEEEZNS1_11reduce_implILb1ES3_NS6_12zip_iteratorINS7_INS6_11hip_rocprim26transform_input_iterator_tIbNSD_35transform_pair_of_input_iterators_tIbNS6_6detail15normal_iteratorINS6_10device_ptrIKfEEEESL_NS6_8equal_toIfEEEENSG_9not_fun_tINSD_8identityEEEEENSD_19counting_iterator_tIlEES8_S8_S8_S8_S8_S8_S8_S8_EEEEPS9_S9_NSD_9__find_if7functorIS9_EEEE10hipError_tPvRmT1_T2_T3_mT4_P12ihipStream_tbEUlT_E0_NS1_11comp_targetILNS1_3genE10ELNS1_11target_archE1200ELNS1_3gpuE4ELNS1_3repE0EEENS1_30default_config_static_selectorELNS0_4arch9wavefront6targetE1EEEvS14_
; %bb.0:
	.section	.rodata,"a",@progbits
	.p2align	6, 0x0
	.amdhsa_kernel _ZN7rocprim17ROCPRIM_400000_NS6detail17trampoline_kernelINS0_14default_configENS1_22reduce_config_selectorIN6thrust23THRUST_200600_302600_NS5tupleIblNS6_9null_typeES8_S8_S8_S8_S8_S8_S8_EEEEZNS1_11reduce_implILb1ES3_NS6_12zip_iteratorINS7_INS6_11hip_rocprim26transform_input_iterator_tIbNSD_35transform_pair_of_input_iterators_tIbNS6_6detail15normal_iteratorINS6_10device_ptrIKfEEEESL_NS6_8equal_toIfEEEENSG_9not_fun_tINSD_8identityEEEEENSD_19counting_iterator_tIlEES8_S8_S8_S8_S8_S8_S8_S8_EEEEPS9_S9_NSD_9__find_if7functorIS9_EEEE10hipError_tPvRmT1_T2_T3_mT4_P12ihipStream_tbEUlT_E0_NS1_11comp_targetILNS1_3genE10ELNS1_11target_archE1200ELNS1_3gpuE4ELNS1_3repE0EEENS1_30default_config_static_selectorELNS0_4arch9wavefront6targetE1EEEvS14_
		.amdhsa_group_segment_fixed_size 0
		.amdhsa_private_segment_fixed_size 0
		.amdhsa_kernarg_size 104
		.amdhsa_user_sgpr_count 6
		.amdhsa_user_sgpr_private_segment_buffer 1
		.amdhsa_user_sgpr_dispatch_ptr 0
		.amdhsa_user_sgpr_queue_ptr 0
		.amdhsa_user_sgpr_kernarg_segment_ptr 1
		.amdhsa_user_sgpr_dispatch_id 0
		.amdhsa_user_sgpr_flat_scratch_init 0
		.amdhsa_user_sgpr_kernarg_preload_length 0
		.amdhsa_user_sgpr_kernarg_preload_offset 0
		.amdhsa_user_sgpr_private_segment_size 0
		.amdhsa_uses_dynamic_stack 0
		.amdhsa_system_sgpr_private_segment_wavefront_offset 0
		.amdhsa_system_sgpr_workgroup_id_x 1
		.amdhsa_system_sgpr_workgroup_id_y 0
		.amdhsa_system_sgpr_workgroup_id_z 0
		.amdhsa_system_sgpr_workgroup_info 0
		.amdhsa_system_vgpr_workitem_id 0
		.amdhsa_next_free_vgpr 1
		.amdhsa_next_free_sgpr 0
		.amdhsa_accum_offset 4
		.amdhsa_reserve_vcc 0
		.amdhsa_reserve_flat_scratch 0
		.amdhsa_float_round_mode_32 0
		.amdhsa_float_round_mode_16_64 0
		.amdhsa_float_denorm_mode_32 3
		.amdhsa_float_denorm_mode_16_64 3
		.amdhsa_dx10_clamp 1
		.amdhsa_ieee_mode 1
		.amdhsa_fp16_overflow 0
		.amdhsa_tg_split 0
		.amdhsa_exception_fp_ieee_invalid_op 0
		.amdhsa_exception_fp_denorm_src 0
		.amdhsa_exception_fp_ieee_div_zero 0
		.amdhsa_exception_fp_ieee_overflow 0
		.amdhsa_exception_fp_ieee_underflow 0
		.amdhsa_exception_fp_ieee_inexact 0
		.amdhsa_exception_int_div_zero 0
	.end_amdhsa_kernel
	.section	.text._ZN7rocprim17ROCPRIM_400000_NS6detail17trampoline_kernelINS0_14default_configENS1_22reduce_config_selectorIN6thrust23THRUST_200600_302600_NS5tupleIblNS6_9null_typeES8_S8_S8_S8_S8_S8_S8_EEEEZNS1_11reduce_implILb1ES3_NS6_12zip_iteratorINS7_INS6_11hip_rocprim26transform_input_iterator_tIbNSD_35transform_pair_of_input_iterators_tIbNS6_6detail15normal_iteratorINS6_10device_ptrIKfEEEESL_NS6_8equal_toIfEEEENSG_9not_fun_tINSD_8identityEEEEENSD_19counting_iterator_tIlEES8_S8_S8_S8_S8_S8_S8_S8_EEEEPS9_S9_NSD_9__find_if7functorIS9_EEEE10hipError_tPvRmT1_T2_T3_mT4_P12ihipStream_tbEUlT_E0_NS1_11comp_targetILNS1_3genE10ELNS1_11target_archE1200ELNS1_3gpuE4ELNS1_3repE0EEENS1_30default_config_static_selectorELNS0_4arch9wavefront6targetE1EEEvS14_,"axG",@progbits,_ZN7rocprim17ROCPRIM_400000_NS6detail17trampoline_kernelINS0_14default_configENS1_22reduce_config_selectorIN6thrust23THRUST_200600_302600_NS5tupleIblNS6_9null_typeES8_S8_S8_S8_S8_S8_S8_EEEEZNS1_11reduce_implILb1ES3_NS6_12zip_iteratorINS7_INS6_11hip_rocprim26transform_input_iterator_tIbNSD_35transform_pair_of_input_iterators_tIbNS6_6detail15normal_iteratorINS6_10device_ptrIKfEEEESL_NS6_8equal_toIfEEEENSG_9not_fun_tINSD_8identityEEEEENSD_19counting_iterator_tIlEES8_S8_S8_S8_S8_S8_S8_S8_EEEEPS9_S9_NSD_9__find_if7functorIS9_EEEE10hipError_tPvRmT1_T2_T3_mT4_P12ihipStream_tbEUlT_E0_NS1_11comp_targetILNS1_3genE10ELNS1_11target_archE1200ELNS1_3gpuE4ELNS1_3repE0EEENS1_30default_config_static_selectorELNS0_4arch9wavefront6targetE1EEEvS14_,comdat
.Lfunc_end83:
	.size	_ZN7rocprim17ROCPRIM_400000_NS6detail17trampoline_kernelINS0_14default_configENS1_22reduce_config_selectorIN6thrust23THRUST_200600_302600_NS5tupleIblNS6_9null_typeES8_S8_S8_S8_S8_S8_S8_EEEEZNS1_11reduce_implILb1ES3_NS6_12zip_iteratorINS7_INS6_11hip_rocprim26transform_input_iterator_tIbNSD_35transform_pair_of_input_iterators_tIbNS6_6detail15normal_iteratorINS6_10device_ptrIKfEEEESL_NS6_8equal_toIfEEEENSG_9not_fun_tINSD_8identityEEEEENSD_19counting_iterator_tIlEES8_S8_S8_S8_S8_S8_S8_S8_EEEEPS9_S9_NSD_9__find_if7functorIS9_EEEE10hipError_tPvRmT1_T2_T3_mT4_P12ihipStream_tbEUlT_E0_NS1_11comp_targetILNS1_3genE10ELNS1_11target_archE1200ELNS1_3gpuE4ELNS1_3repE0EEENS1_30default_config_static_selectorELNS0_4arch9wavefront6targetE1EEEvS14_, .Lfunc_end83-_ZN7rocprim17ROCPRIM_400000_NS6detail17trampoline_kernelINS0_14default_configENS1_22reduce_config_selectorIN6thrust23THRUST_200600_302600_NS5tupleIblNS6_9null_typeES8_S8_S8_S8_S8_S8_S8_EEEEZNS1_11reduce_implILb1ES3_NS6_12zip_iteratorINS7_INS6_11hip_rocprim26transform_input_iterator_tIbNSD_35transform_pair_of_input_iterators_tIbNS6_6detail15normal_iteratorINS6_10device_ptrIKfEEEESL_NS6_8equal_toIfEEEENSG_9not_fun_tINSD_8identityEEEEENSD_19counting_iterator_tIlEES8_S8_S8_S8_S8_S8_S8_S8_EEEEPS9_S9_NSD_9__find_if7functorIS9_EEEE10hipError_tPvRmT1_T2_T3_mT4_P12ihipStream_tbEUlT_E0_NS1_11comp_targetILNS1_3genE10ELNS1_11target_archE1200ELNS1_3gpuE4ELNS1_3repE0EEENS1_30default_config_static_selectorELNS0_4arch9wavefront6targetE1EEEvS14_
                                        ; -- End function
	.section	.AMDGPU.csdata,"",@progbits
; Kernel info:
; codeLenInByte = 0
; NumSgprs: 4
; NumVgprs: 0
; NumAgprs: 0
; TotalNumVgprs: 0
; ScratchSize: 0
; MemoryBound: 0
; FloatMode: 240
; IeeeMode: 1
; LDSByteSize: 0 bytes/workgroup (compile time only)
; SGPRBlocks: 0
; VGPRBlocks: 0
; NumSGPRsForWavesPerEU: 4
; NumVGPRsForWavesPerEU: 1
; AccumOffset: 4
; Occupancy: 8
; WaveLimiterHint : 0
; COMPUTE_PGM_RSRC2:SCRATCH_EN: 0
; COMPUTE_PGM_RSRC2:USER_SGPR: 6
; COMPUTE_PGM_RSRC2:TRAP_HANDLER: 0
; COMPUTE_PGM_RSRC2:TGID_X_EN: 1
; COMPUTE_PGM_RSRC2:TGID_Y_EN: 0
; COMPUTE_PGM_RSRC2:TGID_Z_EN: 0
; COMPUTE_PGM_RSRC2:TIDIG_COMP_CNT: 0
; COMPUTE_PGM_RSRC3_GFX90A:ACCUM_OFFSET: 0
; COMPUTE_PGM_RSRC3_GFX90A:TG_SPLIT: 0
	.section	.text._ZN7rocprim17ROCPRIM_400000_NS6detail17trampoline_kernelINS0_14default_configENS1_22reduce_config_selectorIN6thrust23THRUST_200600_302600_NS5tupleIblNS6_9null_typeES8_S8_S8_S8_S8_S8_S8_EEEEZNS1_11reduce_implILb1ES3_NS6_12zip_iteratorINS7_INS6_11hip_rocprim26transform_input_iterator_tIbNSD_35transform_pair_of_input_iterators_tIbNS6_6detail15normal_iteratorINS6_10device_ptrIKfEEEESL_NS6_8equal_toIfEEEENSG_9not_fun_tINSD_8identityEEEEENSD_19counting_iterator_tIlEES8_S8_S8_S8_S8_S8_S8_S8_EEEEPS9_S9_NSD_9__find_if7functorIS9_EEEE10hipError_tPvRmT1_T2_T3_mT4_P12ihipStream_tbEUlT_E0_NS1_11comp_targetILNS1_3genE9ELNS1_11target_archE1100ELNS1_3gpuE3ELNS1_3repE0EEENS1_30default_config_static_selectorELNS0_4arch9wavefront6targetE1EEEvS14_,"axG",@progbits,_ZN7rocprim17ROCPRIM_400000_NS6detail17trampoline_kernelINS0_14default_configENS1_22reduce_config_selectorIN6thrust23THRUST_200600_302600_NS5tupleIblNS6_9null_typeES8_S8_S8_S8_S8_S8_S8_EEEEZNS1_11reduce_implILb1ES3_NS6_12zip_iteratorINS7_INS6_11hip_rocprim26transform_input_iterator_tIbNSD_35transform_pair_of_input_iterators_tIbNS6_6detail15normal_iteratorINS6_10device_ptrIKfEEEESL_NS6_8equal_toIfEEEENSG_9not_fun_tINSD_8identityEEEEENSD_19counting_iterator_tIlEES8_S8_S8_S8_S8_S8_S8_S8_EEEEPS9_S9_NSD_9__find_if7functorIS9_EEEE10hipError_tPvRmT1_T2_T3_mT4_P12ihipStream_tbEUlT_E0_NS1_11comp_targetILNS1_3genE9ELNS1_11target_archE1100ELNS1_3gpuE3ELNS1_3repE0EEENS1_30default_config_static_selectorELNS0_4arch9wavefront6targetE1EEEvS14_,comdat
	.protected	_ZN7rocprim17ROCPRIM_400000_NS6detail17trampoline_kernelINS0_14default_configENS1_22reduce_config_selectorIN6thrust23THRUST_200600_302600_NS5tupleIblNS6_9null_typeES8_S8_S8_S8_S8_S8_S8_EEEEZNS1_11reduce_implILb1ES3_NS6_12zip_iteratorINS7_INS6_11hip_rocprim26transform_input_iterator_tIbNSD_35transform_pair_of_input_iterators_tIbNS6_6detail15normal_iteratorINS6_10device_ptrIKfEEEESL_NS6_8equal_toIfEEEENSG_9not_fun_tINSD_8identityEEEEENSD_19counting_iterator_tIlEES8_S8_S8_S8_S8_S8_S8_S8_EEEEPS9_S9_NSD_9__find_if7functorIS9_EEEE10hipError_tPvRmT1_T2_T3_mT4_P12ihipStream_tbEUlT_E0_NS1_11comp_targetILNS1_3genE9ELNS1_11target_archE1100ELNS1_3gpuE3ELNS1_3repE0EEENS1_30default_config_static_selectorELNS0_4arch9wavefront6targetE1EEEvS14_ ; -- Begin function _ZN7rocprim17ROCPRIM_400000_NS6detail17trampoline_kernelINS0_14default_configENS1_22reduce_config_selectorIN6thrust23THRUST_200600_302600_NS5tupleIblNS6_9null_typeES8_S8_S8_S8_S8_S8_S8_EEEEZNS1_11reduce_implILb1ES3_NS6_12zip_iteratorINS7_INS6_11hip_rocprim26transform_input_iterator_tIbNSD_35transform_pair_of_input_iterators_tIbNS6_6detail15normal_iteratorINS6_10device_ptrIKfEEEESL_NS6_8equal_toIfEEEENSG_9not_fun_tINSD_8identityEEEEENSD_19counting_iterator_tIlEES8_S8_S8_S8_S8_S8_S8_S8_EEEEPS9_S9_NSD_9__find_if7functorIS9_EEEE10hipError_tPvRmT1_T2_T3_mT4_P12ihipStream_tbEUlT_E0_NS1_11comp_targetILNS1_3genE9ELNS1_11target_archE1100ELNS1_3gpuE3ELNS1_3repE0EEENS1_30default_config_static_selectorELNS0_4arch9wavefront6targetE1EEEvS14_
	.globl	_ZN7rocprim17ROCPRIM_400000_NS6detail17trampoline_kernelINS0_14default_configENS1_22reduce_config_selectorIN6thrust23THRUST_200600_302600_NS5tupleIblNS6_9null_typeES8_S8_S8_S8_S8_S8_S8_EEEEZNS1_11reduce_implILb1ES3_NS6_12zip_iteratorINS7_INS6_11hip_rocprim26transform_input_iterator_tIbNSD_35transform_pair_of_input_iterators_tIbNS6_6detail15normal_iteratorINS6_10device_ptrIKfEEEESL_NS6_8equal_toIfEEEENSG_9not_fun_tINSD_8identityEEEEENSD_19counting_iterator_tIlEES8_S8_S8_S8_S8_S8_S8_S8_EEEEPS9_S9_NSD_9__find_if7functorIS9_EEEE10hipError_tPvRmT1_T2_T3_mT4_P12ihipStream_tbEUlT_E0_NS1_11comp_targetILNS1_3genE9ELNS1_11target_archE1100ELNS1_3gpuE3ELNS1_3repE0EEENS1_30default_config_static_selectorELNS0_4arch9wavefront6targetE1EEEvS14_
	.p2align	8
	.type	_ZN7rocprim17ROCPRIM_400000_NS6detail17trampoline_kernelINS0_14default_configENS1_22reduce_config_selectorIN6thrust23THRUST_200600_302600_NS5tupleIblNS6_9null_typeES8_S8_S8_S8_S8_S8_S8_EEEEZNS1_11reduce_implILb1ES3_NS6_12zip_iteratorINS7_INS6_11hip_rocprim26transform_input_iterator_tIbNSD_35transform_pair_of_input_iterators_tIbNS6_6detail15normal_iteratorINS6_10device_ptrIKfEEEESL_NS6_8equal_toIfEEEENSG_9not_fun_tINSD_8identityEEEEENSD_19counting_iterator_tIlEES8_S8_S8_S8_S8_S8_S8_S8_EEEEPS9_S9_NSD_9__find_if7functorIS9_EEEE10hipError_tPvRmT1_T2_T3_mT4_P12ihipStream_tbEUlT_E0_NS1_11comp_targetILNS1_3genE9ELNS1_11target_archE1100ELNS1_3gpuE3ELNS1_3repE0EEENS1_30default_config_static_selectorELNS0_4arch9wavefront6targetE1EEEvS14_,@function
_ZN7rocprim17ROCPRIM_400000_NS6detail17trampoline_kernelINS0_14default_configENS1_22reduce_config_selectorIN6thrust23THRUST_200600_302600_NS5tupleIblNS6_9null_typeES8_S8_S8_S8_S8_S8_S8_EEEEZNS1_11reduce_implILb1ES3_NS6_12zip_iteratorINS7_INS6_11hip_rocprim26transform_input_iterator_tIbNSD_35transform_pair_of_input_iterators_tIbNS6_6detail15normal_iteratorINS6_10device_ptrIKfEEEESL_NS6_8equal_toIfEEEENSG_9not_fun_tINSD_8identityEEEEENSD_19counting_iterator_tIlEES8_S8_S8_S8_S8_S8_S8_S8_EEEEPS9_S9_NSD_9__find_if7functorIS9_EEEE10hipError_tPvRmT1_T2_T3_mT4_P12ihipStream_tbEUlT_E0_NS1_11comp_targetILNS1_3genE9ELNS1_11target_archE1100ELNS1_3gpuE3ELNS1_3repE0EEENS1_30default_config_static_selectorELNS0_4arch9wavefront6targetE1EEEvS14_: ; @_ZN7rocprim17ROCPRIM_400000_NS6detail17trampoline_kernelINS0_14default_configENS1_22reduce_config_selectorIN6thrust23THRUST_200600_302600_NS5tupleIblNS6_9null_typeES8_S8_S8_S8_S8_S8_S8_EEEEZNS1_11reduce_implILb1ES3_NS6_12zip_iteratorINS7_INS6_11hip_rocprim26transform_input_iterator_tIbNSD_35transform_pair_of_input_iterators_tIbNS6_6detail15normal_iteratorINS6_10device_ptrIKfEEEESL_NS6_8equal_toIfEEEENSG_9not_fun_tINSD_8identityEEEEENSD_19counting_iterator_tIlEES8_S8_S8_S8_S8_S8_S8_S8_EEEEPS9_S9_NSD_9__find_if7functorIS9_EEEE10hipError_tPvRmT1_T2_T3_mT4_P12ihipStream_tbEUlT_E0_NS1_11comp_targetILNS1_3genE9ELNS1_11target_archE1100ELNS1_3gpuE3ELNS1_3repE0EEENS1_30default_config_static_selectorELNS0_4arch9wavefront6targetE1EEEvS14_
; %bb.0:
	.section	.rodata,"a",@progbits
	.p2align	6, 0x0
	.amdhsa_kernel _ZN7rocprim17ROCPRIM_400000_NS6detail17trampoline_kernelINS0_14default_configENS1_22reduce_config_selectorIN6thrust23THRUST_200600_302600_NS5tupleIblNS6_9null_typeES8_S8_S8_S8_S8_S8_S8_EEEEZNS1_11reduce_implILb1ES3_NS6_12zip_iteratorINS7_INS6_11hip_rocprim26transform_input_iterator_tIbNSD_35transform_pair_of_input_iterators_tIbNS6_6detail15normal_iteratorINS6_10device_ptrIKfEEEESL_NS6_8equal_toIfEEEENSG_9not_fun_tINSD_8identityEEEEENSD_19counting_iterator_tIlEES8_S8_S8_S8_S8_S8_S8_S8_EEEEPS9_S9_NSD_9__find_if7functorIS9_EEEE10hipError_tPvRmT1_T2_T3_mT4_P12ihipStream_tbEUlT_E0_NS1_11comp_targetILNS1_3genE9ELNS1_11target_archE1100ELNS1_3gpuE3ELNS1_3repE0EEENS1_30default_config_static_selectorELNS0_4arch9wavefront6targetE1EEEvS14_
		.amdhsa_group_segment_fixed_size 0
		.amdhsa_private_segment_fixed_size 0
		.amdhsa_kernarg_size 104
		.amdhsa_user_sgpr_count 6
		.amdhsa_user_sgpr_private_segment_buffer 1
		.amdhsa_user_sgpr_dispatch_ptr 0
		.amdhsa_user_sgpr_queue_ptr 0
		.amdhsa_user_sgpr_kernarg_segment_ptr 1
		.amdhsa_user_sgpr_dispatch_id 0
		.amdhsa_user_sgpr_flat_scratch_init 0
		.amdhsa_user_sgpr_kernarg_preload_length 0
		.amdhsa_user_sgpr_kernarg_preload_offset 0
		.amdhsa_user_sgpr_private_segment_size 0
		.amdhsa_uses_dynamic_stack 0
		.amdhsa_system_sgpr_private_segment_wavefront_offset 0
		.amdhsa_system_sgpr_workgroup_id_x 1
		.amdhsa_system_sgpr_workgroup_id_y 0
		.amdhsa_system_sgpr_workgroup_id_z 0
		.amdhsa_system_sgpr_workgroup_info 0
		.amdhsa_system_vgpr_workitem_id 0
		.amdhsa_next_free_vgpr 1
		.amdhsa_next_free_sgpr 0
		.amdhsa_accum_offset 4
		.amdhsa_reserve_vcc 0
		.amdhsa_reserve_flat_scratch 0
		.amdhsa_float_round_mode_32 0
		.amdhsa_float_round_mode_16_64 0
		.amdhsa_float_denorm_mode_32 3
		.amdhsa_float_denorm_mode_16_64 3
		.amdhsa_dx10_clamp 1
		.amdhsa_ieee_mode 1
		.amdhsa_fp16_overflow 0
		.amdhsa_tg_split 0
		.amdhsa_exception_fp_ieee_invalid_op 0
		.amdhsa_exception_fp_denorm_src 0
		.amdhsa_exception_fp_ieee_div_zero 0
		.amdhsa_exception_fp_ieee_overflow 0
		.amdhsa_exception_fp_ieee_underflow 0
		.amdhsa_exception_fp_ieee_inexact 0
		.amdhsa_exception_int_div_zero 0
	.end_amdhsa_kernel
	.section	.text._ZN7rocprim17ROCPRIM_400000_NS6detail17trampoline_kernelINS0_14default_configENS1_22reduce_config_selectorIN6thrust23THRUST_200600_302600_NS5tupleIblNS6_9null_typeES8_S8_S8_S8_S8_S8_S8_EEEEZNS1_11reduce_implILb1ES3_NS6_12zip_iteratorINS7_INS6_11hip_rocprim26transform_input_iterator_tIbNSD_35transform_pair_of_input_iterators_tIbNS6_6detail15normal_iteratorINS6_10device_ptrIKfEEEESL_NS6_8equal_toIfEEEENSG_9not_fun_tINSD_8identityEEEEENSD_19counting_iterator_tIlEES8_S8_S8_S8_S8_S8_S8_S8_EEEEPS9_S9_NSD_9__find_if7functorIS9_EEEE10hipError_tPvRmT1_T2_T3_mT4_P12ihipStream_tbEUlT_E0_NS1_11comp_targetILNS1_3genE9ELNS1_11target_archE1100ELNS1_3gpuE3ELNS1_3repE0EEENS1_30default_config_static_selectorELNS0_4arch9wavefront6targetE1EEEvS14_,"axG",@progbits,_ZN7rocprim17ROCPRIM_400000_NS6detail17trampoline_kernelINS0_14default_configENS1_22reduce_config_selectorIN6thrust23THRUST_200600_302600_NS5tupleIblNS6_9null_typeES8_S8_S8_S8_S8_S8_S8_EEEEZNS1_11reduce_implILb1ES3_NS6_12zip_iteratorINS7_INS6_11hip_rocprim26transform_input_iterator_tIbNSD_35transform_pair_of_input_iterators_tIbNS6_6detail15normal_iteratorINS6_10device_ptrIKfEEEESL_NS6_8equal_toIfEEEENSG_9not_fun_tINSD_8identityEEEEENSD_19counting_iterator_tIlEES8_S8_S8_S8_S8_S8_S8_S8_EEEEPS9_S9_NSD_9__find_if7functorIS9_EEEE10hipError_tPvRmT1_T2_T3_mT4_P12ihipStream_tbEUlT_E0_NS1_11comp_targetILNS1_3genE9ELNS1_11target_archE1100ELNS1_3gpuE3ELNS1_3repE0EEENS1_30default_config_static_selectorELNS0_4arch9wavefront6targetE1EEEvS14_,comdat
.Lfunc_end84:
	.size	_ZN7rocprim17ROCPRIM_400000_NS6detail17trampoline_kernelINS0_14default_configENS1_22reduce_config_selectorIN6thrust23THRUST_200600_302600_NS5tupleIblNS6_9null_typeES8_S8_S8_S8_S8_S8_S8_EEEEZNS1_11reduce_implILb1ES3_NS6_12zip_iteratorINS7_INS6_11hip_rocprim26transform_input_iterator_tIbNSD_35transform_pair_of_input_iterators_tIbNS6_6detail15normal_iteratorINS6_10device_ptrIKfEEEESL_NS6_8equal_toIfEEEENSG_9not_fun_tINSD_8identityEEEEENSD_19counting_iterator_tIlEES8_S8_S8_S8_S8_S8_S8_S8_EEEEPS9_S9_NSD_9__find_if7functorIS9_EEEE10hipError_tPvRmT1_T2_T3_mT4_P12ihipStream_tbEUlT_E0_NS1_11comp_targetILNS1_3genE9ELNS1_11target_archE1100ELNS1_3gpuE3ELNS1_3repE0EEENS1_30default_config_static_selectorELNS0_4arch9wavefront6targetE1EEEvS14_, .Lfunc_end84-_ZN7rocprim17ROCPRIM_400000_NS6detail17trampoline_kernelINS0_14default_configENS1_22reduce_config_selectorIN6thrust23THRUST_200600_302600_NS5tupleIblNS6_9null_typeES8_S8_S8_S8_S8_S8_S8_EEEEZNS1_11reduce_implILb1ES3_NS6_12zip_iteratorINS7_INS6_11hip_rocprim26transform_input_iterator_tIbNSD_35transform_pair_of_input_iterators_tIbNS6_6detail15normal_iteratorINS6_10device_ptrIKfEEEESL_NS6_8equal_toIfEEEENSG_9not_fun_tINSD_8identityEEEEENSD_19counting_iterator_tIlEES8_S8_S8_S8_S8_S8_S8_S8_EEEEPS9_S9_NSD_9__find_if7functorIS9_EEEE10hipError_tPvRmT1_T2_T3_mT4_P12ihipStream_tbEUlT_E0_NS1_11comp_targetILNS1_3genE9ELNS1_11target_archE1100ELNS1_3gpuE3ELNS1_3repE0EEENS1_30default_config_static_selectorELNS0_4arch9wavefront6targetE1EEEvS14_
                                        ; -- End function
	.section	.AMDGPU.csdata,"",@progbits
; Kernel info:
; codeLenInByte = 0
; NumSgprs: 4
; NumVgprs: 0
; NumAgprs: 0
; TotalNumVgprs: 0
; ScratchSize: 0
; MemoryBound: 0
; FloatMode: 240
; IeeeMode: 1
; LDSByteSize: 0 bytes/workgroup (compile time only)
; SGPRBlocks: 0
; VGPRBlocks: 0
; NumSGPRsForWavesPerEU: 4
; NumVGPRsForWavesPerEU: 1
; AccumOffset: 4
; Occupancy: 8
; WaveLimiterHint : 0
; COMPUTE_PGM_RSRC2:SCRATCH_EN: 0
; COMPUTE_PGM_RSRC2:USER_SGPR: 6
; COMPUTE_PGM_RSRC2:TRAP_HANDLER: 0
; COMPUTE_PGM_RSRC2:TGID_X_EN: 1
; COMPUTE_PGM_RSRC2:TGID_Y_EN: 0
; COMPUTE_PGM_RSRC2:TGID_Z_EN: 0
; COMPUTE_PGM_RSRC2:TIDIG_COMP_CNT: 0
; COMPUTE_PGM_RSRC3_GFX90A:ACCUM_OFFSET: 0
; COMPUTE_PGM_RSRC3_GFX90A:TG_SPLIT: 0
	.section	.text._ZN7rocprim17ROCPRIM_400000_NS6detail17trampoline_kernelINS0_14default_configENS1_22reduce_config_selectorIN6thrust23THRUST_200600_302600_NS5tupleIblNS6_9null_typeES8_S8_S8_S8_S8_S8_S8_EEEEZNS1_11reduce_implILb1ES3_NS6_12zip_iteratorINS7_INS6_11hip_rocprim26transform_input_iterator_tIbNSD_35transform_pair_of_input_iterators_tIbNS6_6detail15normal_iteratorINS6_10device_ptrIKfEEEESL_NS6_8equal_toIfEEEENSG_9not_fun_tINSD_8identityEEEEENSD_19counting_iterator_tIlEES8_S8_S8_S8_S8_S8_S8_S8_EEEEPS9_S9_NSD_9__find_if7functorIS9_EEEE10hipError_tPvRmT1_T2_T3_mT4_P12ihipStream_tbEUlT_E0_NS1_11comp_targetILNS1_3genE8ELNS1_11target_archE1030ELNS1_3gpuE2ELNS1_3repE0EEENS1_30default_config_static_selectorELNS0_4arch9wavefront6targetE1EEEvS14_,"axG",@progbits,_ZN7rocprim17ROCPRIM_400000_NS6detail17trampoline_kernelINS0_14default_configENS1_22reduce_config_selectorIN6thrust23THRUST_200600_302600_NS5tupleIblNS6_9null_typeES8_S8_S8_S8_S8_S8_S8_EEEEZNS1_11reduce_implILb1ES3_NS6_12zip_iteratorINS7_INS6_11hip_rocprim26transform_input_iterator_tIbNSD_35transform_pair_of_input_iterators_tIbNS6_6detail15normal_iteratorINS6_10device_ptrIKfEEEESL_NS6_8equal_toIfEEEENSG_9not_fun_tINSD_8identityEEEEENSD_19counting_iterator_tIlEES8_S8_S8_S8_S8_S8_S8_S8_EEEEPS9_S9_NSD_9__find_if7functorIS9_EEEE10hipError_tPvRmT1_T2_T3_mT4_P12ihipStream_tbEUlT_E0_NS1_11comp_targetILNS1_3genE8ELNS1_11target_archE1030ELNS1_3gpuE2ELNS1_3repE0EEENS1_30default_config_static_selectorELNS0_4arch9wavefront6targetE1EEEvS14_,comdat
	.protected	_ZN7rocprim17ROCPRIM_400000_NS6detail17trampoline_kernelINS0_14default_configENS1_22reduce_config_selectorIN6thrust23THRUST_200600_302600_NS5tupleIblNS6_9null_typeES8_S8_S8_S8_S8_S8_S8_EEEEZNS1_11reduce_implILb1ES3_NS6_12zip_iteratorINS7_INS6_11hip_rocprim26transform_input_iterator_tIbNSD_35transform_pair_of_input_iterators_tIbNS6_6detail15normal_iteratorINS6_10device_ptrIKfEEEESL_NS6_8equal_toIfEEEENSG_9not_fun_tINSD_8identityEEEEENSD_19counting_iterator_tIlEES8_S8_S8_S8_S8_S8_S8_S8_EEEEPS9_S9_NSD_9__find_if7functorIS9_EEEE10hipError_tPvRmT1_T2_T3_mT4_P12ihipStream_tbEUlT_E0_NS1_11comp_targetILNS1_3genE8ELNS1_11target_archE1030ELNS1_3gpuE2ELNS1_3repE0EEENS1_30default_config_static_selectorELNS0_4arch9wavefront6targetE1EEEvS14_ ; -- Begin function _ZN7rocprim17ROCPRIM_400000_NS6detail17trampoline_kernelINS0_14default_configENS1_22reduce_config_selectorIN6thrust23THRUST_200600_302600_NS5tupleIblNS6_9null_typeES8_S8_S8_S8_S8_S8_S8_EEEEZNS1_11reduce_implILb1ES3_NS6_12zip_iteratorINS7_INS6_11hip_rocprim26transform_input_iterator_tIbNSD_35transform_pair_of_input_iterators_tIbNS6_6detail15normal_iteratorINS6_10device_ptrIKfEEEESL_NS6_8equal_toIfEEEENSG_9not_fun_tINSD_8identityEEEEENSD_19counting_iterator_tIlEES8_S8_S8_S8_S8_S8_S8_S8_EEEEPS9_S9_NSD_9__find_if7functorIS9_EEEE10hipError_tPvRmT1_T2_T3_mT4_P12ihipStream_tbEUlT_E0_NS1_11comp_targetILNS1_3genE8ELNS1_11target_archE1030ELNS1_3gpuE2ELNS1_3repE0EEENS1_30default_config_static_selectorELNS0_4arch9wavefront6targetE1EEEvS14_
	.globl	_ZN7rocprim17ROCPRIM_400000_NS6detail17trampoline_kernelINS0_14default_configENS1_22reduce_config_selectorIN6thrust23THRUST_200600_302600_NS5tupleIblNS6_9null_typeES8_S8_S8_S8_S8_S8_S8_EEEEZNS1_11reduce_implILb1ES3_NS6_12zip_iteratorINS7_INS6_11hip_rocprim26transform_input_iterator_tIbNSD_35transform_pair_of_input_iterators_tIbNS6_6detail15normal_iteratorINS6_10device_ptrIKfEEEESL_NS6_8equal_toIfEEEENSG_9not_fun_tINSD_8identityEEEEENSD_19counting_iterator_tIlEES8_S8_S8_S8_S8_S8_S8_S8_EEEEPS9_S9_NSD_9__find_if7functorIS9_EEEE10hipError_tPvRmT1_T2_T3_mT4_P12ihipStream_tbEUlT_E0_NS1_11comp_targetILNS1_3genE8ELNS1_11target_archE1030ELNS1_3gpuE2ELNS1_3repE0EEENS1_30default_config_static_selectorELNS0_4arch9wavefront6targetE1EEEvS14_
	.p2align	8
	.type	_ZN7rocprim17ROCPRIM_400000_NS6detail17trampoline_kernelINS0_14default_configENS1_22reduce_config_selectorIN6thrust23THRUST_200600_302600_NS5tupleIblNS6_9null_typeES8_S8_S8_S8_S8_S8_S8_EEEEZNS1_11reduce_implILb1ES3_NS6_12zip_iteratorINS7_INS6_11hip_rocprim26transform_input_iterator_tIbNSD_35transform_pair_of_input_iterators_tIbNS6_6detail15normal_iteratorINS6_10device_ptrIKfEEEESL_NS6_8equal_toIfEEEENSG_9not_fun_tINSD_8identityEEEEENSD_19counting_iterator_tIlEES8_S8_S8_S8_S8_S8_S8_S8_EEEEPS9_S9_NSD_9__find_if7functorIS9_EEEE10hipError_tPvRmT1_T2_T3_mT4_P12ihipStream_tbEUlT_E0_NS1_11comp_targetILNS1_3genE8ELNS1_11target_archE1030ELNS1_3gpuE2ELNS1_3repE0EEENS1_30default_config_static_selectorELNS0_4arch9wavefront6targetE1EEEvS14_,@function
_ZN7rocprim17ROCPRIM_400000_NS6detail17trampoline_kernelINS0_14default_configENS1_22reduce_config_selectorIN6thrust23THRUST_200600_302600_NS5tupleIblNS6_9null_typeES8_S8_S8_S8_S8_S8_S8_EEEEZNS1_11reduce_implILb1ES3_NS6_12zip_iteratorINS7_INS6_11hip_rocprim26transform_input_iterator_tIbNSD_35transform_pair_of_input_iterators_tIbNS6_6detail15normal_iteratorINS6_10device_ptrIKfEEEESL_NS6_8equal_toIfEEEENSG_9not_fun_tINSD_8identityEEEEENSD_19counting_iterator_tIlEES8_S8_S8_S8_S8_S8_S8_S8_EEEEPS9_S9_NSD_9__find_if7functorIS9_EEEE10hipError_tPvRmT1_T2_T3_mT4_P12ihipStream_tbEUlT_E0_NS1_11comp_targetILNS1_3genE8ELNS1_11target_archE1030ELNS1_3gpuE2ELNS1_3repE0EEENS1_30default_config_static_selectorELNS0_4arch9wavefront6targetE1EEEvS14_: ; @_ZN7rocprim17ROCPRIM_400000_NS6detail17trampoline_kernelINS0_14default_configENS1_22reduce_config_selectorIN6thrust23THRUST_200600_302600_NS5tupleIblNS6_9null_typeES8_S8_S8_S8_S8_S8_S8_EEEEZNS1_11reduce_implILb1ES3_NS6_12zip_iteratorINS7_INS6_11hip_rocprim26transform_input_iterator_tIbNSD_35transform_pair_of_input_iterators_tIbNS6_6detail15normal_iteratorINS6_10device_ptrIKfEEEESL_NS6_8equal_toIfEEEENSG_9not_fun_tINSD_8identityEEEEENSD_19counting_iterator_tIlEES8_S8_S8_S8_S8_S8_S8_S8_EEEEPS9_S9_NSD_9__find_if7functorIS9_EEEE10hipError_tPvRmT1_T2_T3_mT4_P12ihipStream_tbEUlT_E0_NS1_11comp_targetILNS1_3genE8ELNS1_11target_archE1030ELNS1_3gpuE2ELNS1_3repE0EEENS1_30default_config_static_selectorELNS0_4arch9wavefront6targetE1EEEvS14_
; %bb.0:
	.section	.rodata,"a",@progbits
	.p2align	6, 0x0
	.amdhsa_kernel _ZN7rocprim17ROCPRIM_400000_NS6detail17trampoline_kernelINS0_14default_configENS1_22reduce_config_selectorIN6thrust23THRUST_200600_302600_NS5tupleIblNS6_9null_typeES8_S8_S8_S8_S8_S8_S8_EEEEZNS1_11reduce_implILb1ES3_NS6_12zip_iteratorINS7_INS6_11hip_rocprim26transform_input_iterator_tIbNSD_35transform_pair_of_input_iterators_tIbNS6_6detail15normal_iteratorINS6_10device_ptrIKfEEEESL_NS6_8equal_toIfEEEENSG_9not_fun_tINSD_8identityEEEEENSD_19counting_iterator_tIlEES8_S8_S8_S8_S8_S8_S8_S8_EEEEPS9_S9_NSD_9__find_if7functorIS9_EEEE10hipError_tPvRmT1_T2_T3_mT4_P12ihipStream_tbEUlT_E0_NS1_11comp_targetILNS1_3genE8ELNS1_11target_archE1030ELNS1_3gpuE2ELNS1_3repE0EEENS1_30default_config_static_selectorELNS0_4arch9wavefront6targetE1EEEvS14_
		.amdhsa_group_segment_fixed_size 0
		.amdhsa_private_segment_fixed_size 0
		.amdhsa_kernarg_size 104
		.amdhsa_user_sgpr_count 6
		.amdhsa_user_sgpr_private_segment_buffer 1
		.amdhsa_user_sgpr_dispatch_ptr 0
		.amdhsa_user_sgpr_queue_ptr 0
		.amdhsa_user_sgpr_kernarg_segment_ptr 1
		.amdhsa_user_sgpr_dispatch_id 0
		.amdhsa_user_sgpr_flat_scratch_init 0
		.amdhsa_user_sgpr_kernarg_preload_length 0
		.amdhsa_user_sgpr_kernarg_preload_offset 0
		.amdhsa_user_sgpr_private_segment_size 0
		.amdhsa_uses_dynamic_stack 0
		.amdhsa_system_sgpr_private_segment_wavefront_offset 0
		.amdhsa_system_sgpr_workgroup_id_x 1
		.amdhsa_system_sgpr_workgroup_id_y 0
		.amdhsa_system_sgpr_workgroup_id_z 0
		.amdhsa_system_sgpr_workgroup_info 0
		.amdhsa_system_vgpr_workitem_id 0
		.amdhsa_next_free_vgpr 1
		.amdhsa_next_free_sgpr 0
		.amdhsa_accum_offset 4
		.amdhsa_reserve_vcc 0
		.amdhsa_reserve_flat_scratch 0
		.amdhsa_float_round_mode_32 0
		.amdhsa_float_round_mode_16_64 0
		.amdhsa_float_denorm_mode_32 3
		.amdhsa_float_denorm_mode_16_64 3
		.amdhsa_dx10_clamp 1
		.amdhsa_ieee_mode 1
		.amdhsa_fp16_overflow 0
		.amdhsa_tg_split 0
		.amdhsa_exception_fp_ieee_invalid_op 0
		.amdhsa_exception_fp_denorm_src 0
		.amdhsa_exception_fp_ieee_div_zero 0
		.amdhsa_exception_fp_ieee_overflow 0
		.amdhsa_exception_fp_ieee_underflow 0
		.amdhsa_exception_fp_ieee_inexact 0
		.amdhsa_exception_int_div_zero 0
	.end_amdhsa_kernel
	.section	.text._ZN7rocprim17ROCPRIM_400000_NS6detail17trampoline_kernelINS0_14default_configENS1_22reduce_config_selectorIN6thrust23THRUST_200600_302600_NS5tupleIblNS6_9null_typeES8_S8_S8_S8_S8_S8_S8_EEEEZNS1_11reduce_implILb1ES3_NS6_12zip_iteratorINS7_INS6_11hip_rocprim26transform_input_iterator_tIbNSD_35transform_pair_of_input_iterators_tIbNS6_6detail15normal_iteratorINS6_10device_ptrIKfEEEESL_NS6_8equal_toIfEEEENSG_9not_fun_tINSD_8identityEEEEENSD_19counting_iterator_tIlEES8_S8_S8_S8_S8_S8_S8_S8_EEEEPS9_S9_NSD_9__find_if7functorIS9_EEEE10hipError_tPvRmT1_T2_T3_mT4_P12ihipStream_tbEUlT_E0_NS1_11comp_targetILNS1_3genE8ELNS1_11target_archE1030ELNS1_3gpuE2ELNS1_3repE0EEENS1_30default_config_static_selectorELNS0_4arch9wavefront6targetE1EEEvS14_,"axG",@progbits,_ZN7rocprim17ROCPRIM_400000_NS6detail17trampoline_kernelINS0_14default_configENS1_22reduce_config_selectorIN6thrust23THRUST_200600_302600_NS5tupleIblNS6_9null_typeES8_S8_S8_S8_S8_S8_S8_EEEEZNS1_11reduce_implILb1ES3_NS6_12zip_iteratorINS7_INS6_11hip_rocprim26transform_input_iterator_tIbNSD_35transform_pair_of_input_iterators_tIbNS6_6detail15normal_iteratorINS6_10device_ptrIKfEEEESL_NS6_8equal_toIfEEEENSG_9not_fun_tINSD_8identityEEEEENSD_19counting_iterator_tIlEES8_S8_S8_S8_S8_S8_S8_S8_EEEEPS9_S9_NSD_9__find_if7functorIS9_EEEE10hipError_tPvRmT1_T2_T3_mT4_P12ihipStream_tbEUlT_E0_NS1_11comp_targetILNS1_3genE8ELNS1_11target_archE1030ELNS1_3gpuE2ELNS1_3repE0EEENS1_30default_config_static_selectorELNS0_4arch9wavefront6targetE1EEEvS14_,comdat
.Lfunc_end85:
	.size	_ZN7rocprim17ROCPRIM_400000_NS6detail17trampoline_kernelINS0_14default_configENS1_22reduce_config_selectorIN6thrust23THRUST_200600_302600_NS5tupleIblNS6_9null_typeES8_S8_S8_S8_S8_S8_S8_EEEEZNS1_11reduce_implILb1ES3_NS6_12zip_iteratorINS7_INS6_11hip_rocprim26transform_input_iterator_tIbNSD_35transform_pair_of_input_iterators_tIbNS6_6detail15normal_iteratorINS6_10device_ptrIKfEEEESL_NS6_8equal_toIfEEEENSG_9not_fun_tINSD_8identityEEEEENSD_19counting_iterator_tIlEES8_S8_S8_S8_S8_S8_S8_S8_EEEEPS9_S9_NSD_9__find_if7functorIS9_EEEE10hipError_tPvRmT1_T2_T3_mT4_P12ihipStream_tbEUlT_E0_NS1_11comp_targetILNS1_3genE8ELNS1_11target_archE1030ELNS1_3gpuE2ELNS1_3repE0EEENS1_30default_config_static_selectorELNS0_4arch9wavefront6targetE1EEEvS14_, .Lfunc_end85-_ZN7rocprim17ROCPRIM_400000_NS6detail17trampoline_kernelINS0_14default_configENS1_22reduce_config_selectorIN6thrust23THRUST_200600_302600_NS5tupleIblNS6_9null_typeES8_S8_S8_S8_S8_S8_S8_EEEEZNS1_11reduce_implILb1ES3_NS6_12zip_iteratorINS7_INS6_11hip_rocprim26transform_input_iterator_tIbNSD_35transform_pair_of_input_iterators_tIbNS6_6detail15normal_iteratorINS6_10device_ptrIKfEEEESL_NS6_8equal_toIfEEEENSG_9not_fun_tINSD_8identityEEEEENSD_19counting_iterator_tIlEES8_S8_S8_S8_S8_S8_S8_S8_EEEEPS9_S9_NSD_9__find_if7functorIS9_EEEE10hipError_tPvRmT1_T2_T3_mT4_P12ihipStream_tbEUlT_E0_NS1_11comp_targetILNS1_3genE8ELNS1_11target_archE1030ELNS1_3gpuE2ELNS1_3repE0EEENS1_30default_config_static_selectorELNS0_4arch9wavefront6targetE1EEEvS14_
                                        ; -- End function
	.section	.AMDGPU.csdata,"",@progbits
; Kernel info:
; codeLenInByte = 0
; NumSgprs: 4
; NumVgprs: 0
; NumAgprs: 0
; TotalNumVgprs: 0
; ScratchSize: 0
; MemoryBound: 0
; FloatMode: 240
; IeeeMode: 1
; LDSByteSize: 0 bytes/workgroup (compile time only)
; SGPRBlocks: 0
; VGPRBlocks: 0
; NumSGPRsForWavesPerEU: 4
; NumVGPRsForWavesPerEU: 1
; AccumOffset: 4
; Occupancy: 8
; WaveLimiterHint : 0
; COMPUTE_PGM_RSRC2:SCRATCH_EN: 0
; COMPUTE_PGM_RSRC2:USER_SGPR: 6
; COMPUTE_PGM_RSRC2:TRAP_HANDLER: 0
; COMPUTE_PGM_RSRC2:TGID_X_EN: 1
; COMPUTE_PGM_RSRC2:TGID_Y_EN: 0
; COMPUTE_PGM_RSRC2:TGID_Z_EN: 0
; COMPUTE_PGM_RSRC2:TIDIG_COMP_CNT: 0
; COMPUTE_PGM_RSRC3_GFX90A:ACCUM_OFFSET: 0
; COMPUTE_PGM_RSRC3_GFX90A:TG_SPLIT: 0
	.section	.text._ZN7rocprim17ROCPRIM_400000_NS6detail17trampoline_kernelINS0_14default_configENS1_22reduce_config_selectorIN6thrust23THRUST_200600_302600_NS5tupleIblNS6_9null_typeES8_S8_S8_S8_S8_S8_S8_EEEEZNS1_11reduce_implILb1ES3_NS6_12zip_iteratorINS7_INS6_11hip_rocprim26transform_input_iterator_tIbNSD_35transform_pair_of_input_iterators_tIbNS6_6detail15normal_iteratorINS6_10device_ptrIKfEEEESL_NS6_8equal_toIfEEEENSG_9not_fun_tINSD_8identityEEEEENSD_19counting_iterator_tIlEES8_S8_S8_S8_S8_S8_S8_S8_EEEEPS9_S9_NSD_9__find_if7functorIS9_EEEE10hipError_tPvRmT1_T2_T3_mT4_P12ihipStream_tbEUlT_E1_NS1_11comp_targetILNS1_3genE0ELNS1_11target_archE4294967295ELNS1_3gpuE0ELNS1_3repE0EEENS1_30default_config_static_selectorELNS0_4arch9wavefront6targetE1EEEvS14_,"axG",@progbits,_ZN7rocprim17ROCPRIM_400000_NS6detail17trampoline_kernelINS0_14default_configENS1_22reduce_config_selectorIN6thrust23THRUST_200600_302600_NS5tupleIblNS6_9null_typeES8_S8_S8_S8_S8_S8_S8_EEEEZNS1_11reduce_implILb1ES3_NS6_12zip_iteratorINS7_INS6_11hip_rocprim26transform_input_iterator_tIbNSD_35transform_pair_of_input_iterators_tIbNS6_6detail15normal_iteratorINS6_10device_ptrIKfEEEESL_NS6_8equal_toIfEEEENSG_9not_fun_tINSD_8identityEEEEENSD_19counting_iterator_tIlEES8_S8_S8_S8_S8_S8_S8_S8_EEEEPS9_S9_NSD_9__find_if7functorIS9_EEEE10hipError_tPvRmT1_T2_T3_mT4_P12ihipStream_tbEUlT_E1_NS1_11comp_targetILNS1_3genE0ELNS1_11target_archE4294967295ELNS1_3gpuE0ELNS1_3repE0EEENS1_30default_config_static_selectorELNS0_4arch9wavefront6targetE1EEEvS14_,comdat
	.protected	_ZN7rocprim17ROCPRIM_400000_NS6detail17trampoline_kernelINS0_14default_configENS1_22reduce_config_selectorIN6thrust23THRUST_200600_302600_NS5tupleIblNS6_9null_typeES8_S8_S8_S8_S8_S8_S8_EEEEZNS1_11reduce_implILb1ES3_NS6_12zip_iteratorINS7_INS6_11hip_rocprim26transform_input_iterator_tIbNSD_35transform_pair_of_input_iterators_tIbNS6_6detail15normal_iteratorINS6_10device_ptrIKfEEEESL_NS6_8equal_toIfEEEENSG_9not_fun_tINSD_8identityEEEEENSD_19counting_iterator_tIlEES8_S8_S8_S8_S8_S8_S8_S8_EEEEPS9_S9_NSD_9__find_if7functorIS9_EEEE10hipError_tPvRmT1_T2_T3_mT4_P12ihipStream_tbEUlT_E1_NS1_11comp_targetILNS1_3genE0ELNS1_11target_archE4294967295ELNS1_3gpuE0ELNS1_3repE0EEENS1_30default_config_static_selectorELNS0_4arch9wavefront6targetE1EEEvS14_ ; -- Begin function _ZN7rocprim17ROCPRIM_400000_NS6detail17trampoline_kernelINS0_14default_configENS1_22reduce_config_selectorIN6thrust23THRUST_200600_302600_NS5tupleIblNS6_9null_typeES8_S8_S8_S8_S8_S8_S8_EEEEZNS1_11reduce_implILb1ES3_NS6_12zip_iteratorINS7_INS6_11hip_rocprim26transform_input_iterator_tIbNSD_35transform_pair_of_input_iterators_tIbNS6_6detail15normal_iteratorINS6_10device_ptrIKfEEEESL_NS6_8equal_toIfEEEENSG_9not_fun_tINSD_8identityEEEEENSD_19counting_iterator_tIlEES8_S8_S8_S8_S8_S8_S8_S8_EEEEPS9_S9_NSD_9__find_if7functorIS9_EEEE10hipError_tPvRmT1_T2_T3_mT4_P12ihipStream_tbEUlT_E1_NS1_11comp_targetILNS1_3genE0ELNS1_11target_archE4294967295ELNS1_3gpuE0ELNS1_3repE0EEENS1_30default_config_static_selectorELNS0_4arch9wavefront6targetE1EEEvS14_
	.globl	_ZN7rocprim17ROCPRIM_400000_NS6detail17trampoline_kernelINS0_14default_configENS1_22reduce_config_selectorIN6thrust23THRUST_200600_302600_NS5tupleIblNS6_9null_typeES8_S8_S8_S8_S8_S8_S8_EEEEZNS1_11reduce_implILb1ES3_NS6_12zip_iteratorINS7_INS6_11hip_rocprim26transform_input_iterator_tIbNSD_35transform_pair_of_input_iterators_tIbNS6_6detail15normal_iteratorINS6_10device_ptrIKfEEEESL_NS6_8equal_toIfEEEENSG_9not_fun_tINSD_8identityEEEEENSD_19counting_iterator_tIlEES8_S8_S8_S8_S8_S8_S8_S8_EEEEPS9_S9_NSD_9__find_if7functorIS9_EEEE10hipError_tPvRmT1_T2_T3_mT4_P12ihipStream_tbEUlT_E1_NS1_11comp_targetILNS1_3genE0ELNS1_11target_archE4294967295ELNS1_3gpuE0ELNS1_3repE0EEENS1_30default_config_static_selectorELNS0_4arch9wavefront6targetE1EEEvS14_
	.p2align	8
	.type	_ZN7rocprim17ROCPRIM_400000_NS6detail17trampoline_kernelINS0_14default_configENS1_22reduce_config_selectorIN6thrust23THRUST_200600_302600_NS5tupleIblNS6_9null_typeES8_S8_S8_S8_S8_S8_S8_EEEEZNS1_11reduce_implILb1ES3_NS6_12zip_iteratorINS7_INS6_11hip_rocprim26transform_input_iterator_tIbNSD_35transform_pair_of_input_iterators_tIbNS6_6detail15normal_iteratorINS6_10device_ptrIKfEEEESL_NS6_8equal_toIfEEEENSG_9not_fun_tINSD_8identityEEEEENSD_19counting_iterator_tIlEES8_S8_S8_S8_S8_S8_S8_S8_EEEEPS9_S9_NSD_9__find_if7functorIS9_EEEE10hipError_tPvRmT1_T2_T3_mT4_P12ihipStream_tbEUlT_E1_NS1_11comp_targetILNS1_3genE0ELNS1_11target_archE4294967295ELNS1_3gpuE0ELNS1_3repE0EEENS1_30default_config_static_selectorELNS0_4arch9wavefront6targetE1EEEvS14_,@function
_ZN7rocprim17ROCPRIM_400000_NS6detail17trampoline_kernelINS0_14default_configENS1_22reduce_config_selectorIN6thrust23THRUST_200600_302600_NS5tupleIblNS6_9null_typeES8_S8_S8_S8_S8_S8_S8_EEEEZNS1_11reduce_implILb1ES3_NS6_12zip_iteratorINS7_INS6_11hip_rocprim26transform_input_iterator_tIbNSD_35transform_pair_of_input_iterators_tIbNS6_6detail15normal_iteratorINS6_10device_ptrIKfEEEESL_NS6_8equal_toIfEEEENSG_9not_fun_tINSD_8identityEEEEENSD_19counting_iterator_tIlEES8_S8_S8_S8_S8_S8_S8_S8_EEEEPS9_S9_NSD_9__find_if7functorIS9_EEEE10hipError_tPvRmT1_T2_T3_mT4_P12ihipStream_tbEUlT_E1_NS1_11comp_targetILNS1_3genE0ELNS1_11target_archE4294967295ELNS1_3gpuE0ELNS1_3repE0EEENS1_30default_config_static_selectorELNS0_4arch9wavefront6targetE1EEEvS14_: ; @_ZN7rocprim17ROCPRIM_400000_NS6detail17trampoline_kernelINS0_14default_configENS1_22reduce_config_selectorIN6thrust23THRUST_200600_302600_NS5tupleIblNS6_9null_typeES8_S8_S8_S8_S8_S8_S8_EEEEZNS1_11reduce_implILb1ES3_NS6_12zip_iteratorINS7_INS6_11hip_rocprim26transform_input_iterator_tIbNSD_35transform_pair_of_input_iterators_tIbNS6_6detail15normal_iteratorINS6_10device_ptrIKfEEEESL_NS6_8equal_toIfEEEENSG_9not_fun_tINSD_8identityEEEEENSD_19counting_iterator_tIlEES8_S8_S8_S8_S8_S8_S8_S8_EEEEPS9_S9_NSD_9__find_if7functorIS9_EEEE10hipError_tPvRmT1_T2_T3_mT4_P12ihipStream_tbEUlT_E1_NS1_11comp_targetILNS1_3genE0ELNS1_11target_archE4294967295ELNS1_3gpuE0ELNS1_3repE0EEENS1_30default_config_static_selectorELNS0_4arch9wavefront6targetE1EEEvS14_
; %bb.0:
	.section	.rodata,"a",@progbits
	.p2align	6, 0x0
	.amdhsa_kernel _ZN7rocprim17ROCPRIM_400000_NS6detail17trampoline_kernelINS0_14default_configENS1_22reduce_config_selectorIN6thrust23THRUST_200600_302600_NS5tupleIblNS6_9null_typeES8_S8_S8_S8_S8_S8_S8_EEEEZNS1_11reduce_implILb1ES3_NS6_12zip_iteratorINS7_INS6_11hip_rocprim26transform_input_iterator_tIbNSD_35transform_pair_of_input_iterators_tIbNS6_6detail15normal_iteratorINS6_10device_ptrIKfEEEESL_NS6_8equal_toIfEEEENSG_9not_fun_tINSD_8identityEEEEENSD_19counting_iterator_tIlEES8_S8_S8_S8_S8_S8_S8_S8_EEEEPS9_S9_NSD_9__find_if7functorIS9_EEEE10hipError_tPvRmT1_T2_T3_mT4_P12ihipStream_tbEUlT_E1_NS1_11comp_targetILNS1_3genE0ELNS1_11target_archE4294967295ELNS1_3gpuE0ELNS1_3repE0EEENS1_30default_config_static_selectorELNS0_4arch9wavefront6targetE1EEEvS14_
		.amdhsa_group_segment_fixed_size 0
		.amdhsa_private_segment_fixed_size 0
		.amdhsa_kernarg_size 88
		.amdhsa_user_sgpr_count 6
		.amdhsa_user_sgpr_private_segment_buffer 1
		.amdhsa_user_sgpr_dispatch_ptr 0
		.amdhsa_user_sgpr_queue_ptr 0
		.amdhsa_user_sgpr_kernarg_segment_ptr 1
		.amdhsa_user_sgpr_dispatch_id 0
		.amdhsa_user_sgpr_flat_scratch_init 0
		.amdhsa_user_sgpr_kernarg_preload_length 0
		.amdhsa_user_sgpr_kernarg_preload_offset 0
		.amdhsa_user_sgpr_private_segment_size 0
		.amdhsa_uses_dynamic_stack 0
		.amdhsa_system_sgpr_private_segment_wavefront_offset 0
		.amdhsa_system_sgpr_workgroup_id_x 1
		.amdhsa_system_sgpr_workgroup_id_y 0
		.amdhsa_system_sgpr_workgroup_id_z 0
		.amdhsa_system_sgpr_workgroup_info 0
		.amdhsa_system_vgpr_workitem_id 0
		.amdhsa_next_free_vgpr 1
		.amdhsa_next_free_sgpr 0
		.amdhsa_accum_offset 4
		.amdhsa_reserve_vcc 0
		.amdhsa_reserve_flat_scratch 0
		.amdhsa_float_round_mode_32 0
		.amdhsa_float_round_mode_16_64 0
		.amdhsa_float_denorm_mode_32 3
		.amdhsa_float_denorm_mode_16_64 3
		.amdhsa_dx10_clamp 1
		.amdhsa_ieee_mode 1
		.amdhsa_fp16_overflow 0
		.amdhsa_tg_split 0
		.amdhsa_exception_fp_ieee_invalid_op 0
		.amdhsa_exception_fp_denorm_src 0
		.amdhsa_exception_fp_ieee_div_zero 0
		.amdhsa_exception_fp_ieee_overflow 0
		.amdhsa_exception_fp_ieee_underflow 0
		.amdhsa_exception_fp_ieee_inexact 0
		.amdhsa_exception_int_div_zero 0
	.end_amdhsa_kernel
	.section	.text._ZN7rocprim17ROCPRIM_400000_NS6detail17trampoline_kernelINS0_14default_configENS1_22reduce_config_selectorIN6thrust23THRUST_200600_302600_NS5tupleIblNS6_9null_typeES8_S8_S8_S8_S8_S8_S8_EEEEZNS1_11reduce_implILb1ES3_NS6_12zip_iteratorINS7_INS6_11hip_rocprim26transform_input_iterator_tIbNSD_35transform_pair_of_input_iterators_tIbNS6_6detail15normal_iteratorINS6_10device_ptrIKfEEEESL_NS6_8equal_toIfEEEENSG_9not_fun_tINSD_8identityEEEEENSD_19counting_iterator_tIlEES8_S8_S8_S8_S8_S8_S8_S8_EEEEPS9_S9_NSD_9__find_if7functorIS9_EEEE10hipError_tPvRmT1_T2_T3_mT4_P12ihipStream_tbEUlT_E1_NS1_11comp_targetILNS1_3genE0ELNS1_11target_archE4294967295ELNS1_3gpuE0ELNS1_3repE0EEENS1_30default_config_static_selectorELNS0_4arch9wavefront6targetE1EEEvS14_,"axG",@progbits,_ZN7rocprim17ROCPRIM_400000_NS6detail17trampoline_kernelINS0_14default_configENS1_22reduce_config_selectorIN6thrust23THRUST_200600_302600_NS5tupleIblNS6_9null_typeES8_S8_S8_S8_S8_S8_S8_EEEEZNS1_11reduce_implILb1ES3_NS6_12zip_iteratorINS7_INS6_11hip_rocprim26transform_input_iterator_tIbNSD_35transform_pair_of_input_iterators_tIbNS6_6detail15normal_iteratorINS6_10device_ptrIKfEEEESL_NS6_8equal_toIfEEEENSG_9not_fun_tINSD_8identityEEEEENSD_19counting_iterator_tIlEES8_S8_S8_S8_S8_S8_S8_S8_EEEEPS9_S9_NSD_9__find_if7functorIS9_EEEE10hipError_tPvRmT1_T2_T3_mT4_P12ihipStream_tbEUlT_E1_NS1_11comp_targetILNS1_3genE0ELNS1_11target_archE4294967295ELNS1_3gpuE0ELNS1_3repE0EEENS1_30default_config_static_selectorELNS0_4arch9wavefront6targetE1EEEvS14_,comdat
.Lfunc_end86:
	.size	_ZN7rocprim17ROCPRIM_400000_NS6detail17trampoline_kernelINS0_14default_configENS1_22reduce_config_selectorIN6thrust23THRUST_200600_302600_NS5tupleIblNS6_9null_typeES8_S8_S8_S8_S8_S8_S8_EEEEZNS1_11reduce_implILb1ES3_NS6_12zip_iteratorINS7_INS6_11hip_rocprim26transform_input_iterator_tIbNSD_35transform_pair_of_input_iterators_tIbNS6_6detail15normal_iteratorINS6_10device_ptrIKfEEEESL_NS6_8equal_toIfEEEENSG_9not_fun_tINSD_8identityEEEEENSD_19counting_iterator_tIlEES8_S8_S8_S8_S8_S8_S8_S8_EEEEPS9_S9_NSD_9__find_if7functorIS9_EEEE10hipError_tPvRmT1_T2_T3_mT4_P12ihipStream_tbEUlT_E1_NS1_11comp_targetILNS1_3genE0ELNS1_11target_archE4294967295ELNS1_3gpuE0ELNS1_3repE0EEENS1_30default_config_static_selectorELNS0_4arch9wavefront6targetE1EEEvS14_, .Lfunc_end86-_ZN7rocprim17ROCPRIM_400000_NS6detail17trampoline_kernelINS0_14default_configENS1_22reduce_config_selectorIN6thrust23THRUST_200600_302600_NS5tupleIblNS6_9null_typeES8_S8_S8_S8_S8_S8_S8_EEEEZNS1_11reduce_implILb1ES3_NS6_12zip_iteratorINS7_INS6_11hip_rocprim26transform_input_iterator_tIbNSD_35transform_pair_of_input_iterators_tIbNS6_6detail15normal_iteratorINS6_10device_ptrIKfEEEESL_NS6_8equal_toIfEEEENSG_9not_fun_tINSD_8identityEEEEENSD_19counting_iterator_tIlEES8_S8_S8_S8_S8_S8_S8_S8_EEEEPS9_S9_NSD_9__find_if7functorIS9_EEEE10hipError_tPvRmT1_T2_T3_mT4_P12ihipStream_tbEUlT_E1_NS1_11comp_targetILNS1_3genE0ELNS1_11target_archE4294967295ELNS1_3gpuE0ELNS1_3repE0EEENS1_30default_config_static_selectorELNS0_4arch9wavefront6targetE1EEEvS14_
                                        ; -- End function
	.section	.AMDGPU.csdata,"",@progbits
; Kernel info:
; codeLenInByte = 0
; NumSgprs: 4
; NumVgprs: 0
; NumAgprs: 0
; TotalNumVgprs: 0
; ScratchSize: 0
; MemoryBound: 0
; FloatMode: 240
; IeeeMode: 1
; LDSByteSize: 0 bytes/workgroup (compile time only)
; SGPRBlocks: 0
; VGPRBlocks: 0
; NumSGPRsForWavesPerEU: 4
; NumVGPRsForWavesPerEU: 1
; AccumOffset: 4
; Occupancy: 8
; WaveLimiterHint : 0
; COMPUTE_PGM_RSRC2:SCRATCH_EN: 0
; COMPUTE_PGM_RSRC2:USER_SGPR: 6
; COMPUTE_PGM_RSRC2:TRAP_HANDLER: 0
; COMPUTE_PGM_RSRC2:TGID_X_EN: 1
; COMPUTE_PGM_RSRC2:TGID_Y_EN: 0
; COMPUTE_PGM_RSRC2:TGID_Z_EN: 0
; COMPUTE_PGM_RSRC2:TIDIG_COMP_CNT: 0
; COMPUTE_PGM_RSRC3_GFX90A:ACCUM_OFFSET: 0
; COMPUTE_PGM_RSRC3_GFX90A:TG_SPLIT: 0
	.section	.text._ZN7rocprim17ROCPRIM_400000_NS6detail17trampoline_kernelINS0_14default_configENS1_22reduce_config_selectorIN6thrust23THRUST_200600_302600_NS5tupleIblNS6_9null_typeES8_S8_S8_S8_S8_S8_S8_EEEEZNS1_11reduce_implILb1ES3_NS6_12zip_iteratorINS7_INS6_11hip_rocprim26transform_input_iterator_tIbNSD_35transform_pair_of_input_iterators_tIbNS6_6detail15normal_iteratorINS6_10device_ptrIKfEEEESL_NS6_8equal_toIfEEEENSG_9not_fun_tINSD_8identityEEEEENSD_19counting_iterator_tIlEES8_S8_S8_S8_S8_S8_S8_S8_EEEEPS9_S9_NSD_9__find_if7functorIS9_EEEE10hipError_tPvRmT1_T2_T3_mT4_P12ihipStream_tbEUlT_E1_NS1_11comp_targetILNS1_3genE5ELNS1_11target_archE942ELNS1_3gpuE9ELNS1_3repE0EEENS1_30default_config_static_selectorELNS0_4arch9wavefront6targetE1EEEvS14_,"axG",@progbits,_ZN7rocprim17ROCPRIM_400000_NS6detail17trampoline_kernelINS0_14default_configENS1_22reduce_config_selectorIN6thrust23THRUST_200600_302600_NS5tupleIblNS6_9null_typeES8_S8_S8_S8_S8_S8_S8_EEEEZNS1_11reduce_implILb1ES3_NS6_12zip_iteratorINS7_INS6_11hip_rocprim26transform_input_iterator_tIbNSD_35transform_pair_of_input_iterators_tIbNS6_6detail15normal_iteratorINS6_10device_ptrIKfEEEESL_NS6_8equal_toIfEEEENSG_9not_fun_tINSD_8identityEEEEENSD_19counting_iterator_tIlEES8_S8_S8_S8_S8_S8_S8_S8_EEEEPS9_S9_NSD_9__find_if7functorIS9_EEEE10hipError_tPvRmT1_T2_T3_mT4_P12ihipStream_tbEUlT_E1_NS1_11comp_targetILNS1_3genE5ELNS1_11target_archE942ELNS1_3gpuE9ELNS1_3repE0EEENS1_30default_config_static_selectorELNS0_4arch9wavefront6targetE1EEEvS14_,comdat
	.protected	_ZN7rocprim17ROCPRIM_400000_NS6detail17trampoline_kernelINS0_14default_configENS1_22reduce_config_selectorIN6thrust23THRUST_200600_302600_NS5tupleIblNS6_9null_typeES8_S8_S8_S8_S8_S8_S8_EEEEZNS1_11reduce_implILb1ES3_NS6_12zip_iteratorINS7_INS6_11hip_rocprim26transform_input_iterator_tIbNSD_35transform_pair_of_input_iterators_tIbNS6_6detail15normal_iteratorINS6_10device_ptrIKfEEEESL_NS6_8equal_toIfEEEENSG_9not_fun_tINSD_8identityEEEEENSD_19counting_iterator_tIlEES8_S8_S8_S8_S8_S8_S8_S8_EEEEPS9_S9_NSD_9__find_if7functorIS9_EEEE10hipError_tPvRmT1_T2_T3_mT4_P12ihipStream_tbEUlT_E1_NS1_11comp_targetILNS1_3genE5ELNS1_11target_archE942ELNS1_3gpuE9ELNS1_3repE0EEENS1_30default_config_static_selectorELNS0_4arch9wavefront6targetE1EEEvS14_ ; -- Begin function _ZN7rocprim17ROCPRIM_400000_NS6detail17trampoline_kernelINS0_14default_configENS1_22reduce_config_selectorIN6thrust23THRUST_200600_302600_NS5tupleIblNS6_9null_typeES8_S8_S8_S8_S8_S8_S8_EEEEZNS1_11reduce_implILb1ES3_NS6_12zip_iteratorINS7_INS6_11hip_rocprim26transform_input_iterator_tIbNSD_35transform_pair_of_input_iterators_tIbNS6_6detail15normal_iteratorINS6_10device_ptrIKfEEEESL_NS6_8equal_toIfEEEENSG_9not_fun_tINSD_8identityEEEEENSD_19counting_iterator_tIlEES8_S8_S8_S8_S8_S8_S8_S8_EEEEPS9_S9_NSD_9__find_if7functorIS9_EEEE10hipError_tPvRmT1_T2_T3_mT4_P12ihipStream_tbEUlT_E1_NS1_11comp_targetILNS1_3genE5ELNS1_11target_archE942ELNS1_3gpuE9ELNS1_3repE0EEENS1_30default_config_static_selectorELNS0_4arch9wavefront6targetE1EEEvS14_
	.globl	_ZN7rocprim17ROCPRIM_400000_NS6detail17trampoline_kernelINS0_14default_configENS1_22reduce_config_selectorIN6thrust23THRUST_200600_302600_NS5tupleIblNS6_9null_typeES8_S8_S8_S8_S8_S8_S8_EEEEZNS1_11reduce_implILb1ES3_NS6_12zip_iteratorINS7_INS6_11hip_rocprim26transform_input_iterator_tIbNSD_35transform_pair_of_input_iterators_tIbNS6_6detail15normal_iteratorINS6_10device_ptrIKfEEEESL_NS6_8equal_toIfEEEENSG_9not_fun_tINSD_8identityEEEEENSD_19counting_iterator_tIlEES8_S8_S8_S8_S8_S8_S8_S8_EEEEPS9_S9_NSD_9__find_if7functorIS9_EEEE10hipError_tPvRmT1_T2_T3_mT4_P12ihipStream_tbEUlT_E1_NS1_11comp_targetILNS1_3genE5ELNS1_11target_archE942ELNS1_3gpuE9ELNS1_3repE0EEENS1_30default_config_static_selectorELNS0_4arch9wavefront6targetE1EEEvS14_
	.p2align	8
	.type	_ZN7rocprim17ROCPRIM_400000_NS6detail17trampoline_kernelINS0_14default_configENS1_22reduce_config_selectorIN6thrust23THRUST_200600_302600_NS5tupleIblNS6_9null_typeES8_S8_S8_S8_S8_S8_S8_EEEEZNS1_11reduce_implILb1ES3_NS6_12zip_iteratorINS7_INS6_11hip_rocprim26transform_input_iterator_tIbNSD_35transform_pair_of_input_iterators_tIbNS6_6detail15normal_iteratorINS6_10device_ptrIKfEEEESL_NS6_8equal_toIfEEEENSG_9not_fun_tINSD_8identityEEEEENSD_19counting_iterator_tIlEES8_S8_S8_S8_S8_S8_S8_S8_EEEEPS9_S9_NSD_9__find_if7functorIS9_EEEE10hipError_tPvRmT1_T2_T3_mT4_P12ihipStream_tbEUlT_E1_NS1_11comp_targetILNS1_3genE5ELNS1_11target_archE942ELNS1_3gpuE9ELNS1_3repE0EEENS1_30default_config_static_selectorELNS0_4arch9wavefront6targetE1EEEvS14_,@function
_ZN7rocprim17ROCPRIM_400000_NS6detail17trampoline_kernelINS0_14default_configENS1_22reduce_config_selectorIN6thrust23THRUST_200600_302600_NS5tupleIblNS6_9null_typeES8_S8_S8_S8_S8_S8_S8_EEEEZNS1_11reduce_implILb1ES3_NS6_12zip_iteratorINS7_INS6_11hip_rocprim26transform_input_iterator_tIbNSD_35transform_pair_of_input_iterators_tIbNS6_6detail15normal_iteratorINS6_10device_ptrIKfEEEESL_NS6_8equal_toIfEEEENSG_9not_fun_tINSD_8identityEEEEENSD_19counting_iterator_tIlEES8_S8_S8_S8_S8_S8_S8_S8_EEEEPS9_S9_NSD_9__find_if7functorIS9_EEEE10hipError_tPvRmT1_T2_T3_mT4_P12ihipStream_tbEUlT_E1_NS1_11comp_targetILNS1_3genE5ELNS1_11target_archE942ELNS1_3gpuE9ELNS1_3repE0EEENS1_30default_config_static_selectorELNS0_4arch9wavefront6targetE1EEEvS14_: ; @_ZN7rocprim17ROCPRIM_400000_NS6detail17trampoline_kernelINS0_14default_configENS1_22reduce_config_selectorIN6thrust23THRUST_200600_302600_NS5tupleIblNS6_9null_typeES8_S8_S8_S8_S8_S8_S8_EEEEZNS1_11reduce_implILb1ES3_NS6_12zip_iteratorINS7_INS6_11hip_rocprim26transform_input_iterator_tIbNSD_35transform_pair_of_input_iterators_tIbNS6_6detail15normal_iteratorINS6_10device_ptrIKfEEEESL_NS6_8equal_toIfEEEENSG_9not_fun_tINSD_8identityEEEEENSD_19counting_iterator_tIlEES8_S8_S8_S8_S8_S8_S8_S8_EEEEPS9_S9_NSD_9__find_if7functorIS9_EEEE10hipError_tPvRmT1_T2_T3_mT4_P12ihipStream_tbEUlT_E1_NS1_11comp_targetILNS1_3genE5ELNS1_11target_archE942ELNS1_3gpuE9ELNS1_3repE0EEENS1_30default_config_static_selectorELNS0_4arch9wavefront6targetE1EEEvS14_
; %bb.0:
	.section	.rodata,"a",@progbits
	.p2align	6, 0x0
	.amdhsa_kernel _ZN7rocprim17ROCPRIM_400000_NS6detail17trampoline_kernelINS0_14default_configENS1_22reduce_config_selectorIN6thrust23THRUST_200600_302600_NS5tupleIblNS6_9null_typeES8_S8_S8_S8_S8_S8_S8_EEEEZNS1_11reduce_implILb1ES3_NS6_12zip_iteratorINS7_INS6_11hip_rocprim26transform_input_iterator_tIbNSD_35transform_pair_of_input_iterators_tIbNS6_6detail15normal_iteratorINS6_10device_ptrIKfEEEESL_NS6_8equal_toIfEEEENSG_9not_fun_tINSD_8identityEEEEENSD_19counting_iterator_tIlEES8_S8_S8_S8_S8_S8_S8_S8_EEEEPS9_S9_NSD_9__find_if7functorIS9_EEEE10hipError_tPvRmT1_T2_T3_mT4_P12ihipStream_tbEUlT_E1_NS1_11comp_targetILNS1_3genE5ELNS1_11target_archE942ELNS1_3gpuE9ELNS1_3repE0EEENS1_30default_config_static_selectorELNS0_4arch9wavefront6targetE1EEEvS14_
		.amdhsa_group_segment_fixed_size 0
		.amdhsa_private_segment_fixed_size 0
		.amdhsa_kernarg_size 88
		.amdhsa_user_sgpr_count 6
		.amdhsa_user_sgpr_private_segment_buffer 1
		.amdhsa_user_sgpr_dispatch_ptr 0
		.amdhsa_user_sgpr_queue_ptr 0
		.amdhsa_user_sgpr_kernarg_segment_ptr 1
		.amdhsa_user_sgpr_dispatch_id 0
		.amdhsa_user_sgpr_flat_scratch_init 0
		.amdhsa_user_sgpr_kernarg_preload_length 0
		.amdhsa_user_sgpr_kernarg_preload_offset 0
		.amdhsa_user_sgpr_private_segment_size 0
		.amdhsa_uses_dynamic_stack 0
		.amdhsa_system_sgpr_private_segment_wavefront_offset 0
		.amdhsa_system_sgpr_workgroup_id_x 1
		.amdhsa_system_sgpr_workgroup_id_y 0
		.amdhsa_system_sgpr_workgroup_id_z 0
		.amdhsa_system_sgpr_workgroup_info 0
		.amdhsa_system_vgpr_workitem_id 0
		.amdhsa_next_free_vgpr 1
		.amdhsa_next_free_sgpr 0
		.amdhsa_accum_offset 4
		.amdhsa_reserve_vcc 0
		.amdhsa_reserve_flat_scratch 0
		.amdhsa_float_round_mode_32 0
		.amdhsa_float_round_mode_16_64 0
		.amdhsa_float_denorm_mode_32 3
		.amdhsa_float_denorm_mode_16_64 3
		.amdhsa_dx10_clamp 1
		.amdhsa_ieee_mode 1
		.amdhsa_fp16_overflow 0
		.amdhsa_tg_split 0
		.amdhsa_exception_fp_ieee_invalid_op 0
		.amdhsa_exception_fp_denorm_src 0
		.amdhsa_exception_fp_ieee_div_zero 0
		.amdhsa_exception_fp_ieee_overflow 0
		.amdhsa_exception_fp_ieee_underflow 0
		.amdhsa_exception_fp_ieee_inexact 0
		.amdhsa_exception_int_div_zero 0
	.end_amdhsa_kernel
	.section	.text._ZN7rocprim17ROCPRIM_400000_NS6detail17trampoline_kernelINS0_14default_configENS1_22reduce_config_selectorIN6thrust23THRUST_200600_302600_NS5tupleIblNS6_9null_typeES8_S8_S8_S8_S8_S8_S8_EEEEZNS1_11reduce_implILb1ES3_NS6_12zip_iteratorINS7_INS6_11hip_rocprim26transform_input_iterator_tIbNSD_35transform_pair_of_input_iterators_tIbNS6_6detail15normal_iteratorINS6_10device_ptrIKfEEEESL_NS6_8equal_toIfEEEENSG_9not_fun_tINSD_8identityEEEEENSD_19counting_iterator_tIlEES8_S8_S8_S8_S8_S8_S8_S8_EEEEPS9_S9_NSD_9__find_if7functorIS9_EEEE10hipError_tPvRmT1_T2_T3_mT4_P12ihipStream_tbEUlT_E1_NS1_11comp_targetILNS1_3genE5ELNS1_11target_archE942ELNS1_3gpuE9ELNS1_3repE0EEENS1_30default_config_static_selectorELNS0_4arch9wavefront6targetE1EEEvS14_,"axG",@progbits,_ZN7rocprim17ROCPRIM_400000_NS6detail17trampoline_kernelINS0_14default_configENS1_22reduce_config_selectorIN6thrust23THRUST_200600_302600_NS5tupleIblNS6_9null_typeES8_S8_S8_S8_S8_S8_S8_EEEEZNS1_11reduce_implILb1ES3_NS6_12zip_iteratorINS7_INS6_11hip_rocprim26transform_input_iterator_tIbNSD_35transform_pair_of_input_iterators_tIbNS6_6detail15normal_iteratorINS6_10device_ptrIKfEEEESL_NS6_8equal_toIfEEEENSG_9not_fun_tINSD_8identityEEEEENSD_19counting_iterator_tIlEES8_S8_S8_S8_S8_S8_S8_S8_EEEEPS9_S9_NSD_9__find_if7functorIS9_EEEE10hipError_tPvRmT1_T2_T3_mT4_P12ihipStream_tbEUlT_E1_NS1_11comp_targetILNS1_3genE5ELNS1_11target_archE942ELNS1_3gpuE9ELNS1_3repE0EEENS1_30default_config_static_selectorELNS0_4arch9wavefront6targetE1EEEvS14_,comdat
.Lfunc_end87:
	.size	_ZN7rocprim17ROCPRIM_400000_NS6detail17trampoline_kernelINS0_14default_configENS1_22reduce_config_selectorIN6thrust23THRUST_200600_302600_NS5tupleIblNS6_9null_typeES8_S8_S8_S8_S8_S8_S8_EEEEZNS1_11reduce_implILb1ES3_NS6_12zip_iteratorINS7_INS6_11hip_rocprim26transform_input_iterator_tIbNSD_35transform_pair_of_input_iterators_tIbNS6_6detail15normal_iteratorINS6_10device_ptrIKfEEEESL_NS6_8equal_toIfEEEENSG_9not_fun_tINSD_8identityEEEEENSD_19counting_iterator_tIlEES8_S8_S8_S8_S8_S8_S8_S8_EEEEPS9_S9_NSD_9__find_if7functorIS9_EEEE10hipError_tPvRmT1_T2_T3_mT4_P12ihipStream_tbEUlT_E1_NS1_11comp_targetILNS1_3genE5ELNS1_11target_archE942ELNS1_3gpuE9ELNS1_3repE0EEENS1_30default_config_static_selectorELNS0_4arch9wavefront6targetE1EEEvS14_, .Lfunc_end87-_ZN7rocprim17ROCPRIM_400000_NS6detail17trampoline_kernelINS0_14default_configENS1_22reduce_config_selectorIN6thrust23THRUST_200600_302600_NS5tupleIblNS6_9null_typeES8_S8_S8_S8_S8_S8_S8_EEEEZNS1_11reduce_implILb1ES3_NS6_12zip_iteratorINS7_INS6_11hip_rocprim26transform_input_iterator_tIbNSD_35transform_pair_of_input_iterators_tIbNS6_6detail15normal_iteratorINS6_10device_ptrIKfEEEESL_NS6_8equal_toIfEEEENSG_9not_fun_tINSD_8identityEEEEENSD_19counting_iterator_tIlEES8_S8_S8_S8_S8_S8_S8_S8_EEEEPS9_S9_NSD_9__find_if7functorIS9_EEEE10hipError_tPvRmT1_T2_T3_mT4_P12ihipStream_tbEUlT_E1_NS1_11comp_targetILNS1_3genE5ELNS1_11target_archE942ELNS1_3gpuE9ELNS1_3repE0EEENS1_30default_config_static_selectorELNS0_4arch9wavefront6targetE1EEEvS14_
                                        ; -- End function
	.section	.AMDGPU.csdata,"",@progbits
; Kernel info:
; codeLenInByte = 0
; NumSgprs: 4
; NumVgprs: 0
; NumAgprs: 0
; TotalNumVgprs: 0
; ScratchSize: 0
; MemoryBound: 0
; FloatMode: 240
; IeeeMode: 1
; LDSByteSize: 0 bytes/workgroup (compile time only)
; SGPRBlocks: 0
; VGPRBlocks: 0
; NumSGPRsForWavesPerEU: 4
; NumVGPRsForWavesPerEU: 1
; AccumOffset: 4
; Occupancy: 8
; WaveLimiterHint : 0
; COMPUTE_PGM_RSRC2:SCRATCH_EN: 0
; COMPUTE_PGM_RSRC2:USER_SGPR: 6
; COMPUTE_PGM_RSRC2:TRAP_HANDLER: 0
; COMPUTE_PGM_RSRC2:TGID_X_EN: 1
; COMPUTE_PGM_RSRC2:TGID_Y_EN: 0
; COMPUTE_PGM_RSRC2:TGID_Z_EN: 0
; COMPUTE_PGM_RSRC2:TIDIG_COMP_CNT: 0
; COMPUTE_PGM_RSRC3_GFX90A:ACCUM_OFFSET: 0
; COMPUTE_PGM_RSRC3_GFX90A:TG_SPLIT: 0
	.section	.text._ZN7rocprim17ROCPRIM_400000_NS6detail17trampoline_kernelINS0_14default_configENS1_22reduce_config_selectorIN6thrust23THRUST_200600_302600_NS5tupleIblNS6_9null_typeES8_S8_S8_S8_S8_S8_S8_EEEEZNS1_11reduce_implILb1ES3_NS6_12zip_iteratorINS7_INS6_11hip_rocprim26transform_input_iterator_tIbNSD_35transform_pair_of_input_iterators_tIbNS6_6detail15normal_iteratorINS6_10device_ptrIKfEEEESL_NS6_8equal_toIfEEEENSG_9not_fun_tINSD_8identityEEEEENSD_19counting_iterator_tIlEES8_S8_S8_S8_S8_S8_S8_S8_EEEEPS9_S9_NSD_9__find_if7functorIS9_EEEE10hipError_tPvRmT1_T2_T3_mT4_P12ihipStream_tbEUlT_E1_NS1_11comp_targetILNS1_3genE4ELNS1_11target_archE910ELNS1_3gpuE8ELNS1_3repE0EEENS1_30default_config_static_selectorELNS0_4arch9wavefront6targetE1EEEvS14_,"axG",@progbits,_ZN7rocprim17ROCPRIM_400000_NS6detail17trampoline_kernelINS0_14default_configENS1_22reduce_config_selectorIN6thrust23THRUST_200600_302600_NS5tupleIblNS6_9null_typeES8_S8_S8_S8_S8_S8_S8_EEEEZNS1_11reduce_implILb1ES3_NS6_12zip_iteratorINS7_INS6_11hip_rocprim26transform_input_iterator_tIbNSD_35transform_pair_of_input_iterators_tIbNS6_6detail15normal_iteratorINS6_10device_ptrIKfEEEESL_NS6_8equal_toIfEEEENSG_9not_fun_tINSD_8identityEEEEENSD_19counting_iterator_tIlEES8_S8_S8_S8_S8_S8_S8_S8_EEEEPS9_S9_NSD_9__find_if7functorIS9_EEEE10hipError_tPvRmT1_T2_T3_mT4_P12ihipStream_tbEUlT_E1_NS1_11comp_targetILNS1_3genE4ELNS1_11target_archE910ELNS1_3gpuE8ELNS1_3repE0EEENS1_30default_config_static_selectorELNS0_4arch9wavefront6targetE1EEEvS14_,comdat
	.protected	_ZN7rocprim17ROCPRIM_400000_NS6detail17trampoline_kernelINS0_14default_configENS1_22reduce_config_selectorIN6thrust23THRUST_200600_302600_NS5tupleIblNS6_9null_typeES8_S8_S8_S8_S8_S8_S8_EEEEZNS1_11reduce_implILb1ES3_NS6_12zip_iteratorINS7_INS6_11hip_rocprim26transform_input_iterator_tIbNSD_35transform_pair_of_input_iterators_tIbNS6_6detail15normal_iteratorINS6_10device_ptrIKfEEEESL_NS6_8equal_toIfEEEENSG_9not_fun_tINSD_8identityEEEEENSD_19counting_iterator_tIlEES8_S8_S8_S8_S8_S8_S8_S8_EEEEPS9_S9_NSD_9__find_if7functorIS9_EEEE10hipError_tPvRmT1_T2_T3_mT4_P12ihipStream_tbEUlT_E1_NS1_11comp_targetILNS1_3genE4ELNS1_11target_archE910ELNS1_3gpuE8ELNS1_3repE0EEENS1_30default_config_static_selectorELNS0_4arch9wavefront6targetE1EEEvS14_ ; -- Begin function _ZN7rocprim17ROCPRIM_400000_NS6detail17trampoline_kernelINS0_14default_configENS1_22reduce_config_selectorIN6thrust23THRUST_200600_302600_NS5tupleIblNS6_9null_typeES8_S8_S8_S8_S8_S8_S8_EEEEZNS1_11reduce_implILb1ES3_NS6_12zip_iteratorINS7_INS6_11hip_rocprim26transform_input_iterator_tIbNSD_35transform_pair_of_input_iterators_tIbNS6_6detail15normal_iteratorINS6_10device_ptrIKfEEEESL_NS6_8equal_toIfEEEENSG_9not_fun_tINSD_8identityEEEEENSD_19counting_iterator_tIlEES8_S8_S8_S8_S8_S8_S8_S8_EEEEPS9_S9_NSD_9__find_if7functorIS9_EEEE10hipError_tPvRmT1_T2_T3_mT4_P12ihipStream_tbEUlT_E1_NS1_11comp_targetILNS1_3genE4ELNS1_11target_archE910ELNS1_3gpuE8ELNS1_3repE0EEENS1_30default_config_static_selectorELNS0_4arch9wavefront6targetE1EEEvS14_
	.globl	_ZN7rocprim17ROCPRIM_400000_NS6detail17trampoline_kernelINS0_14default_configENS1_22reduce_config_selectorIN6thrust23THRUST_200600_302600_NS5tupleIblNS6_9null_typeES8_S8_S8_S8_S8_S8_S8_EEEEZNS1_11reduce_implILb1ES3_NS6_12zip_iteratorINS7_INS6_11hip_rocprim26transform_input_iterator_tIbNSD_35transform_pair_of_input_iterators_tIbNS6_6detail15normal_iteratorINS6_10device_ptrIKfEEEESL_NS6_8equal_toIfEEEENSG_9not_fun_tINSD_8identityEEEEENSD_19counting_iterator_tIlEES8_S8_S8_S8_S8_S8_S8_S8_EEEEPS9_S9_NSD_9__find_if7functorIS9_EEEE10hipError_tPvRmT1_T2_T3_mT4_P12ihipStream_tbEUlT_E1_NS1_11comp_targetILNS1_3genE4ELNS1_11target_archE910ELNS1_3gpuE8ELNS1_3repE0EEENS1_30default_config_static_selectorELNS0_4arch9wavefront6targetE1EEEvS14_
	.p2align	8
	.type	_ZN7rocprim17ROCPRIM_400000_NS6detail17trampoline_kernelINS0_14default_configENS1_22reduce_config_selectorIN6thrust23THRUST_200600_302600_NS5tupleIblNS6_9null_typeES8_S8_S8_S8_S8_S8_S8_EEEEZNS1_11reduce_implILb1ES3_NS6_12zip_iteratorINS7_INS6_11hip_rocprim26transform_input_iterator_tIbNSD_35transform_pair_of_input_iterators_tIbNS6_6detail15normal_iteratorINS6_10device_ptrIKfEEEESL_NS6_8equal_toIfEEEENSG_9not_fun_tINSD_8identityEEEEENSD_19counting_iterator_tIlEES8_S8_S8_S8_S8_S8_S8_S8_EEEEPS9_S9_NSD_9__find_if7functorIS9_EEEE10hipError_tPvRmT1_T2_T3_mT4_P12ihipStream_tbEUlT_E1_NS1_11comp_targetILNS1_3genE4ELNS1_11target_archE910ELNS1_3gpuE8ELNS1_3repE0EEENS1_30default_config_static_selectorELNS0_4arch9wavefront6targetE1EEEvS14_,@function
_ZN7rocprim17ROCPRIM_400000_NS6detail17trampoline_kernelINS0_14default_configENS1_22reduce_config_selectorIN6thrust23THRUST_200600_302600_NS5tupleIblNS6_9null_typeES8_S8_S8_S8_S8_S8_S8_EEEEZNS1_11reduce_implILb1ES3_NS6_12zip_iteratorINS7_INS6_11hip_rocprim26transform_input_iterator_tIbNSD_35transform_pair_of_input_iterators_tIbNS6_6detail15normal_iteratorINS6_10device_ptrIKfEEEESL_NS6_8equal_toIfEEEENSG_9not_fun_tINSD_8identityEEEEENSD_19counting_iterator_tIlEES8_S8_S8_S8_S8_S8_S8_S8_EEEEPS9_S9_NSD_9__find_if7functorIS9_EEEE10hipError_tPvRmT1_T2_T3_mT4_P12ihipStream_tbEUlT_E1_NS1_11comp_targetILNS1_3genE4ELNS1_11target_archE910ELNS1_3gpuE8ELNS1_3repE0EEENS1_30default_config_static_selectorELNS0_4arch9wavefront6targetE1EEEvS14_: ; @_ZN7rocprim17ROCPRIM_400000_NS6detail17trampoline_kernelINS0_14default_configENS1_22reduce_config_selectorIN6thrust23THRUST_200600_302600_NS5tupleIblNS6_9null_typeES8_S8_S8_S8_S8_S8_S8_EEEEZNS1_11reduce_implILb1ES3_NS6_12zip_iteratorINS7_INS6_11hip_rocprim26transform_input_iterator_tIbNSD_35transform_pair_of_input_iterators_tIbNS6_6detail15normal_iteratorINS6_10device_ptrIKfEEEESL_NS6_8equal_toIfEEEENSG_9not_fun_tINSD_8identityEEEEENSD_19counting_iterator_tIlEES8_S8_S8_S8_S8_S8_S8_S8_EEEEPS9_S9_NSD_9__find_if7functorIS9_EEEE10hipError_tPvRmT1_T2_T3_mT4_P12ihipStream_tbEUlT_E1_NS1_11comp_targetILNS1_3genE4ELNS1_11target_archE910ELNS1_3gpuE8ELNS1_3repE0EEENS1_30default_config_static_selectorELNS0_4arch9wavefront6targetE1EEEvS14_
; %bb.0:
	s_load_dword s36, s[4:5], 0x4
	s_load_dwordx4 s[24:27], s[4:5], 0x8
	s_load_dwordx4 s[20:23], s[4:5], 0x28
	s_load_dword s33, s[4:5], 0x40
	s_load_dwordx2 s[18:19], s[4:5], 0x48
	s_waitcnt lgkmcnt(0)
	s_cmp_lt_i32 s36, 4
	s_cbranch_scc1 .LBB88_21
; %bb.1:
	s_cmp_gt_i32 s36, 7
	s_cbranch_scc0 .LBB88_22
; %bb.2:
	s_cmp_eq_u32 s36, 8
	s_mov_b64 s[28:29], 0
	s_cbranch_scc0 .LBB88_23
; %bb.3:
	s_mov_b32 s7, 0
	s_lshl_b32 s14, s6, 11
	s_mov_b32 s15, s7
	s_lshr_b64 s[0:1], s[22:23], 11
	s_lshl_b64 s[2:3], s[14:15], 2
	s_add_u32 s16, s24, s2
	s_addc_u32 s17, s25, s3
	s_add_u32 s30, s26, s2
	s_addc_u32 s31, s27, s3
	;; [unrolled: 2-line block ×3, first 2 shown]
	s_cmp_lg_u64 s[0:1], s[6:7]
	s_cbranch_scc0 .LBB88_44
; %bb.4:
	v_lshlrev_b32_e32 v1, 2, v0
	v_mov_b32_e32 v2, s17
	v_add_co_u32_e32 v3, vcc, s16, v1
	v_addc_co_u32_e32 v4, vcc, 0, v2, vcc
	v_mov_b32_e32 v2, s31
	v_add_co_u32_e32 v5, vcc, s30, v1
	v_addc_co_u32_e32 v6, vcc, 0, v2, vcc
	s_movk_i32 s0, 0x1000
	v_add_co_u32_e32 v2, vcc, s0, v3
	global_load_dword v7, v1, s[16:17]
	global_load_dword v8, v1, s[16:17] offset:1024
	global_load_dword v9, v1, s[16:17] offset:2048
	global_load_dword v10, v1, s[30:31] offset:1024
	global_load_dword v11, v1, s[30:31] offset:2048
	global_load_dword v12, v1, s[30:31] offset:3072
	global_load_dword v13, v1, s[30:31]
	global_load_dword v14, v1, s[16:17] offset:3072
	v_addc_co_u32_e32 v3, vcc, 0, v4, vcc
	v_add_co_u32_e32 v4, vcc, s0, v5
	global_load_dword v1, v[2:3], off
	v_addc_co_u32_e32 v5, vcc, 0, v6, vcc
	global_load_dword v6, v[4:5], off
	global_load_dword v15, v[2:3], off offset:2048
	global_load_dword v16, v[2:3], off offset:3072
	;; [unrolled: 1-line block ×6, first 2 shown]
	v_mov_b32_e32 v2, s38
	v_add_co_u32_e32 v25, vcc, s37, v0
	v_addc_co_u32_e32 v26, vcc, 0, v2, vcc
	v_mov_b32_e32 v3, 0x200
	v_mov_b32_e32 v4, 0x100
	;; [unrolled: 1-line block ×7, first 2 shown]
	s_waitcnt vmcnt(12)
	v_cmp_neq_f32_e64 s[0:1], v8, v10
	s_waitcnt vmcnt(11)
	v_cmp_neq_f32_e32 vcc, v9, v11
	v_cndmask_b32_e64 v2, v3, v4, s[0:1]
	s_waitcnt vmcnt(9)
	v_cmp_neq_f32_e64 s[8:9], v7, v13
	s_or_b64 s[12:13], s[8:9], s[0:1]
	s_waitcnt vmcnt(8)
	v_cmp_neq_f32_e64 s[2:3], v14, v12
	s_or_b64 vcc, s[12:13], vcc
	v_cndmask_b32_e64 v3, v5, v21, s[2:3]
	v_cndmask_b32_e64 v2, v2, 0, s[8:9]
	s_waitcnt vmcnt(6)
	v_cmp_neq_f32_e64 s[0:1], v1, v6
	s_or_b64 s[2:3], vcc, s[2:3]
	v_cndmask_b32_e32 v1, v3, v2, vcc
	s_waitcnt vmcnt(0)
	v_cmp_neq_f32_e64 s[12:13], v19, v20
	s_or_b64 vcc, s[2:3], s[0:1]
	v_cmp_neq_f32_e64 s[8:9], v15, v17
	v_cndmask_b32_e64 v2, v22, v23, s[12:13]
	s_or_b64 s[0:1], vcc, s[12:13]
	v_cndmask_b32_e32 v1, v2, v1, vcc
	s_or_b64 vcc, s[0:1], s[8:9]
	v_cndmask_b32_e32 v1, v24, v1, vcc
	v_add_co_u32_e64 v2, s[0:1], v25, v1
	v_cmp_neq_f32_e64 s[10:11], v16, v18
	v_addc_co_u32_e64 v3, s[0:1], 0, v26, s[0:1]
	s_or_b64 s[0:1], vcc, s[10:11]
	v_cndmask_b32_e64 v1, 0, 1, s[0:1]
	v_mov_b32_dpp v4, v2 quad_perm:[1,0,3,2] row_mask:0xf bank_mask:0xf bound_ctrl:1
	v_mov_b32_dpp v5, v3 quad_perm:[1,0,3,2] row_mask:0xf bank_mask:0xf bound_ctrl:1
	;; [unrolled: 1-line block ×3, first 2 shown]
	v_and_b32_e32 v7, 1, v6
	v_cmp_eq_u32_e32 vcc, 1, v7
	s_and_saveexec_b64 s[2:3], vcc
; %bb.5:
	v_cmp_lt_i64_e32 vcc, v[2:3], v[4:5]
	v_cndmask_b32_e64 v6, v6, 1, s[0:1]
	s_and_b64 vcc, s[0:1], vcc
	v_cndmask_b32_e32 v2, v4, v2, vcc
	v_and_b32_e32 v4, 1, v6
	v_cndmask_b32_e32 v3, v5, v3, vcc
	v_cmp_eq_u32_e32 vcc, 1, v4
	s_andn2_b64 s[0:1], s[0:1], exec
	s_and_b64 s[8:9], vcc, exec
	v_and_b32_e32 v1, 0xff, v6
	s_or_b64 s[0:1], s[0:1], s[8:9]
; %bb.6:
	s_or_b64 exec, exec, s[2:3]
	v_mov_b32_dpp v6, v1 quad_perm:[2,3,0,1] row_mask:0xf bank_mask:0xf bound_ctrl:1
	v_and_b32_e32 v7, 1, v6
	v_mov_b32_dpp v4, v2 quad_perm:[2,3,0,1] row_mask:0xf bank_mask:0xf bound_ctrl:1
	v_mov_b32_dpp v5, v3 quad_perm:[2,3,0,1] row_mask:0xf bank_mask:0xf bound_ctrl:1
	v_cmp_eq_u32_e32 vcc, 1, v7
	s_and_saveexec_b64 s[2:3], vcc
; %bb.7:
	v_cmp_lt_i64_e32 vcc, v[2:3], v[4:5]
	v_cndmask_b32_e64 v6, v6, 1, s[0:1]
	s_and_b64 vcc, s[0:1], vcc
	v_cndmask_b32_e32 v2, v4, v2, vcc
	v_and_b32_e32 v4, 1, v6
	v_cndmask_b32_e32 v3, v5, v3, vcc
	v_cmp_eq_u32_e32 vcc, 1, v4
	s_andn2_b64 s[0:1], s[0:1], exec
	s_and_b64 s[8:9], vcc, exec
	v_and_b32_e32 v1, 0xff, v6
	s_or_b64 s[0:1], s[0:1], s[8:9]
; %bb.8:
	s_or_b64 exec, exec, s[2:3]
	v_mov_b32_dpp v6, v1 row_ror:4 row_mask:0xf bank_mask:0xf bound_ctrl:1
	v_and_b32_e32 v7, 1, v6
	v_mov_b32_dpp v4, v2 row_ror:4 row_mask:0xf bank_mask:0xf bound_ctrl:1
	v_mov_b32_dpp v5, v3 row_ror:4 row_mask:0xf bank_mask:0xf bound_ctrl:1
	v_cmp_eq_u32_e32 vcc, 1, v7
	s_and_saveexec_b64 s[2:3], vcc
; %bb.9:
	v_cmp_lt_i64_e32 vcc, v[2:3], v[4:5]
	v_cndmask_b32_e64 v6, v6, 1, s[0:1]
	s_and_b64 vcc, s[0:1], vcc
	v_cndmask_b32_e32 v2, v4, v2, vcc
	v_and_b32_e32 v4, 1, v6
	v_cndmask_b32_e32 v3, v5, v3, vcc
	v_cmp_eq_u32_e32 vcc, 1, v4
	s_andn2_b64 s[0:1], s[0:1], exec
	s_and_b64 s[8:9], vcc, exec
	v_and_b32_e32 v1, 0xff, v6
	s_or_b64 s[0:1], s[0:1], s[8:9]
; %bb.10:
	s_or_b64 exec, exec, s[2:3]
	v_mov_b32_dpp v6, v1 row_ror:8 row_mask:0xf bank_mask:0xf bound_ctrl:1
	v_and_b32_e32 v7, 1, v6
	v_mov_b32_dpp v4, v2 row_ror:8 row_mask:0xf bank_mask:0xf bound_ctrl:1
	v_mov_b32_dpp v5, v3 row_ror:8 row_mask:0xf bank_mask:0xf bound_ctrl:1
	v_cmp_eq_u32_e32 vcc, 1, v7
	s_and_saveexec_b64 s[2:3], vcc
; %bb.11:
	v_cmp_lt_i64_e32 vcc, v[2:3], v[4:5]
	v_cndmask_b32_e64 v6, v6, 1, s[0:1]
	s_and_b64 vcc, s[0:1], vcc
	v_cndmask_b32_e32 v2, v4, v2, vcc
	v_and_b32_e32 v4, 1, v6
	v_cndmask_b32_e32 v3, v5, v3, vcc
	v_cmp_eq_u32_e32 vcc, 1, v4
	s_andn2_b64 s[0:1], s[0:1], exec
	s_and_b64 s[8:9], vcc, exec
	v_and_b32_e32 v1, 0xff, v6
	s_or_b64 s[0:1], s[0:1], s[8:9]
; %bb.12:
	s_or_b64 exec, exec, s[2:3]
	v_mov_b32_dpp v6, v1 row_bcast:15 row_mask:0xf bank_mask:0xf bound_ctrl:1
	v_and_b32_e32 v7, 1, v6
	v_mov_b32_dpp v4, v2 row_bcast:15 row_mask:0xf bank_mask:0xf bound_ctrl:1
	v_mov_b32_dpp v5, v3 row_bcast:15 row_mask:0xf bank_mask:0xf bound_ctrl:1
	v_cmp_eq_u32_e32 vcc, 1, v7
	s_and_saveexec_b64 s[2:3], vcc
; %bb.13:
	v_cmp_lt_i64_e32 vcc, v[2:3], v[4:5]
	v_cndmask_b32_e64 v6, v6, 1, s[0:1]
	s_and_b64 vcc, s[0:1], vcc
	v_cndmask_b32_e32 v2, v4, v2, vcc
	v_and_b32_e32 v4, 1, v6
	v_cndmask_b32_e32 v3, v5, v3, vcc
	v_cmp_eq_u32_e32 vcc, 1, v4
	s_andn2_b64 s[0:1], s[0:1], exec
	s_and_b64 s[8:9], vcc, exec
	v_and_b32_e32 v1, 0xff, v6
	s_or_b64 s[0:1], s[0:1], s[8:9]
; %bb.14:
	s_or_b64 exec, exec, s[2:3]
	v_mov_b32_dpp v6, v1 row_bcast:31 row_mask:0xf bank_mask:0xf bound_ctrl:1
	v_and_b32_e32 v7, 1, v6
	v_mov_b32_dpp v4, v2 row_bcast:31 row_mask:0xf bank_mask:0xf bound_ctrl:1
	v_mov_b32_dpp v5, v3 row_bcast:31 row_mask:0xf bank_mask:0xf bound_ctrl:1
	v_cmp_eq_u32_e32 vcc, 1, v7
	s_and_saveexec_b64 s[2:3], vcc
; %bb.15:
	v_cmp_lt_i64_e32 vcc, v[2:3], v[4:5]
	v_and_b32_e32 v1, 0xff, v6
	s_and_b64 vcc, s[0:1], vcc
	v_cndmask_b32_e32 v2, v4, v2, vcc
	v_cndmask_b32_e32 v3, v5, v3, vcc
	v_cndmask_b32_e64 v1, v1, 1, s[0:1]
; %bb.16:
	s_or_b64 exec, exec, s[2:3]
	v_mbcnt_lo_u32_b32 v4, -1, 0
	v_mbcnt_hi_u32_b32 v4, -1, v4
	v_bfrev_b32_e32 v5, 0.5
	v_lshl_or_b32 v5, v4, 2, v5
	ds_bpermute_b32 v7, v5, v1
	ds_bpermute_b32 v2, v5, v2
	;; [unrolled: 1-line block ×3, first 2 shown]
	v_cmp_eq_u32_e32 vcc, 0, v4
	s_and_saveexec_b64 s[0:1], vcc
	s_cbranch_execz .LBB88_18
; %bb.17:
	v_lshrrev_b32_e32 v1, 2, v0
	v_and_b32_e32 v1, 48, v1
	s_waitcnt lgkmcnt(2)
	ds_write_b8 v1, v7 offset:192
	s_waitcnt lgkmcnt(1)
	ds_write_b64 v1, v[2:3] offset:200
.LBB88_18:
	s_or_b64 exec, exec, s[0:1]
	v_cmp_gt_u32_e32 vcc, 64, v0
	s_waitcnt lgkmcnt(0)
	s_barrier
	s_and_saveexec_b64 s[2:3], vcc
	s_cbranch_execz .LBB88_20
; %bb.19:
	v_and_b32_e32 v1, 3, v4
	v_lshlrev_b32_e32 v2, 4, v1
	ds_read_u8 v5, v2 offset:192
	ds_read_b64 v[2:3], v2 offset:200
	v_cmp_ne_u32_e32 vcc, 3, v1
	v_addc_co_u32_e32 v6, vcc, 0, v4, vcc
	s_waitcnt lgkmcnt(1)
	v_and_b32_e32 v7, 0xff, v5
	v_lshlrev_b32_e32 v8, 2, v6
	ds_bpermute_b32 v9, v8, v7
	s_waitcnt lgkmcnt(1)
	ds_bpermute_b32 v6, v8, v2
	ds_bpermute_b32 v7, v8, v3
	v_and_b32_e32 v8, 1, v5
	s_waitcnt lgkmcnt(2)
	v_and_b32_e32 v10, 1, v9
	v_cmp_eq_u32_e64 s[0:1], 1, v10
	s_waitcnt lgkmcnt(0)
	v_cmp_lt_i64_e32 vcc, v[6:7], v[2:3]
	s_and_b64 vcc, s[0:1], vcc
	v_cndmask_b32_e64 v5, v5, 1, s[0:1]
	v_cndmask_b32_e32 v2, v2, v6, vcc
	v_cndmask_b32_e32 v3, v3, v7, vcc
	v_cmp_eq_u32_e32 vcc, 1, v8
	v_cndmask_b32_e32 v8, v9, v5, vcc
	v_cndmask_b32_e32 v3, v7, v3, vcc
	;; [unrolled: 1-line block ×3, first 2 shown]
	v_cmp_gt_u32_e32 vcc, 2, v1
	v_cndmask_b32_e64 v1, 0, 1, vcc
	v_lshlrev_b32_e32 v1, 1, v1
	v_and_b32_e32 v5, 0xff, v8
	v_add_lshl_u32 v1, v1, v4, 2
	ds_bpermute_b32 v6, v1, v5
	ds_bpermute_b32 v4, v1, v2
	;; [unrolled: 1-line block ×3, first 2 shown]
	v_and_b32_e32 v1, 1, v8
	s_waitcnt lgkmcnt(2)
	v_and_b32_e32 v7, 1, v6
	v_cmp_eq_u32_e64 s[0:1], 1, v7
	s_waitcnt lgkmcnt(0)
	v_cmp_lt_i64_e32 vcc, v[4:5], v[2:3]
	s_and_b64 vcc, s[0:1], vcc
	v_cndmask_b32_e64 v7, v8, 1, s[0:1]
	v_cndmask_b32_e32 v2, v2, v4, vcc
	v_cndmask_b32_e32 v3, v3, v5, vcc
	v_cmp_eq_u32_e32 vcc, 1, v1
	v_cndmask_b32_e32 v1, v6, v7, vcc
	v_cndmask_b32_e32 v3, v5, v3, vcc
	;; [unrolled: 1-line block ×3, first 2 shown]
	v_and_b32_e32 v7, 0xff, v1
.LBB88_20:
	s_or_b64 exec, exec, s[2:3]
	s_branch .LBB88_89
.LBB88_21:
	s_mov_b64 s[10:11], 0
                                        ; implicit-def: $vgpr4_vgpr5
                                        ; implicit-def: $vgpr1
	s_cbranch_execnz .LBB88_133
	s_branch .LBB88_208
.LBB88_22:
	s_mov_b64 s[28:29], -1
.LBB88_23:
	s_mov_b64 s[10:11], 0
                                        ; implicit-def: $vgpr4_vgpr5
                                        ; implicit-def: $vgpr1
	s_and_b64 vcc, exec, s[28:29]
	s_cbranch_vccz .LBB88_94
.LBB88_24:
	s_cmp_eq_u32 s36, 4
	s_cbranch_scc0 .LBB88_43
; %bb.25:
	s_mov_b32 s7, 0
	s_lshl_b32 s16, s6, 10
	s_mov_b32 s17, s7
	s_lshr_b64 s[0:1], s[22:23], 10
	s_lshl_b64 s[2:3], s[16:17], 2
	s_add_u32 s12, s24, s2
	s_addc_u32 s13, s25, s3
	s_add_u32 s14, s26, s2
	s_addc_u32 s15, s27, s3
	;; [unrolled: 2-line block ×3, first 2 shown]
	s_cmp_lg_u64 s[0:1], s[6:7]
	s_cbranch_scc0 .LBB88_95
; %bb.26:
	v_lshlrev_b32_e32 v1, 2, v0
	global_load_dword v2, v1, s[12:13] offset:2048
	global_load_dword v3, v1, s[14:15] offset:1024
	s_waitcnt lgkmcnt(1)
	global_load_dword v4, v1, s[14:15] offset:2048
	s_waitcnt lgkmcnt(0)
	global_load_dword v5, v1, s[14:15] offset:3072
	global_load_dword v6, v1, s[12:13] offset:3072
	;; [unrolled: 1-line block ×3, first 2 shown]
	global_load_dword v8, v1, s[14:15]
	global_load_dword v9, v1, s[12:13]
	v_mov_b32_e32 v1, s29
	v_add_co_u32_e32 v13, vcc, s28, v0
	v_mov_b32_e32 v10, 0x200
	v_mov_b32_e32 v11, 0x100
	v_addc_co_u32_e32 v1, vcc, 0, v1, vcc
	v_mov_b32_e32 v12, 0x300
	s_waitcnt vmcnt(5)
	v_cmp_neq_f32_e32 vcc, v2, v4
	s_waitcnt vmcnt(3)
	v_cmp_neq_f32_e64 s[0:1], v6, v5
	s_waitcnt vmcnt(2)
	v_cmp_neq_f32_e64 s[2:3], v7, v3
	v_cndmask_b32_e64 v2, v10, v11, s[2:3]
	s_waitcnt vmcnt(0)
	v_cmp_neq_f32_e64 s[8:9], v9, v8
	s_or_b64 s[2:3], s[8:9], s[2:3]
	v_cndmask_b32_e64 v2, v2, 0, s[8:9]
	s_or_b64 vcc, s[2:3], vcc
	v_cndmask_b32_e32 v2, v12, v2, vcc
	v_add_co_u32_e64 v2, s[2:3], v13, v2
	s_or_b64 s[0:1], vcc, s[0:1]
	v_addc_co_u32_e64 v3, s[2:3], 0, v1, s[2:3]
	v_cndmask_b32_e64 v1, 0, 1, s[0:1]
	v_mov_b32_dpp v4, v2 quad_perm:[1,0,3,2] row_mask:0xf bank_mask:0xf bound_ctrl:1
	v_mov_b32_dpp v5, v3 quad_perm:[1,0,3,2] row_mask:0xf bank_mask:0xf bound_ctrl:1
	;; [unrolled: 1-line block ×3, first 2 shown]
	v_and_b32_e32 v7, 1, v6
	v_cmp_eq_u32_e32 vcc, 1, v7
	s_and_saveexec_b64 s[2:3], vcc
; %bb.27:
	v_cmp_lt_i64_e32 vcc, v[2:3], v[4:5]
	v_cndmask_b32_e64 v6, v6, 1, s[0:1]
	s_and_b64 vcc, s[0:1], vcc
	v_cndmask_b32_e32 v2, v4, v2, vcc
	v_and_b32_e32 v4, 1, v6
	v_cndmask_b32_e32 v3, v5, v3, vcc
	v_cmp_eq_u32_e32 vcc, 1, v4
	s_andn2_b64 s[0:1], s[0:1], exec
	s_and_b64 s[8:9], vcc, exec
	v_and_b32_e32 v1, 0xff, v6
	s_or_b64 s[0:1], s[0:1], s[8:9]
; %bb.28:
	s_or_b64 exec, exec, s[2:3]
	v_mov_b32_dpp v6, v1 quad_perm:[2,3,0,1] row_mask:0xf bank_mask:0xf bound_ctrl:1
	v_and_b32_e32 v7, 1, v6
	v_mov_b32_dpp v4, v2 quad_perm:[2,3,0,1] row_mask:0xf bank_mask:0xf bound_ctrl:1
	v_mov_b32_dpp v5, v3 quad_perm:[2,3,0,1] row_mask:0xf bank_mask:0xf bound_ctrl:1
	v_cmp_eq_u32_e32 vcc, 1, v7
	s_and_saveexec_b64 s[2:3], vcc
; %bb.29:
	v_cmp_lt_i64_e32 vcc, v[2:3], v[4:5]
	v_cndmask_b32_e64 v6, v6, 1, s[0:1]
	s_and_b64 vcc, s[0:1], vcc
	v_cndmask_b32_e32 v2, v4, v2, vcc
	v_and_b32_e32 v4, 1, v6
	v_cndmask_b32_e32 v3, v5, v3, vcc
	v_cmp_eq_u32_e32 vcc, 1, v4
	s_andn2_b64 s[0:1], s[0:1], exec
	s_and_b64 s[8:9], vcc, exec
	v_and_b32_e32 v1, 0xff, v6
	s_or_b64 s[0:1], s[0:1], s[8:9]
; %bb.30:
	s_or_b64 exec, exec, s[2:3]
	v_mov_b32_dpp v6, v1 row_ror:4 row_mask:0xf bank_mask:0xf bound_ctrl:1
	v_and_b32_e32 v7, 1, v6
	v_mov_b32_dpp v4, v2 row_ror:4 row_mask:0xf bank_mask:0xf bound_ctrl:1
	v_mov_b32_dpp v5, v3 row_ror:4 row_mask:0xf bank_mask:0xf bound_ctrl:1
	v_cmp_eq_u32_e32 vcc, 1, v7
	s_and_saveexec_b64 s[2:3], vcc
; %bb.31:
	v_cmp_lt_i64_e32 vcc, v[2:3], v[4:5]
	v_cndmask_b32_e64 v6, v6, 1, s[0:1]
	s_and_b64 vcc, s[0:1], vcc
	v_cndmask_b32_e32 v2, v4, v2, vcc
	v_and_b32_e32 v4, 1, v6
	v_cndmask_b32_e32 v3, v5, v3, vcc
	v_cmp_eq_u32_e32 vcc, 1, v4
	s_andn2_b64 s[0:1], s[0:1], exec
	s_and_b64 s[8:9], vcc, exec
	v_and_b32_e32 v1, 0xff, v6
	s_or_b64 s[0:1], s[0:1], s[8:9]
; %bb.32:
	s_or_b64 exec, exec, s[2:3]
	v_mov_b32_dpp v6, v1 row_ror:8 row_mask:0xf bank_mask:0xf bound_ctrl:1
	v_and_b32_e32 v7, 1, v6
	v_mov_b32_dpp v4, v2 row_ror:8 row_mask:0xf bank_mask:0xf bound_ctrl:1
	v_mov_b32_dpp v5, v3 row_ror:8 row_mask:0xf bank_mask:0xf bound_ctrl:1
	v_cmp_eq_u32_e32 vcc, 1, v7
	s_and_saveexec_b64 s[2:3], vcc
; %bb.33:
	v_cmp_lt_i64_e32 vcc, v[2:3], v[4:5]
	v_cndmask_b32_e64 v6, v6, 1, s[0:1]
	s_and_b64 vcc, s[0:1], vcc
	v_cndmask_b32_e32 v2, v4, v2, vcc
	v_and_b32_e32 v4, 1, v6
	v_cndmask_b32_e32 v3, v5, v3, vcc
	v_cmp_eq_u32_e32 vcc, 1, v4
	s_andn2_b64 s[0:1], s[0:1], exec
	s_and_b64 s[8:9], vcc, exec
	v_and_b32_e32 v1, 0xff, v6
	s_or_b64 s[0:1], s[0:1], s[8:9]
; %bb.34:
	s_or_b64 exec, exec, s[2:3]
	v_mov_b32_dpp v6, v1 row_bcast:15 row_mask:0xf bank_mask:0xf bound_ctrl:1
	v_and_b32_e32 v7, 1, v6
	v_mov_b32_dpp v4, v2 row_bcast:15 row_mask:0xf bank_mask:0xf bound_ctrl:1
	v_mov_b32_dpp v5, v3 row_bcast:15 row_mask:0xf bank_mask:0xf bound_ctrl:1
	v_cmp_eq_u32_e32 vcc, 1, v7
	s_and_saveexec_b64 s[2:3], vcc
; %bb.35:
	v_cmp_lt_i64_e32 vcc, v[2:3], v[4:5]
	v_cndmask_b32_e64 v6, v6, 1, s[0:1]
	s_and_b64 vcc, s[0:1], vcc
	v_cndmask_b32_e32 v2, v4, v2, vcc
	v_and_b32_e32 v4, 1, v6
	v_cndmask_b32_e32 v3, v5, v3, vcc
	v_cmp_eq_u32_e32 vcc, 1, v4
	s_andn2_b64 s[0:1], s[0:1], exec
	s_and_b64 s[8:9], vcc, exec
	v_and_b32_e32 v1, 0xff, v6
	s_or_b64 s[0:1], s[0:1], s[8:9]
; %bb.36:
	s_or_b64 exec, exec, s[2:3]
	v_mov_b32_dpp v6, v1 row_bcast:31 row_mask:0xf bank_mask:0xf bound_ctrl:1
	v_and_b32_e32 v7, 1, v6
	v_mov_b32_dpp v4, v2 row_bcast:31 row_mask:0xf bank_mask:0xf bound_ctrl:1
	v_mov_b32_dpp v5, v3 row_bcast:31 row_mask:0xf bank_mask:0xf bound_ctrl:1
	v_cmp_eq_u32_e32 vcc, 1, v7
	s_and_saveexec_b64 s[2:3], vcc
; %bb.37:
	v_cmp_lt_i64_e32 vcc, v[2:3], v[4:5]
	v_and_b32_e32 v1, 0xff, v6
	s_and_b64 vcc, s[0:1], vcc
	v_cndmask_b32_e32 v2, v4, v2, vcc
	v_cndmask_b32_e32 v3, v5, v3, vcc
	v_cndmask_b32_e64 v1, v1, 1, s[0:1]
; %bb.38:
	s_or_b64 exec, exec, s[2:3]
	v_mbcnt_lo_u32_b32 v4, -1, 0
	v_mbcnt_hi_u32_b32 v4, -1, v4
	v_bfrev_b32_e32 v5, 0.5
	v_lshl_or_b32 v5, v4, 2, v5
	ds_bpermute_b32 v6, v5, v1
	ds_bpermute_b32 v2, v5, v2
	;; [unrolled: 1-line block ×3, first 2 shown]
	v_cmp_eq_u32_e32 vcc, 0, v4
	s_and_saveexec_b64 s[0:1], vcc
	s_cbranch_execz .LBB88_40
; %bb.39:
	v_lshrrev_b32_e32 v1, 2, v0
	v_and_b32_e32 v1, 48, v1
	s_waitcnt lgkmcnt(2)
	ds_write_b8 v1, v6 offset:128
	s_waitcnt lgkmcnt(1)
	ds_write_b64 v1, v[2:3] offset:136
.LBB88_40:
	s_or_b64 exec, exec, s[0:1]
	v_cmp_gt_u32_e32 vcc, 64, v0
	s_waitcnt lgkmcnt(0)
	s_barrier
	s_and_saveexec_b64 s[2:3], vcc
	s_cbranch_execz .LBB88_42
; %bb.41:
	v_and_b32_e32 v1, 3, v4
	v_lshlrev_b32_e32 v2, 4, v1
	ds_read_u8 v5, v2 offset:128
	ds_read_b64 v[2:3], v2 offset:136
	v_cmp_ne_u32_e32 vcc, 3, v1
	v_addc_co_u32_e32 v6, vcc, 0, v4, vcc
	s_waitcnt lgkmcnt(1)
	v_and_b32_e32 v7, 0xff, v5
	v_lshlrev_b32_e32 v8, 2, v6
	ds_bpermute_b32 v9, v8, v7
	s_waitcnt lgkmcnt(1)
	ds_bpermute_b32 v6, v8, v2
	ds_bpermute_b32 v7, v8, v3
	v_and_b32_e32 v8, 1, v5
	s_waitcnt lgkmcnt(2)
	v_and_b32_e32 v10, 1, v9
	v_cmp_eq_u32_e64 s[0:1], 1, v10
	s_waitcnt lgkmcnt(0)
	v_cmp_lt_i64_e32 vcc, v[6:7], v[2:3]
	s_and_b64 vcc, s[0:1], vcc
	v_cndmask_b32_e64 v5, v5, 1, s[0:1]
	v_cndmask_b32_e32 v2, v2, v6, vcc
	v_cndmask_b32_e32 v3, v3, v7, vcc
	v_cmp_eq_u32_e32 vcc, 1, v8
	v_cndmask_b32_e32 v8, v9, v5, vcc
	v_cndmask_b32_e32 v3, v7, v3, vcc
	;; [unrolled: 1-line block ×3, first 2 shown]
	v_cmp_gt_u32_e32 vcc, 2, v1
	v_cndmask_b32_e64 v1, 0, 1, vcc
	v_lshlrev_b32_e32 v1, 1, v1
	v_and_b32_e32 v5, 0xff, v8
	v_add_lshl_u32 v1, v1, v4, 2
	ds_bpermute_b32 v6, v1, v5
	ds_bpermute_b32 v4, v1, v2
	;; [unrolled: 1-line block ×3, first 2 shown]
	v_and_b32_e32 v1, 1, v8
	s_waitcnt lgkmcnt(2)
	v_and_b32_e32 v7, 1, v6
	v_cmp_eq_u32_e64 s[0:1], 1, v7
	s_waitcnt lgkmcnt(0)
	v_cmp_lt_i64_e32 vcc, v[4:5], v[2:3]
	s_and_b64 vcc, s[0:1], vcc
	v_cndmask_b32_e64 v7, v8, 1, s[0:1]
	v_cndmask_b32_e32 v2, v2, v4, vcc
	v_cndmask_b32_e32 v3, v3, v5, vcc
	v_cmp_eq_u32_e32 vcc, 1, v1
	v_cndmask_b32_e32 v1, v6, v7, vcc
	v_cndmask_b32_e32 v3, v5, v3, vcc
	v_cndmask_b32_e32 v2, v4, v2, vcc
	v_and_b32_e32 v6, 0xff, v1
.LBB88_42:
	s_or_b64 exec, exec, s[2:3]
	s_branch .LBB88_128
.LBB88_43:
                                        ; implicit-def: $vgpr4_vgpr5
                                        ; implicit-def: $vgpr1
	s_branch .LBB88_208
.LBB88_44:
                                        ; implicit-def: $vgpr2_vgpr3
                                        ; implicit-def: $vgpr7
	s_cbranch_execz .LBB88_89
; %bb.45:
	s_sub_i32 s39, s22, s14
	v_pk_mov_b32 v[4:5], 0, 0
	v_cmp_gt_u32_e32 vcc, s39, v0
	v_mov_b32_e32 v18, 0
	v_pk_mov_b32 v[2:3], v[4:5], v[4:5] op_sel:[0,1]
	v_mov_b32_e32 v1, 0
	s_and_saveexec_b64 s[0:1], vcc
	s_cbranch_execz .LBB88_47
; %bb.46:
	v_lshlrev_b32_e32 v1, 2, v0
	global_load_dword v6, v1, s[16:17]
	global_load_dword v7, v1, s[30:31]
	v_mov_b32_e32 v1, s38
	v_add_co_u32_e32 v2, vcc, s37, v0
	v_addc_co_u32_e32 v3, vcc, 0, v1, vcc
	s_waitcnt vmcnt(0)
	v_cmp_neq_f32_e32 vcc, v6, v7
	v_cndmask_b32_e64 v1, 0, 1, vcc
.LBB88_47:
	s_or_b64 exec, exec, s[0:1]
	v_or_b32_e32 v6, 0x100, v0
	v_cmp_gt_u32_e64 s[8:9], s39, v6
	s_and_saveexec_b64 s[0:1], s[8:9]
	s_cbranch_execz .LBB88_49
; %bb.48:
	v_lshlrev_b32_e32 v4, 2, v0
	global_load_dword v7, v4, s[16:17] offset:1024
	global_load_dword v8, v4, s[30:31] offset:1024
	v_mov_b32_e32 v5, s38
	v_add_co_u32_e32 v4, vcc, s37, v6
	v_addc_co_u32_e32 v5, vcc, 0, v5, vcc
	s_waitcnt vmcnt(0)
	v_cmp_neq_f32_e32 vcc, v7, v8
	v_cndmask_b32_e64 v18, 0, 1, vcc
.LBB88_49:
	s_or_b64 exec, exec, s[0:1]
	v_or_b32_e32 v8, 0x200, v0
	v_pk_mov_b32 v[6:7], 0, 0
	v_cmp_gt_u32_e32 vcc, s39, v8
	v_mov_b32_e32 v19, 0
	v_pk_mov_b32 v[12:13], v[6:7], v[6:7] op_sel:[0,1]
	v_mov_b32_e32 v23, 0
	s_and_saveexec_b64 s[2:3], vcc
	s_cbranch_execz .LBB88_51
; %bb.50:
	v_lshlrev_b32_e32 v9, 2, v0
	global_load_dword v10, v9, s[16:17] offset:2048
	global_load_dword v11, v9, s[30:31] offset:2048
	v_mov_b32_e32 v9, s38
	v_add_co_u32_e64 v12, s[0:1], s37, v8
	v_addc_co_u32_e64 v13, s[0:1], 0, v9, s[0:1]
	s_waitcnt vmcnt(0)
	v_cmp_neq_f32_e64 s[0:1], v10, v11
	v_cndmask_b32_e64 v23, 0, 1, s[0:1]
.LBB88_51:
	s_or_b64 exec, exec, s[2:3]
	v_or_b32_e32 v8, 0x300, v0
	v_cmp_gt_u32_e64 s[10:11], s39, v8
	s_and_saveexec_b64 s[2:3], s[10:11]
	s_cbranch_execz .LBB88_53
; %bb.52:
	v_lshlrev_b32_e32 v6, 2, v0
	global_load_dword v9, v6, s[16:17] offset:3072
	global_load_dword v10, v6, s[30:31] offset:3072
	v_mov_b32_e32 v7, s38
	v_add_co_u32_e64 v6, s[0:1], s37, v8
	v_addc_co_u32_e64 v7, s[0:1], 0, v7, s[0:1]
	s_waitcnt vmcnt(0)
	v_cmp_neq_f32_e64 s[0:1], v9, v10
	v_cndmask_b32_e64 v19, 0, 1, s[0:1]
.LBB88_53:
	s_or_b64 exec, exec, s[2:3]
	v_or_b32_e32 v10, 0x400, v0
	v_pk_mov_b32 v[8:9], 0, 0
	v_cmp_gt_u32_e64 s[0:1], s39, v10
	v_mov_b32_e32 v20, 0
	v_pk_mov_b32 v[14:15], v[8:9], v[8:9] op_sel:[0,1]
	v_mov_b32_e32 v24, 0
	s_and_saveexec_b64 s[12:13], s[0:1]
	s_cbranch_execz .LBB88_55
; %bb.54:
	v_lshlrev_b32_e32 v11, 2, v10
	global_load_dword v16, v11, s[16:17]
	global_load_dword v17, v11, s[30:31]
	v_mov_b32_e32 v11, s38
	v_add_co_u32_e64 v14, s[2:3], s37, v10
	v_addc_co_u32_e64 v15, s[2:3], 0, v11, s[2:3]
	s_waitcnt vmcnt(0)
	v_cmp_neq_f32_e64 s[2:3], v16, v17
	v_cndmask_b32_e64 v24, 0, 1, s[2:3]
.LBB88_55:
	s_or_b64 exec, exec, s[12:13]
	v_or_b32_e32 v10, 0x500, v0
	v_cmp_gt_u32_e64 s[12:13], s39, v10
	s_and_saveexec_b64 s[14:15], s[12:13]
	s_cbranch_execz .LBB88_57
; %bb.56:
	v_lshlrev_b32_e32 v8, 2, v10
	global_load_dword v11, v8, s[16:17]
	global_load_dword v16, v8, s[30:31]
	v_mov_b32_e32 v9, s38
	v_add_co_u32_e64 v8, s[2:3], s37, v10
	v_addc_co_u32_e64 v9, s[2:3], 0, v9, s[2:3]
	s_waitcnt vmcnt(0)
	v_cmp_neq_f32_e64 s[2:3], v11, v16
	v_cndmask_b32_e64 v20, 0, 1, s[2:3]
.LBB88_57:
	s_or_b64 exec, exec, s[14:15]
	v_or_b32_e32 v25, 0x600, v0
	v_pk_mov_b32 v[10:11], 0, 0
	v_cmp_gt_u32_e64 s[2:3], s39, v25
	v_mov_b32_e32 v21, 0
	v_mov_b32_e32 v22, 0
	v_pk_mov_b32 v[16:17], v[10:11], v[10:11] op_sel:[0,1]
	s_and_saveexec_b64 s[34:35], s[2:3]
	s_cbranch_execz .LBB88_59
; %bb.58:
	v_lshlrev_b32_e32 v16, 2, v25
	global_load_dword v22, v16, s[16:17]
	global_load_dword v26, v16, s[30:31]
	v_mov_b32_e32 v17, s38
	v_add_co_u32_e64 v16, s[14:15], s37, v25
	v_addc_co_u32_e64 v17, s[14:15], 0, v17, s[14:15]
	s_waitcnt vmcnt(0)
	v_cmp_neq_f32_e64 s[14:15], v22, v26
	v_cndmask_b32_e64 v22, 0, 1, s[14:15]
.LBB88_59:
	s_or_b64 exec, exec, s[34:35]
	v_or_b32_e32 v25, 0x700, v0
	v_cmp_gt_u32_e64 s[14:15], s39, v25
	s_and_saveexec_b64 s[34:35], s[14:15]
	s_cbranch_execnz .LBB88_240
; %bb.60:
	s_or_b64 exec, exec, s[34:35]
	s_and_saveexec_b64 s[30:31], s[8:9]
	s_cbranch_execnz .LBB88_241
.LBB88_61:
	s_or_b64 exec, exec, s[30:31]
	s_and_saveexec_b64 s[16:17], vcc
	s_cbranch_execnz .LBB88_242
.LBB88_62:
	s_or_b64 exec, exec, s[16:17]
	s_and_saveexec_b64 s[16:17], s[10:11]
	s_cbranch_execnz .LBB88_243
.LBB88_63:
	s_or_b64 exec, exec, s[16:17]
	s_and_saveexec_b64 s[8:9], s[0:1]
	s_cbranch_execnz .LBB88_244
.LBB88_64:
	s_or_b64 exec, exec, s[8:9]
	s_and_saveexec_b64 s[8:9], s[12:13]
	s_cbranch_execnz .LBB88_245
.LBB88_65:
	s_or_b64 exec, exec, s[8:9]
	s_and_saveexec_b64 s[8:9], s[2:3]
	s_cbranch_execnz .LBB88_246
.LBB88_66:
	s_or_b64 exec, exec, s[8:9]
	s_and_saveexec_b64 s[2:3], s[14:15]
	s_cbranch_execz .LBB88_68
.LBB88_67:
	v_and_b32_e32 v5, 1, v21
	v_cmp_lt_i64_e32 vcc, v[10:11], v[2:3]
	v_cmp_eq_u32_e64 s[0:1], 1, v5
	v_and_b32_e32 v4, 1, v1
	s_and_b64 vcc, s[0:1], vcc
	v_cndmask_b32_e64 v1, v1, 1, s[0:1]
	v_cndmask_b32_e32 v2, v2, v10, vcc
	v_cndmask_b32_e32 v3, v3, v11, vcc
	v_cmp_eq_u32_e32 vcc, 1, v4
	v_cndmask_b32_e32 v1, v21, v1, vcc
	v_cndmask_b32_e32 v3, v11, v3, vcc
	;; [unrolled: 1-line block ×3, first 2 shown]
.LBB88_68:
	s_or_b64 exec, exec, s[2:3]
	v_mbcnt_lo_u32_b32 v4, -1, 0
	v_mbcnt_hi_u32_b32 v6, -1, v4
	v_and_b32_e32 v8, 63, v6
	v_cmp_ne_u32_e32 vcc, 63, v8
	v_addc_co_u32_e32 v4, vcc, 0, v6, vcc
	v_and_b32_e32 v7, 0xffff, v1
	v_lshlrev_b32_e32 v5, 2, v4
	ds_bpermute_b32 v11, v5, v7
	ds_bpermute_b32 v4, v5, v2
	;; [unrolled: 1-line block ×3, first 2 shown]
	s_min_u32 s8, s39, 0x100
	v_and_b32_e32 v9, 0xc0, v0
	v_sub_u32_e64 v10, s8, v9 clamp
	v_add_u32_e32 v9, 1, v8
	v_cmp_lt_u32_e32 vcc, v9, v10
	v_mov_b32_e32 v9, v7
	s_and_saveexec_b64 s[0:1], vcc
	s_xor_b64 s[2:3], exec, s[0:1]
	s_cbranch_execz .LBB88_70
; %bb.69:
	s_waitcnt lgkmcnt(2)
	v_and_b32_e32 v9, 1, v11
	s_waitcnt lgkmcnt(0)
	v_cmp_lt_i64_e32 vcc, v[4:5], v[2:3]
	v_cmp_eq_u32_e64 s[0:1], 1, v9
	v_and_b32_e32 v1, 1, v1
	s_and_b64 vcc, s[0:1], vcc
	v_cndmask_b32_e64 v7, v7, 1, s[0:1]
	v_cndmask_b32_e32 v2, v2, v4, vcc
	v_cndmask_b32_e32 v3, v3, v5, vcc
	v_cmp_eq_u32_e32 vcc, 1, v1
	v_cndmask_b32_e32 v9, v11, v7, vcc
	v_cndmask_b32_e32 v3, v5, v3, vcc
	;; [unrolled: 1-line block ×3, first 2 shown]
	v_and_b32_e32 v7, 0xff, v9
.LBB88_70:
	s_or_b64 exec, exec, s[2:3]
	v_cmp_gt_u32_e32 vcc, 62, v8
	v_cndmask_b32_e64 v1, 0, 1, vcc
	v_lshlrev_b32_e32 v1, 1, v1
	s_waitcnt lgkmcnt(0)
	v_add_lshl_u32 v5, v1, v6, 2
	ds_bpermute_b32 v1, v5, v7
	ds_bpermute_b32 v4, v5, v2
	ds_bpermute_b32 v5, v5, v3
	v_add_u32_e32 v11, 2, v8
	v_cmp_lt_u32_e32 vcc, v11, v10
	s_and_saveexec_b64 s[2:3], vcc
	s_cbranch_execz .LBB88_72
; %bb.71:
	s_waitcnt lgkmcnt(2)
	v_and_b32_e32 v11, 1, v1
	s_waitcnt lgkmcnt(0)
	v_cmp_lt_i64_e32 vcc, v[4:5], v[2:3]
	v_cmp_eq_u32_e64 s[0:1], 1, v11
	v_and_b32_e32 v7, 1, v9
	s_and_b64 vcc, s[0:1], vcc
	v_cndmask_b32_e64 v9, v9, 1, s[0:1]
	v_cndmask_b32_e32 v2, v2, v4, vcc
	v_cndmask_b32_e32 v3, v3, v5, vcc
	v_cmp_eq_u32_e32 vcc, 1, v7
	v_cndmask_b32_e32 v9, v1, v9, vcc
	v_cndmask_b32_e32 v3, v5, v3, vcc
	v_cndmask_b32_e32 v2, v4, v2, vcc
	v_and_b32_e32 v7, 0xff, v9
.LBB88_72:
	s_or_b64 exec, exec, s[2:3]
	v_cmp_gt_u32_e32 vcc, 60, v8
	s_waitcnt lgkmcnt(2)
	v_cndmask_b32_e64 v1, 0, 1, vcc
	v_lshlrev_b32_e32 v1, 2, v1
	s_waitcnt lgkmcnt(0)
	v_add_lshl_u32 v5, v1, v6, 2
	ds_bpermute_b32 v1, v5, v7
	ds_bpermute_b32 v4, v5, v2
	ds_bpermute_b32 v5, v5, v3
	v_add_u32_e32 v11, 4, v8
	v_cmp_lt_u32_e32 vcc, v11, v10
	s_and_saveexec_b64 s[2:3], vcc
	s_cbranch_execz .LBB88_74
; %bb.73:
	s_waitcnt lgkmcnt(2)
	v_and_b32_e32 v11, 1, v1
	s_waitcnt lgkmcnt(0)
	v_cmp_lt_i64_e32 vcc, v[4:5], v[2:3]
	v_cmp_eq_u32_e64 s[0:1], 1, v11
	v_and_b32_e32 v7, 1, v9
	s_and_b64 vcc, s[0:1], vcc
	v_cndmask_b32_e64 v9, v9, 1, s[0:1]
	v_cndmask_b32_e32 v2, v2, v4, vcc
	v_cndmask_b32_e32 v3, v3, v5, vcc
	v_cmp_eq_u32_e32 vcc, 1, v7
	v_cndmask_b32_e32 v9, v1, v9, vcc
	v_cndmask_b32_e32 v3, v5, v3, vcc
	v_cndmask_b32_e32 v2, v4, v2, vcc
	v_and_b32_e32 v7, 0xff, v9
.LBB88_74:
	s_or_b64 exec, exec, s[2:3]
	v_cmp_gt_u32_e32 vcc, 56, v8
	s_waitcnt lgkmcnt(2)
	;; [unrolled: 31-line block ×4, first 2 shown]
	v_cndmask_b32_e64 v1, 0, 1, vcc
	v_lshlrev_b32_e32 v1, 5, v1
	s_waitcnt lgkmcnt(0)
	v_add_lshl_u32 v5, v1, v6, 2
	ds_bpermute_b32 v1, v5, v7
	ds_bpermute_b32 v4, v5, v2
	ds_bpermute_b32 v5, v5, v3
	v_add_u32_e32 v8, 32, v8
	v_cmp_lt_u32_e32 vcc, v8, v10
	s_and_saveexec_b64 s[2:3], vcc
	s_cbranch_execz .LBB88_80
; %bb.79:
	s_waitcnt lgkmcnt(2)
	v_and_b32_e32 v8, 1, v1
	s_waitcnt lgkmcnt(0)
	v_cmp_lt_i64_e32 vcc, v[4:5], v[2:3]
	v_cmp_eq_u32_e64 s[0:1], 1, v8
	v_and_b32_e32 v7, 1, v9
	s_and_b64 vcc, s[0:1], vcc
	v_cndmask_b32_e64 v8, v9, 1, s[0:1]
	v_cndmask_b32_e32 v2, v2, v4, vcc
	v_cndmask_b32_e32 v3, v3, v5, vcc
	v_cmp_eq_u32_e32 vcc, 1, v7
	v_cndmask_b32_e32 v9, v1, v8, vcc
	v_cndmask_b32_e32 v3, v5, v3, vcc
	;; [unrolled: 1-line block ×3, first 2 shown]
	v_and_b32_e32 v7, 0xff, v9
.LBB88_80:
	s_or_b64 exec, exec, s[2:3]
	v_cmp_eq_u32_e32 vcc, 0, v6
	s_and_saveexec_b64 s[0:1], vcc
	s_cbranch_execz .LBB88_82
; %bb.81:
	s_waitcnt lgkmcnt(2)
	v_lshrrev_b32_e32 v1, 2, v0
	v_and_b32_e32 v1, 48, v1
	ds_write_b8 v1, v9 offset:256
	ds_write_b64 v1, v[2:3] offset:264
.LBB88_82:
	s_or_b64 exec, exec, s[0:1]
	v_cmp_gt_u32_e32 vcc, 4, v0
	s_waitcnt lgkmcnt(0)
	s_barrier
	s_and_saveexec_b64 s[2:3], vcc
	s_cbranch_execz .LBB88_88
; %bb.83:
	v_lshlrev_b32_e32 v2, 4, v6
	ds_read_u8 v1, v2 offset:256
	ds_read_b64 v[2:3], v2 offset:264
	v_and_b32_e32 v8, 3, v6
	v_cmp_ne_u32_e32 vcc, 3, v8
	v_addc_co_u32_e32 v4, vcc, 0, v6, vcc
	s_waitcnt lgkmcnt(1)
	v_and_b32_e32 v7, 0xff, v1
	v_lshlrev_b32_e32 v5, 2, v4
	ds_bpermute_b32 v9, v5, v7
	s_waitcnt lgkmcnt(1)
	ds_bpermute_b32 v4, v5, v2
	ds_bpermute_b32 v5, v5, v3
	s_add_i32 s8, s8, 63
	s_lshr_b32 s10, s8, 6
	v_add_u32_e32 v10, 1, v8
	v_cmp_gt_u32_e32 vcc, s10, v10
	s_and_saveexec_b64 s[8:9], vcc
	s_cbranch_execz .LBB88_85
; %bb.84:
	s_waitcnt lgkmcnt(2)
	v_and_b32_e32 v10, 1, v9
	s_waitcnt lgkmcnt(0)
	v_cmp_lt_i64_e32 vcc, v[4:5], v[2:3]
	v_cmp_eq_u32_e64 s[0:1], 1, v10
	v_and_b32_e32 v7, 1, v1
	s_and_b64 vcc, s[0:1], vcc
	v_cndmask_b32_e64 v1, v1, 1, s[0:1]
	v_cndmask_b32_e32 v2, v2, v4, vcc
	v_cndmask_b32_e32 v3, v3, v5, vcc
	v_cmp_eq_u32_e32 vcc, 1, v7
	v_cndmask_b32_e32 v1, v9, v1, vcc
	v_cndmask_b32_e32 v3, v5, v3, vcc
	;; [unrolled: 1-line block ×3, first 2 shown]
	v_and_b32_e32 v7, 0xff, v1
.LBB88_85:
	s_or_b64 exec, exec, s[8:9]
	v_cmp_gt_u32_e32 vcc, 2, v8
	s_waitcnt lgkmcnt(1)
	v_cndmask_b32_e64 v4, 0, 1, vcc
	v_lshlrev_b32_e32 v4, 1, v4
	s_waitcnt lgkmcnt(0)
	v_add_lshl_u32 v5, v4, v6, 2
	ds_bpermute_b32 v6, v5, v7
	ds_bpermute_b32 v4, v5, v2
	;; [unrolled: 1-line block ×3, first 2 shown]
	v_add_u32_e32 v8, 2, v8
	v_cmp_gt_u32_e32 vcc, s10, v8
	s_and_saveexec_b64 s[8:9], vcc
	s_cbranch_execz .LBB88_87
; %bb.86:
	s_waitcnt lgkmcnt(2)
	v_and_b32_e32 v8, 1, v6
	s_waitcnt lgkmcnt(0)
	v_cmp_lt_i64_e32 vcc, v[4:5], v[2:3]
	v_cmp_eq_u32_e64 s[0:1], 1, v8
	v_and_b32_e32 v7, 1, v1
	s_and_b64 vcc, s[0:1], vcc
	v_cndmask_b32_e64 v1, v1, 1, s[0:1]
	v_cndmask_b32_e32 v2, v2, v4, vcc
	v_cndmask_b32_e32 v3, v3, v5, vcc
	v_cmp_eq_u32_e32 vcc, 1, v7
	v_cndmask_b32_e32 v1, v6, v1, vcc
	v_cndmask_b32_e32 v3, v5, v3, vcc
	;; [unrolled: 1-line block ×3, first 2 shown]
	v_and_b32_e32 v7, 0xff, v1
.LBB88_87:
	s_or_b64 exec, exec, s[8:9]
.LBB88_88:
	s_or_b64 exec, exec, s[2:3]
.LBB88_89:
	v_cmp_eq_u32_e32 vcc, 0, v0
	s_mov_b64 s[10:11], 0
                                        ; implicit-def: $vgpr4_vgpr5
                                        ; implicit-def: $vgpr1
	s_and_saveexec_b64 s[0:1], vcc
	s_xor_b64 s[8:9], exec, s[0:1]
	s_cbranch_execz .LBB88_93
; %bb.90:
	s_cmp_eq_u64 s[22:23], 0
	s_waitcnt lgkmcnt(0)
	v_pk_mov_b32 v[4:5], s[18:19], s[18:19] op_sel:[0,1]
	v_mov_b32_e32 v1, s33
	s_cbranch_scc1 .LBB88_92
; %bb.91:
	v_and_b32_e32 v1, 1, v7
	s_bitcmp1_b32 s33, 0
	v_mov_b32_e32 v4, s33
	v_cmp_eq_u32_e32 vcc, 1, v1
	v_cmp_gt_i64_e64 s[2:3], s[18:19], v[2:3]
	v_cndmask_b32_e64 v1, v4, 1, vcc
	s_cselect_b64 s[0:1], -1, 0
	v_mov_b32_e32 v4, s18
	s_and_b64 vcc, vcc, s[2:3]
	v_mov_b32_e32 v5, s19
	v_cndmask_b32_e32 v4, v4, v2, vcc
	v_cndmask_b32_e32 v5, v5, v3, vcc
	v_cndmask_b32_e64 v1, v7, v1, s[0:1]
	v_cndmask_b32_e64 v5, v3, v5, s[0:1]
	;; [unrolled: 1-line block ×3, first 2 shown]
.LBB88_92:
	s_mov_b64 s[10:11], exec
.LBB88_93:
	s_or_b64 exec, exec, s[8:9]
	s_and_b64 vcc, exec, s[28:29]
	s_cbranch_vccnz .LBB88_24
.LBB88_94:
	s_branch .LBB88_208
.LBB88_95:
                                        ; implicit-def: $vgpr2_vgpr3
                                        ; implicit-def: $vgpr6
	s_cbranch_execz .LBB88_128
; %bb.96:
	s_sub_i32 s30, s22, s16
	s_waitcnt lgkmcnt(0)
	v_pk_mov_b32 v[4:5], 0, 0
	v_cmp_gt_u32_e32 vcc, s30, v0
	v_mov_b32_e32 v1, 0
	v_pk_mov_b32 v[2:3], v[4:5], v[4:5] op_sel:[0,1]
	v_mov_b32_e32 v10, 0
	s_and_saveexec_b64 s[0:1], vcc
	s_cbranch_execz .LBB88_98
; %bb.97:
	v_lshlrev_b32_e32 v2, 2, v0
	global_load_dword v6, v2, s[12:13]
	global_load_dword v7, v2, s[14:15]
	v_mov_b32_e32 v3, s29
	v_add_co_u32_e32 v2, vcc, s28, v0
	v_addc_co_u32_e32 v3, vcc, 0, v3, vcc
	s_waitcnt vmcnt(0)
	v_cmp_neq_f32_e32 vcc, v6, v7
	v_cndmask_b32_e64 v10, 0, 1, vcc
.LBB88_98:
	s_or_b64 exec, exec, s[0:1]
	v_or_b32_e32 v6, 0x100, v0
	v_cmp_gt_u32_e64 s[0:1], s30, v6
	s_and_saveexec_b64 s[2:3], s[0:1]
	s_cbranch_execz .LBB88_100
; %bb.99:
	v_lshlrev_b32_e32 v1, 2, v0
	global_load_dword v7, v1, s[12:13] offset:1024
	global_load_dword v8, v1, s[14:15] offset:1024
	v_mov_b32_e32 v1, s29
	v_add_co_u32_e32 v4, vcc, s28, v6
	v_addc_co_u32_e32 v5, vcc, 0, v1, vcc
	s_waitcnt vmcnt(0)
	v_cmp_neq_f32_e32 vcc, v7, v8
	v_cndmask_b32_e64 v1, 0, 1, vcc
.LBB88_100:
	s_or_b64 exec, exec, s[2:3]
	v_or_b32_e32 v13, 0x200, v0
	v_pk_mov_b32 v[6:7], 0, 0
	v_cmp_gt_u32_e32 vcc, s30, v13
	v_mov_b32_e32 v11, 0
	v_pk_mov_b32 v[8:9], v[6:7], v[6:7] op_sel:[0,1]
	v_mov_b32_e32 v12, 0
	s_and_saveexec_b64 s[8:9], vcc
	s_cbranch_execz .LBB88_102
; %bb.101:
	v_lshlrev_b32_e32 v8, 2, v0
	global_load_dword v12, v8, s[12:13] offset:2048
	global_load_dword v14, v8, s[14:15] offset:2048
	v_mov_b32_e32 v9, s29
	v_add_co_u32_e64 v8, s[2:3], s28, v13
	v_addc_co_u32_e64 v9, s[2:3], 0, v9, s[2:3]
	s_waitcnt vmcnt(0)
	v_cmp_neq_f32_e64 s[2:3], v12, v14
	v_cndmask_b32_e64 v12, 0, 1, s[2:3]
.LBB88_102:
	s_or_b64 exec, exec, s[8:9]
	v_or_b32_e32 v13, 0x300, v0
	v_cmp_gt_u32_e64 s[2:3], s30, v13
	s_and_saveexec_b64 s[16:17], s[2:3]
	s_cbranch_execnz .LBB88_247
; %bb.103:
	s_or_b64 exec, exec, s[16:17]
	s_and_saveexec_b64 s[12:13], s[0:1]
	s_cbranch_execnz .LBB88_248
.LBB88_104:
	s_or_b64 exec, exec, s[12:13]
	s_and_saveexec_b64 s[8:9], vcc
	s_cbranch_execnz .LBB88_249
.LBB88_105:
	s_or_b64 exec, exec, s[8:9]
	s_and_saveexec_b64 s[8:9], s[2:3]
	s_cbranch_execz .LBB88_107
.LBB88_106:
	v_and_b32_e32 v4, 1, v11
	v_cmp_lt_i64_e32 vcc, v[6:7], v[2:3]
	v_cmp_eq_u32_e64 s[0:1], 1, v4
	v_and_b32_e32 v1, 1, v10
	s_and_b64 vcc, s[0:1], vcc
	v_cndmask_b32_e64 v4, v10, 1, s[0:1]
	v_cndmask_b32_e32 v2, v2, v6, vcc
	v_cndmask_b32_e32 v3, v3, v7, vcc
	v_cmp_eq_u32_e32 vcc, 1, v1
	v_cndmask_b32_e32 v10, v11, v4, vcc
	v_cndmask_b32_e32 v3, v7, v3, vcc
	;; [unrolled: 1-line block ×3, first 2 shown]
.LBB88_107:
	s_or_b64 exec, exec, s[8:9]
	v_mbcnt_lo_u32_b32 v1, -1, 0
	v_mbcnt_hi_u32_b32 v1, -1, v1
	v_and_b32_e32 v7, 63, v1
	v_cmp_ne_u32_e32 vcc, 63, v7
	v_addc_co_u32_e32 v4, vcc, 0, v1, vcc
	v_and_b32_e32 v6, 0xffff, v10
	v_lshlrev_b32_e32 v5, 2, v4
	ds_bpermute_b32 v11, v5, v6
	ds_bpermute_b32 v4, v5, v2
	;; [unrolled: 1-line block ×3, first 2 shown]
	s_min_u32 s8, s30, 0x100
	v_and_b32_e32 v8, 0xc0, v0
	v_sub_u32_e64 v9, s8, v8 clamp
	v_add_u32_e32 v8, 1, v7
	v_cmp_lt_u32_e32 vcc, v8, v9
	v_mov_b32_e32 v8, v6
	s_and_saveexec_b64 s[0:1], vcc
	s_xor_b64 s[2:3], exec, s[0:1]
	s_cbranch_execz .LBB88_109
; %bb.108:
	v_and_b32_e32 v8, 1, v10
	s_waitcnt lgkmcnt(2)
	v_and_b32_e32 v10, 1, v11
	s_waitcnt lgkmcnt(0)
	v_cmp_lt_i64_e32 vcc, v[4:5], v[2:3]
	v_cmp_eq_u32_e64 s[0:1], 1, v10
	s_and_b64 vcc, s[0:1], vcc
	v_cndmask_b32_e64 v6, v6, 1, s[0:1]
	v_cndmask_b32_e32 v2, v2, v4, vcc
	v_cndmask_b32_e32 v3, v3, v5, vcc
	v_cmp_eq_u32_e32 vcc, 1, v8
	v_cndmask_b32_e32 v8, v11, v6, vcc
	v_cndmask_b32_e32 v3, v5, v3, vcc
	;; [unrolled: 1-line block ×3, first 2 shown]
	v_and_b32_e32 v6, 0xff, v8
.LBB88_109:
	s_or_b64 exec, exec, s[2:3]
	v_cmp_gt_u32_e32 vcc, 62, v7
	s_waitcnt lgkmcnt(1)
	v_cndmask_b32_e64 v4, 0, 1, vcc
	v_lshlrev_b32_e32 v4, 1, v4
	s_waitcnt lgkmcnt(0)
	v_add_lshl_u32 v5, v4, v1, 2
	ds_bpermute_b32 v10, v5, v6
	ds_bpermute_b32 v4, v5, v2
	ds_bpermute_b32 v5, v5, v3
	v_add_u32_e32 v11, 2, v7
	v_cmp_lt_u32_e32 vcc, v11, v9
	s_and_saveexec_b64 s[2:3], vcc
	s_cbranch_execz .LBB88_111
; %bb.110:
	s_waitcnt lgkmcnt(2)
	v_and_b32_e32 v11, 1, v10
	s_waitcnt lgkmcnt(0)
	v_cmp_lt_i64_e32 vcc, v[4:5], v[2:3]
	v_cmp_eq_u32_e64 s[0:1], 1, v11
	v_and_b32_e32 v6, 1, v8
	s_and_b64 vcc, s[0:1], vcc
	v_cndmask_b32_e64 v8, v8, 1, s[0:1]
	v_cndmask_b32_e32 v2, v2, v4, vcc
	v_cndmask_b32_e32 v3, v3, v5, vcc
	v_cmp_eq_u32_e32 vcc, 1, v6
	v_cndmask_b32_e32 v8, v10, v8, vcc
	v_cndmask_b32_e32 v3, v5, v3, vcc
	v_cndmask_b32_e32 v2, v4, v2, vcc
	v_and_b32_e32 v6, 0xff, v8
.LBB88_111:
	s_or_b64 exec, exec, s[2:3]
	v_cmp_gt_u32_e32 vcc, 60, v7
	s_waitcnt lgkmcnt(1)
	v_cndmask_b32_e64 v4, 0, 1, vcc
	v_lshlrev_b32_e32 v4, 2, v4
	s_waitcnt lgkmcnt(0)
	v_add_lshl_u32 v5, v4, v1, 2
	ds_bpermute_b32 v10, v5, v6
	ds_bpermute_b32 v4, v5, v2
	ds_bpermute_b32 v5, v5, v3
	v_add_u32_e32 v11, 4, v7
	v_cmp_lt_u32_e32 vcc, v11, v9
	s_and_saveexec_b64 s[2:3], vcc
	s_cbranch_execz .LBB88_113
; %bb.112:
	s_waitcnt lgkmcnt(2)
	v_and_b32_e32 v11, 1, v10
	s_waitcnt lgkmcnt(0)
	v_cmp_lt_i64_e32 vcc, v[4:5], v[2:3]
	v_cmp_eq_u32_e64 s[0:1], 1, v11
	v_and_b32_e32 v6, 1, v8
	s_and_b64 vcc, s[0:1], vcc
	v_cndmask_b32_e64 v8, v8, 1, s[0:1]
	v_cndmask_b32_e32 v2, v2, v4, vcc
	v_cndmask_b32_e32 v3, v3, v5, vcc
	v_cmp_eq_u32_e32 vcc, 1, v6
	v_cndmask_b32_e32 v8, v10, v8, vcc
	v_cndmask_b32_e32 v3, v5, v3, vcc
	v_cndmask_b32_e32 v2, v4, v2, vcc
	v_and_b32_e32 v6, 0xff, v8
.LBB88_113:
	;; [unrolled: 31-line block ×5, first 2 shown]
	s_or_b64 exec, exec, s[2:3]
	v_cmp_eq_u32_e32 vcc, 0, v1
	s_and_saveexec_b64 s[0:1], vcc
	s_cbranch_execz .LBB88_121
; %bb.120:
	s_waitcnt lgkmcnt(1)
	v_lshrrev_b32_e32 v4, 2, v0
	v_and_b32_e32 v4, 48, v4
	ds_write_b8 v4, v8 offset:256
	ds_write_b64 v4, v[2:3] offset:264
.LBB88_121:
	s_or_b64 exec, exec, s[0:1]
	v_cmp_gt_u32_e32 vcc, 4, v0
	s_waitcnt lgkmcnt(0)
	s_barrier
	s_and_saveexec_b64 s[2:3], vcc
	s_cbranch_execz .LBB88_127
; %bb.122:
	v_lshlrev_b32_e32 v2, 4, v1
	ds_read_u8 v7, v2 offset:256
	ds_read_b64 v[2:3], v2 offset:264
	v_and_b32_e32 v8, 3, v1
	v_cmp_ne_u32_e32 vcc, 3, v8
	v_addc_co_u32_e32 v4, vcc, 0, v1, vcc
	s_waitcnt lgkmcnt(1)
	v_and_b32_e32 v6, 0xff, v7
	v_lshlrev_b32_e32 v5, 2, v4
	ds_bpermute_b32 v9, v5, v6
	s_waitcnt lgkmcnt(1)
	ds_bpermute_b32 v4, v5, v2
	ds_bpermute_b32 v5, v5, v3
	s_add_i32 s8, s8, 63
	s_lshr_b32 s12, s8, 6
	v_add_u32_e32 v10, 1, v8
	v_cmp_gt_u32_e32 vcc, s12, v10
	s_and_saveexec_b64 s[8:9], vcc
	s_cbranch_execz .LBB88_124
; %bb.123:
	s_waitcnt lgkmcnt(2)
	v_and_b32_e32 v10, 1, v9
	s_waitcnt lgkmcnt(0)
	v_cmp_lt_i64_e32 vcc, v[4:5], v[2:3]
	v_cmp_eq_u32_e64 s[0:1], 1, v10
	v_and_b32_e32 v6, 1, v7
	s_and_b64 vcc, s[0:1], vcc
	v_cndmask_b32_e64 v7, v7, 1, s[0:1]
	v_cndmask_b32_e32 v2, v2, v4, vcc
	v_cndmask_b32_e32 v3, v3, v5, vcc
	v_cmp_eq_u32_e32 vcc, 1, v6
	v_cndmask_b32_e32 v7, v9, v7, vcc
	v_cndmask_b32_e32 v3, v5, v3, vcc
	;; [unrolled: 1-line block ×3, first 2 shown]
	v_and_b32_e32 v6, 0xff, v7
.LBB88_124:
	s_or_b64 exec, exec, s[8:9]
	v_cmp_gt_u32_e32 vcc, 2, v8
	s_waitcnt lgkmcnt(1)
	v_cndmask_b32_e64 v4, 0, 1, vcc
	v_lshlrev_b32_e32 v4, 1, v4
	s_waitcnt lgkmcnt(0)
	v_add_lshl_u32 v5, v4, v1, 2
	ds_bpermute_b32 v1, v5, v6
	ds_bpermute_b32 v4, v5, v2
	ds_bpermute_b32 v5, v5, v3
	v_add_u32_e32 v8, 2, v8
	v_cmp_gt_u32_e32 vcc, s12, v8
	s_and_saveexec_b64 s[8:9], vcc
	s_cbranch_execz .LBB88_126
; %bb.125:
	s_waitcnt lgkmcnt(2)
	v_and_b32_e32 v8, 1, v1
	s_waitcnt lgkmcnt(0)
	v_cmp_lt_i64_e32 vcc, v[4:5], v[2:3]
	v_cmp_eq_u32_e64 s[0:1], 1, v8
	v_and_b32_e32 v6, 1, v7
	s_and_b64 vcc, s[0:1], vcc
	v_cndmask_b32_e64 v7, v7, 1, s[0:1]
	v_cndmask_b32_e32 v2, v2, v4, vcc
	v_cndmask_b32_e32 v3, v3, v5, vcc
	v_cmp_eq_u32_e32 vcc, 1, v6
	v_cndmask_b32_e32 v1, v1, v7, vcc
	v_cndmask_b32_e32 v3, v5, v3, vcc
	;; [unrolled: 1-line block ×3, first 2 shown]
	v_and_b32_e32 v6, 0xff, v1
.LBB88_126:
	s_or_b64 exec, exec, s[8:9]
.LBB88_127:
	s_or_b64 exec, exec, s[2:3]
.LBB88_128:
	v_cmp_eq_u32_e32 vcc, 0, v0
                                        ; implicit-def: $vgpr4_vgpr5
                                        ; implicit-def: $vgpr1
	s_and_saveexec_b64 s[0:1], vcc
	s_xor_b64 s[8:9], exec, s[0:1]
	s_cbranch_execz .LBB88_132
; %bb.129:
	s_cmp_eq_u64 s[22:23], 0
	s_waitcnt lgkmcnt(0)
	v_pk_mov_b32 v[4:5], s[18:19], s[18:19] op_sel:[0,1]
	v_mov_b32_e32 v1, s33
	s_cbranch_scc1 .LBB88_131
; %bb.130:
	v_and_b32_e32 v1, 1, v6
	s_bitcmp1_b32 s33, 0
	v_mov_b32_e32 v4, s33
	v_cmp_eq_u32_e32 vcc, 1, v1
	v_cmp_gt_i64_e64 s[2:3], s[18:19], v[2:3]
	v_cndmask_b32_e64 v1, v4, 1, vcc
	s_cselect_b64 s[0:1], -1, 0
	v_mov_b32_e32 v4, s18
	s_and_b64 vcc, vcc, s[2:3]
	v_mov_b32_e32 v5, s19
	v_cndmask_b32_e32 v4, v4, v2, vcc
	v_cndmask_b32_e32 v5, v5, v3, vcc
	v_cndmask_b32_e64 v1, v6, v1, s[0:1]
	v_cndmask_b32_e64 v5, v3, v5, s[0:1]
	;; [unrolled: 1-line block ×3, first 2 shown]
.LBB88_131:
	s_or_b64 s[10:11], s[10:11], exec
.LBB88_132:
	s_or_b64 exec, exec, s[8:9]
	s_branch .LBB88_208
.LBB88_133:
	s_cmp_gt_i32 s36, 1
	s_cbranch_scc0 .LBB88_153
; %bb.134:
	s_cmp_eq_u32 s36, 2
	s_cbranch_scc0 .LBB88_154
; %bb.135:
	s_mov_b32 s7, 0
	s_lshl_b32 s12, s6, 9
	s_mov_b32 s13, s7
	s_lshr_b64 s[0:1], s[22:23], 9
	s_lshl_b64 s[8:9], s[12:13], 2
	s_add_u32 s2, s24, s8
	s_addc_u32 s3, s25, s9
	s_add_u32 s8, s26, s8
	s_addc_u32 s9, s27, s9
	;; [unrolled: 2-line block ×3, first 2 shown]
	s_cmp_lg_u64 s[0:1], s[6:7]
	s_cbranch_scc0 .LBB88_155
; %bb.136:
	s_waitcnt lgkmcnt(2)
	v_lshlrev_b32_e32 v1, 2, v0
	global_load_dword v2, v1, s[8:9] offset:1024
	global_load_dword v3, v1, s[8:9]
	s_waitcnt lgkmcnt(1)
	global_load_dword v4, v1, s[2:3] offset:1024
	s_waitcnt lgkmcnt(0)
	global_load_dword v5, v1, s[2:3]
	v_mov_b32_e32 v1, s17
	v_add_co_u32_e32 v6, vcc, s16, v0
	v_addc_co_u32_e32 v1, vcc, 0, v1, vcc
	v_add_co_u32_e32 v7, vcc, 0x100, v6
	v_addc_co_u32_e32 v8, vcc, 0, v1, vcc
	s_waitcnt vmcnt(1)
	v_cmp_neq_f32_e32 vcc, v4, v2
	s_waitcnt vmcnt(0)
	v_cmp_neq_f32_e64 s[0:1], v5, v3
	v_cndmask_b32_e64 v3, v8, v1, s[0:1]
	v_cndmask_b32_e64 v2, v7, v6, s[0:1]
	s_or_b64 s[0:1], s[0:1], vcc
	v_cndmask_b32_e64 v1, 0, 1, s[0:1]
	v_mov_b32_dpp v4, v2 quad_perm:[1,0,3,2] row_mask:0xf bank_mask:0xf bound_ctrl:1
	v_mov_b32_dpp v5, v3 quad_perm:[1,0,3,2] row_mask:0xf bank_mask:0xf bound_ctrl:1
	v_mov_b32_dpp v6, v1 quad_perm:[1,0,3,2] row_mask:0xf bank_mask:0xf bound_ctrl:1
	v_and_b32_e32 v7, 1, v6
	v_cmp_eq_u32_e32 vcc, 1, v7
	s_and_saveexec_b64 s[14:15], vcc
; %bb.137:
	v_cmp_lt_i64_e32 vcc, v[2:3], v[4:5]
	v_cndmask_b32_e64 v6, v6, 1, s[0:1]
	s_and_b64 vcc, s[0:1], vcc
	v_cndmask_b32_e32 v2, v4, v2, vcc
	v_and_b32_e32 v4, 1, v6
	v_cndmask_b32_e32 v3, v5, v3, vcc
	v_cmp_eq_u32_e32 vcc, 1, v4
	s_andn2_b64 s[0:1], s[0:1], exec
	s_and_b64 s[28:29], vcc, exec
	v_and_b32_e32 v1, 0xff, v6
	s_or_b64 s[0:1], s[0:1], s[28:29]
; %bb.138:
	s_or_b64 exec, exec, s[14:15]
	v_mov_b32_dpp v6, v1 quad_perm:[2,3,0,1] row_mask:0xf bank_mask:0xf bound_ctrl:1
	v_and_b32_e32 v7, 1, v6
	v_mov_b32_dpp v4, v2 quad_perm:[2,3,0,1] row_mask:0xf bank_mask:0xf bound_ctrl:1
	v_mov_b32_dpp v5, v3 quad_perm:[2,3,0,1] row_mask:0xf bank_mask:0xf bound_ctrl:1
	v_cmp_eq_u32_e32 vcc, 1, v7
	s_and_saveexec_b64 s[14:15], vcc
; %bb.139:
	v_cmp_lt_i64_e32 vcc, v[2:3], v[4:5]
	v_cndmask_b32_e64 v6, v6, 1, s[0:1]
	s_and_b64 vcc, s[0:1], vcc
	v_cndmask_b32_e32 v2, v4, v2, vcc
	v_and_b32_e32 v4, 1, v6
	v_cndmask_b32_e32 v3, v5, v3, vcc
	v_cmp_eq_u32_e32 vcc, 1, v4
	s_andn2_b64 s[0:1], s[0:1], exec
	s_and_b64 s[28:29], vcc, exec
	v_and_b32_e32 v1, 0xff, v6
	s_or_b64 s[0:1], s[0:1], s[28:29]
; %bb.140:
	s_or_b64 exec, exec, s[14:15]
	v_mov_b32_dpp v6, v1 row_ror:4 row_mask:0xf bank_mask:0xf bound_ctrl:1
	v_and_b32_e32 v7, 1, v6
	v_mov_b32_dpp v4, v2 row_ror:4 row_mask:0xf bank_mask:0xf bound_ctrl:1
	v_mov_b32_dpp v5, v3 row_ror:4 row_mask:0xf bank_mask:0xf bound_ctrl:1
	v_cmp_eq_u32_e32 vcc, 1, v7
	s_and_saveexec_b64 s[14:15], vcc
; %bb.141:
	v_cmp_lt_i64_e32 vcc, v[2:3], v[4:5]
	v_cndmask_b32_e64 v6, v6, 1, s[0:1]
	s_and_b64 vcc, s[0:1], vcc
	v_cndmask_b32_e32 v2, v4, v2, vcc
	v_and_b32_e32 v4, 1, v6
	v_cndmask_b32_e32 v3, v5, v3, vcc
	v_cmp_eq_u32_e32 vcc, 1, v4
	s_andn2_b64 s[0:1], s[0:1], exec
	s_and_b64 s[28:29], vcc, exec
	v_and_b32_e32 v1, 0xff, v6
	s_or_b64 s[0:1], s[0:1], s[28:29]
; %bb.142:
	s_or_b64 exec, exec, s[14:15]
	v_mov_b32_dpp v6, v1 row_ror:8 row_mask:0xf bank_mask:0xf bound_ctrl:1
	v_and_b32_e32 v7, 1, v6
	v_mov_b32_dpp v4, v2 row_ror:8 row_mask:0xf bank_mask:0xf bound_ctrl:1
	v_mov_b32_dpp v5, v3 row_ror:8 row_mask:0xf bank_mask:0xf bound_ctrl:1
	v_cmp_eq_u32_e32 vcc, 1, v7
	s_and_saveexec_b64 s[14:15], vcc
; %bb.143:
	v_cmp_lt_i64_e32 vcc, v[2:3], v[4:5]
	v_cndmask_b32_e64 v6, v6, 1, s[0:1]
	s_and_b64 vcc, s[0:1], vcc
	v_cndmask_b32_e32 v2, v4, v2, vcc
	v_and_b32_e32 v4, 1, v6
	v_cndmask_b32_e32 v3, v5, v3, vcc
	v_cmp_eq_u32_e32 vcc, 1, v4
	s_andn2_b64 s[0:1], s[0:1], exec
	s_and_b64 s[28:29], vcc, exec
	v_and_b32_e32 v1, 0xff, v6
	s_or_b64 s[0:1], s[0:1], s[28:29]
; %bb.144:
	s_or_b64 exec, exec, s[14:15]
	v_mov_b32_dpp v6, v1 row_bcast:15 row_mask:0xf bank_mask:0xf bound_ctrl:1
	v_and_b32_e32 v7, 1, v6
	v_mov_b32_dpp v4, v2 row_bcast:15 row_mask:0xf bank_mask:0xf bound_ctrl:1
	v_mov_b32_dpp v5, v3 row_bcast:15 row_mask:0xf bank_mask:0xf bound_ctrl:1
	v_cmp_eq_u32_e32 vcc, 1, v7
	s_and_saveexec_b64 s[14:15], vcc
; %bb.145:
	v_cmp_lt_i64_e32 vcc, v[2:3], v[4:5]
	v_cndmask_b32_e64 v6, v6, 1, s[0:1]
	s_and_b64 vcc, s[0:1], vcc
	v_cndmask_b32_e32 v2, v4, v2, vcc
	v_and_b32_e32 v4, 1, v6
	v_cndmask_b32_e32 v3, v5, v3, vcc
	v_cmp_eq_u32_e32 vcc, 1, v4
	s_andn2_b64 s[0:1], s[0:1], exec
	s_and_b64 s[28:29], vcc, exec
	v_and_b32_e32 v1, 0xff, v6
	s_or_b64 s[0:1], s[0:1], s[28:29]
; %bb.146:
	s_or_b64 exec, exec, s[14:15]
	v_mov_b32_dpp v6, v1 row_bcast:31 row_mask:0xf bank_mask:0xf bound_ctrl:1
	v_and_b32_e32 v7, 1, v6
	v_mov_b32_dpp v4, v2 row_bcast:31 row_mask:0xf bank_mask:0xf bound_ctrl:1
	v_mov_b32_dpp v5, v3 row_bcast:31 row_mask:0xf bank_mask:0xf bound_ctrl:1
	v_cmp_eq_u32_e32 vcc, 1, v7
	s_and_saveexec_b64 s[14:15], vcc
; %bb.147:
	v_cmp_lt_i64_e32 vcc, v[2:3], v[4:5]
	v_and_b32_e32 v1, 0xff, v6
	s_and_b64 vcc, s[0:1], vcc
	v_cndmask_b32_e32 v2, v4, v2, vcc
	v_cndmask_b32_e32 v3, v5, v3, vcc
	v_cndmask_b32_e64 v1, v1, 1, s[0:1]
; %bb.148:
	s_or_b64 exec, exec, s[14:15]
	v_mbcnt_lo_u32_b32 v4, -1, 0
	v_mbcnt_hi_u32_b32 v4, -1, v4
	v_bfrev_b32_e32 v5, 0.5
	v_lshl_or_b32 v5, v4, 2, v5
	ds_bpermute_b32 v6, v5, v1
	ds_bpermute_b32 v2, v5, v2
	;; [unrolled: 1-line block ×3, first 2 shown]
	v_cmp_eq_u32_e32 vcc, 0, v4
	s_and_saveexec_b64 s[0:1], vcc
	s_cbranch_execz .LBB88_150
; %bb.149:
	v_lshrrev_b32_e32 v1, 2, v0
	v_and_b32_e32 v1, 48, v1
	s_waitcnt lgkmcnt(2)
	ds_write_b8 v1, v6 offset:64
	s_waitcnt lgkmcnt(1)
	ds_write_b64 v1, v[2:3] offset:72
.LBB88_150:
	s_or_b64 exec, exec, s[0:1]
	v_cmp_gt_u32_e32 vcc, 64, v0
	s_waitcnt lgkmcnt(0)
	s_barrier
	s_and_saveexec_b64 s[14:15], vcc
	s_cbranch_execz .LBB88_152
; %bb.151:
	v_and_b32_e32 v1, 3, v4
	v_lshlrev_b32_e32 v2, 4, v1
	ds_read_u8 v5, v2 offset:64
	ds_read_b64 v[2:3], v2 offset:72
	v_cmp_ne_u32_e32 vcc, 3, v1
	v_addc_co_u32_e32 v6, vcc, 0, v4, vcc
	s_waitcnt lgkmcnt(1)
	v_and_b32_e32 v7, 0xff, v5
	v_lshlrev_b32_e32 v8, 2, v6
	ds_bpermute_b32 v9, v8, v7
	s_waitcnt lgkmcnt(1)
	ds_bpermute_b32 v6, v8, v2
	ds_bpermute_b32 v7, v8, v3
	v_and_b32_e32 v8, 1, v5
	s_waitcnt lgkmcnt(2)
	v_and_b32_e32 v10, 1, v9
	v_cmp_eq_u32_e64 s[0:1], 1, v10
	s_waitcnt lgkmcnt(0)
	v_cmp_lt_i64_e32 vcc, v[6:7], v[2:3]
	s_and_b64 vcc, s[0:1], vcc
	v_cndmask_b32_e64 v5, v5, 1, s[0:1]
	v_cndmask_b32_e32 v2, v2, v6, vcc
	v_cndmask_b32_e32 v3, v3, v7, vcc
	v_cmp_eq_u32_e32 vcc, 1, v8
	v_cndmask_b32_e32 v8, v9, v5, vcc
	v_cndmask_b32_e32 v3, v7, v3, vcc
	;; [unrolled: 1-line block ×3, first 2 shown]
	v_cmp_gt_u32_e32 vcc, 2, v1
	v_cndmask_b32_e64 v1, 0, 1, vcc
	v_lshlrev_b32_e32 v1, 1, v1
	v_and_b32_e32 v5, 0xff, v8
	v_add_lshl_u32 v1, v1, v4, 2
	ds_bpermute_b32 v6, v1, v5
	ds_bpermute_b32 v4, v1, v2
	;; [unrolled: 1-line block ×3, first 2 shown]
	v_and_b32_e32 v1, 1, v8
	s_waitcnt lgkmcnt(2)
	v_and_b32_e32 v7, 1, v6
	v_cmp_eq_u32_e64 s[0:1], 1, v7
	s_waitcnt lgkmcnt(0)
	v_cmp_lt_i64_e32 vcc, v[4:5], v[2:3]
	s_and_b64 vcc, s[0:1], vcc
	v_cndmask_b32_e64 v7, v8, 1, s[0:1]
	v_cndmask_b32_e32 v2, v2, v4, vcc
	v_cndmask_b32_e32 v3, v3, v5, vcc
	v_cmp_eq_u32_e32 vcc, 1, v1
	v_cndmask_b32_e32 v1, v6, v7, vcc
	v_cndmask_b32_e32 v3, v5, v3, vcc
	;; [unrolled: 1-line block ×3, first 2 shown]
	v_and_b32_e32 v6, 0xff, v1
.LBB88_152:
	s_or_b64 exec, exec, s[14:15]
	s_branch .LBB88_183
.LBB88_153:
                                        ; implicit-def: $vgpr4_vgpr5
                                        ; implicit-def: $vgpr1
	s_cbranch_execnz .LBB88_188
	s_branch .LBB88_208
.LBB88_154:
                                        ; implicit-def: $vgpr4_vgpr5
                                        ; implicit-def: $vgpr1
	s_branch .LBB88_208
.LBB88_155:
                                        ; implicit-def: $vgpr2_vgpr3
                                        ; implicit-def: $vgpr6
	s_cbranch_execz .LBB88_183
; %bb.156:
	s_sub_i32 s14, s22, s12
	s_waitcnt lgkmcnt(0)
	v_pk_mov_b32 v[4:5], 0, 0
	v_cmp_gt_u32_e32 vcc, s14, v0
	v_mov_b32_e32 v1, 0
	v_pk_mov_b32 v[2:3], v[4:5], v[4:5] op_sel:[0,1]
	v_mov_b32_e32 v7, 0
	s_and_saveexec_b64 s[0:1], vcc
	s_cbranch_execz .LBB88_158
; %bb.157:
	v_lshlrev_b32_e32 v2, 2, v0
	global_load_dword v6, v2, s[2:3]
	global_load_dword v7, v2, s[8:9]
	v_mov_b32_e32 v3, s17
	v_add_co_u32_e32 v2, vcc, s16, v0
	v_addc_co_u32_e32 v3, vcc, 0, v3, vcc
	s_waitcnt vmcnt(0)
	v_cmp_neq_f32_e32 vcc, v6, v7
	v_cndmask_b32_e64 v7, 0, 1, vcc
.LBB88_158:
	s_or_b64 exec, exec, s[0:1]
	v_or_b32_e32 v6, 0x100, v0
	v_cmp_gt_u32_e32 vcc, s14, v6
	s_and_saveexec_b64 s[12:13], vcc
	s_cbranch_execz .LBB88_160
; %bb.159:
	v_lshlrev_b32_e32 v1, 2, v0
	global_load_dword v8, v1, s[2:3] offset:1024
	global_load_dword v9, v1, s[8:9] offset:1024
	v_mov_b32_e32 v1, s17
	v_add_co_u32_e64 v4, s[0:1], s16, v6
	v_addc_co_u32_e64 v5, s[0:1], 0, v1, s[0:1]
	s_waitcnt vmcnt(0)
	v_cmp_neq_f32_e64 s[0:1], v8, v9
	v_cndmask_b32_e64 v1, 0, 1, s[0:1]
.LBB88_160:
	s_or_b64 exec, exec, s[12:13]
	s_and_saveexec_b64 s[2:3], vcc
	s_cbranch_execz .LBB88_162
; %bb.161:
	v_and_b32_e32 v8, 1, v1
	v_cmp_lt_i64_e32 vcc, v[4:5], v[2:3]
	v_cmp_eq_u32_e64 s[0:1], 1, v8
	v_and_b32_e32 v6, 1, v7
	s_and_b64 vcc, s[0:1], vcc
	v_cndmask_b32_e64 v7, v7, 1, s[0:1]
	v_cndmask_b32_e32 v2, v2, v4, vcc
	v_cndmask_b32_e32 v3, v3, v5, vcc
	v_cmp_eq_u32_e32 vcc, 1, v6
	v_cndmask_b32_e32 v7, v1, v7, vcc
	v_cndmask_b32_e32 v3, v5, v3, vcc
	;; [unrolled: 1-line block ×3, first 2 shown]
.LBB88_162:
	s_or_b64 exec, exec, s[2:3]
	v_mbcnt_lo_u32_b32 v1, -1, 0
	v_mbcnt_hi_u32_b32 v1, -1, v1
	v_and_b32_e32 v8, 63, v1
	v_cmp_ne_u32_e32 vcc, 63, v8
	v_addc_co_u32_e32 v4, vcc, 0, v1, vcc
	v_and_b32_e32 v6, 0xffff, v7
	v_lshlrev_b32_e32 v5, 2, v4
	ds_bpermute_b32 v10, v5, v6
	ds_bpermute_b32 v4, v5, v2
	;; [unrolled: 1-line block ×3, first 2 shown]
	s_min_u32 s8, s14, 0x100
	v_and_b32_e32 v9, 0xc0, v0
	v_sub_u32_e64 v9, s8, v9 clamp
	v_add_u32_e32 v11, 1, v8
	v_cmp_lt_u32_e32 vcc, v11, v9
	s_and_saveexec_b64 s[2:3], vcc
	s_cbranch_execz .LBB88_164
; %bb.163:
	s_waitcnt lgkmcnt(2)
	v_and_b32_e32 v11, 1, v10
	s_waitcnt lgkmcnt(0)
	v_cmp_lt_i64_e32 vcc, v[4:5], v[2:3]
	v_cmp_eq_u32_e64 s[0:1], 1, v11
	v_and_b32_e32 v6, 1, v7
	s_and_b64 vcc, s[0:1], vcc
	v_cndmask_b32_e64 v7, v7, 1, s[0:1]
	v_cndmask_b32_e32 v2, v2, v4, vcc
	v_cndmask_b32_e32 v3, v3, v5, vcc
	v_cmp_eq_u32_e32 vcc, 1, v6
	v_cndmask_b32_e32 v7, v10, v7, vcc
	v_cndmask_b32_e32 v3, v5, v3, vcc
	v_cndmask_b32_e32 v2, v4, v2, vcc
	v_and_b32_e32 v6, 0xff, v7
.LBB88_164:
	s_or_b64 exec, exec, s[2:3]
	v_cmp_gt_u32_e32 vcc, 62, v8
	s_waitcnt lgkmcnt(1)
	v_cndmask_b32_e64 v4, 0, 1, vcc
	v_lshlrev_b32_e32 v4, 1, v4
	s_waitcnt lgkmcnt(0)
	v_add_lshl_u32 v5, v4, v1, 2
	ds_bpermute_b32 v10, v5, v6
	ds_bpermute_b32 v4, v5, v2
	ds_bpermute_b32 v5, v5, v3
	v_add_u32_e32 v11, 2, v8
	v_cmp_lt_u32_e32 vcc, v11, v9
	s_and_saveexec_b64 s[2:3], vcc
	s_cbranch_execz .LBB88_166
; %bb.165:
	s_waitcnt lgkmcnt(2)
	v_and_b32_e32 v11, 1, v10
	s_waitcnt lgkmcnt(0)
	v_cmp_lt_i64_e32 vcc, v[4:5], v[2:3]
	v_cmp_eq_u32_e64 s[0:1], 1, v11
	v_and_b32_e32 v6, 1, v7
	s_and_b64 vcc, s[0:1], vcc
	v_cndmask_b32_e64 v7, v7, 1, s[0:1]
	v_cndmask_b32_e32 v2, v2, v4, vcc
	v_cndmask_b32_e32 v3, v3, v5, vcc
	v_cmp_eq_u32_e32 vcc, 1, v6
	v_cndmask_b32_e32 v7, v10, v7, vcc
	v_cndmask_b32_e32 v3, v5, v3, vcc
	v_cndmask_b32_e32 v2, v4, v2, vcc
	v_and_b32_e32 v6, 0xff, v7
.LBB88_166:
	s_or_b64 exec, exec, s[2:3]
	v_cmp_gt_u32_e32 vcc, 60, v8
	s_waitcnt lgkmcnt(1)
	v_cndmask_b32_e64 v4, 0, 1, vcc
	v_lshlrev_b32_e32 v4, 2, v4
	s_waitcnt lgkmcnt(0)
	v_add_lshl_u32 v5, v4, v1, 2
	ds_bpermute_b32 v10, v5, v6
	ds_bpermute_b32 v4, v5, v2
	ds_bpermute_b32 v5, v5, v3
	;; [unrolled: 31-line block ×5, first 2 shown]
	v_add_u32_e32 v8, 32, v8
	v_cmp_lt_u32_e32 vcc, v8, v9
	s_and_saveexec_b64 s[2:3], vcc
	s_cbranch_execz .LBB88_174
; %bb.173:
	s_waitcnt lgkmcnt(2)
	v_and_b32_e32 v8, 1, v10
	s_waitcnt lgkmcnt(0)
	v_cmp_lt_i64_e32 vcc, v[4:5], v[2:3]
	v_cmp_eq_u32_e64 s[0:1], 1, v8
	v_and_b32_e32 v6, 1, v7
	s_and_b64 vcc, s[0:1], vcc
	v_cndmask_b32_e64 v7, v7, 1, s[0:1]
	v_cndmask_b32_e32 v2, v2, v4, vcc
	v_cndmask_b32_e32 v3, v3, v5, vcc
	v_cmp_eq_u32_e32 vcc, 1, v6
	v_cndmask_b32_e32 v7, v10, v7, vcc
	v_cndmask_b32_e32 v3, v5, v3, vcc
	;; [unrolled: 1-line block ×3, first 2 shown]
	v_and_b32_e32 v6, 0xff, v7
.LBB88_174:
	s_or_b64 exec, exec, s[2:3]
	v_cmp_eq_u32_e32 vcc, 0, v1
	s_and_saveexec_b64 s[0:1], vcc
	s_cbranch_execz .LBB88_176
; %bb.175:
	s_waitcnt lgkmcnt(1)
	v_lshrrev_b32_e32 v4, 2, v0
	v_and_b32_e32 v4, 48, v4
	ds_write_b8 v4, v7 offset:256
	ds_write_b64 v4, v[2:3] offset:264
.LBB88_176:
	s_or_b64 exec, exec, s[0:1]
	v_cmp_gt_u32_e32 vcc, 4, v0
	s_waitcnt lgkmcnt(0)
	s_barrier
	s_and_saveexec_b64 s[2:3], vcc
	s_cbranch_execz .LBB88_182
; %bb.177:
	v_lshlrev_b32_e32 v2, 4, v1
	ds_read_u8 v7, v2 offset:256
	ds_read_b64 v[2:3], v2 offset:264
	v_and_b32_e32 v8, 3, v1
	v_cmp_ne_u32_e32 vcc, 3, v8
	v_addc_co_u32_e32 v4, vcc, 0, v1, vcc
	s_waitcnt lgkmcnt(1)
	v_and_b32_e32 v6, 0xff, v7
	v_lshlrev_b32_e32 v5, 2, v4
	ds_bpermute_b32 v9, v5, v6
	s_waitcnt lgkmcnt(1)
	ds_bpermute_b32 v4, v5, v2
	ds_bpermute_b32 v5, v5, v3
	s_add_i32 s8, s8, 63
	s_lshr_b32 s12, s8, 6
	v_add_u32_e32 v10, 1, v8
	v_cmp_gt_u32_e32 vcc, s12, v10
	s_and_saveexec_b64 s[8:9], vcc
	s_cbranch_execz .LBB88_179
; %bb.178:
	s_waitcnt lgkmcnt(2)
	v_and_b32_e32 v10, 1, v9
	s_waitcnt lgkmcnt(0)
	v_cmp_lt_i64_e32 vcc, v[4:5], v[2:3]
	v_cmp_eq_u32_e64 s[0:1], 1, v10
	v_and_b32_e32 v6, 1, v7
	s_and_b64 vcc, s[0:1], vcc
	v_cndmask_b32_e64 v7, v7, 1, s[0:1]
	v_cndmask_b32_e32 v2, v2, v4, vcc
	v_cndmask_b32_e32 v3, v3, v5, vcc
	v_cmp_eq_u32_e32 vcc, 1, v6
	v_cndmask_b32_e32 v7, v9, v7, vcc
	v_cndmask_b32_e32 v3, v5, v3, vcc
	;; [unrolled: 1-line block ×3, first 2 shown]
	v_and_b32_e32 v6, 0xff, v7
.LBB88_179:
	s_or_b64 exec, exec, s[8:9]
	v_cmp_gt_u32_e32 vcc, 2, v8
	s_waitcnt lgkmcnt(1)
	v_cndmask_b32_e64 v4, 0, 1, vcc
	v_lshlrev_b32_e32 v4, 1, v4
	s_waitcnt lgkmcnt(0)
	v_add_lshl_u32 v5, v4, v1, 2
	ds_bpermute_b32 v1, v5, v6
	ds_bpermute_b32 v4, v5, v2
	;; [unrolled: 1-line block ×3, first 2 shown]
	v_add_u32_e32 v8, 2, v8
	v_cmp_gt_u32_e32 vcc, s12, v8
	s_and_saveexec_b64 s[8:9], vcc
	s_cbranch_execz .LBB88_181
; %bb.180:
	s_waitcnt lgkmcnt(2)
	v_and_b32_e32 v8, 1, v1
	s_waitcnt lgkmcnt(0)
	v_cmp_lt_i64_e32 vcc, v[4:5], v[2:3]
	v_cmp_eq_u32_e64 s[0:1], 1, v8
	v_and_b32_e32 v6, 1, v7
	s_and_b64 vcc, s[0:1], vcc
	v_cndmask_b32_e64 v7, v7, 1, s[0:1]
	v_cndmask_b32_e32 v2, v2, v4, vcc
	v_cndmask_b32_e32 v3, v3, v5, vcc
	v_cmp_eq_u32_e32 vcc, 1, v6
	v_cndmask_b32_e32 v1, v1, v7, vcc
	v_cndmask_b32_e32 v3, v5, v3, vcc
	;; [unrolled: 1-line block ×3, first 2 shown]
	v_and_b32_e32 v6, 0xff, v1
.LBB88_181:
	s_or_b64 exec, exec, s[8:9]
.LBB88_182:
	s_or_b64 exec, exec, s[2:3]
.LBB88_183:
	v_cmp_eq_u32_e32 vcc, 0, v0
                                        ; implicit-def: $vgpr4_vgpr5
                                        ; implicit-def: $vgpr1
	s_and_saveexec_b64 s[0:1], vcc
	s_xor_b64 s[8:9], exec, s[0:1]
	s_cbranch_execz .LBB88_187
; %bb.184:
	s_cmp_eq_u64 s[22:23], 0
	s_waitcnt lgkmcnt(0)
	v_pk_mov_b32 v[4:5], s[18:19], s[18:19] op_sel:[0,1]
	v_mov_b32_e32 v1, s33
	s_cbranch_scc1 .LBB88_186
; %bb.185:
	v_and_b32_e32 v1, 1, v6
	s_bitcmp1_b32 s33, 0
	v_mov_b32_e32 v4, s33
	v_cmp_eq_u32_e32 vcc, 1, v1
	v_cmp_gt_i64_e64 s[2:3], s[18:19], v[2:3]
	v_cndmask_b32_e64 v1, v4, 1, vcc
	s_cselect_b64 s[0:1], -1, 0
	v_mov_b32_e32 v4, s18
	s_and_b64 vcc, vcc, s[2:3]
	v_mov_b32_e32 v5, s19
	v_cndmask_b32_e32 v4, v4, v2, vcc
	v_cndmask_b32_e32 v5, v5, v3, vcc
	v_cndmask_b32_e64 v1, v6, v1, s[0:1]
	v_cndmask_b32_e64 v5, v3, v5, s[0:1]
	;; [unrolled: 1-line block ×3, first 2 shown]
.LBB88_186:
	s_or_b64 s[10:11], s[10:11], exec
.LBB88_187:
	s_or_b64 exec, exec, s[8:9]
	s_branch .LBB88_208
.LBB88_188:
	s_cmp_eq_u32 s36, 1
	s_cbranch_scc0 .LBB88_207
; %bb.189:
	s_mov_b32 s3, 0
	s_lshl_b32 s2, s6, 8
	s_mov_b32 s7, s3
	s_lshr_b64 s[0:1], s[22:23], 8
	s_cmp_lg_u64 s[0:1], s[6:7]
	s_cbranch_scc0 .LBB88_211
; %bb.190:
	s_lshl_b64 s[0:1], s[2:3], 2
	s_add_u32 s8, s24, s0
	s_addc_u32 s9, s25, s1
	s_add_u32 s0, s26, s0
	s_waitcnt lgkmcnt(2)
	v_lshlrev_b32_e32 v1, 2, v0
	s_addc_u32 s1, s27, s1
	s_waitcnt lgkmcnt(0)
	global_load_dword v5, v1, s[8:9]
	global_load_dword v6, v1, s[0:1]
	s_add_u32 s0, s20, s2
	s_addc_u32 s1, s21, 0
	v_mov_b32_e32 v1, s1
	v_add_co_u32_e32 v2, vcc, s0, v0
	v_addc_co_u32_e32 v3, vcc, 0, v1, vcc
	s_nop 0
	v_mov_b32_dpp v4, v2 quad_perm:[1,0,3,2] row_mask:0xf bank_mask:0xf bound_ctrl:1
	s_waitcnt vmcnt(0)
	v_cmp_neq_f32_e32 vcc, v5, v6
	v_cndmask_b32_e64 v1, 0, 1, vcc
	v_cndmask_b32_e64 v6, 0, 1, vcc
	v_mov_b32_dpp v5, v3 quad_perm:[1,0,3,2] row_mask:0xf bank_mask:0xf bound_ctrl:1
	v_mov_b32_dpp v1, v1 quad_perm:[1,0,3,2] row_mask:0xf bank_mask:0xf bound_ctrl:1
	v_and_b32_e32 v7, 1, v1
	v_cmp_eq_u32_e64 s[0:1], 1, v7
	s_and_saveexec_b64 s[8:9], s[0:1]
; %bb.191:
	v_cmp_lt_i64_e64 s[0:1], v[2:3], v[4:5]
	v_cndmask_b32_e64 v6, v1, 1, vcc
	s_and_b64 vcc, vcc, s[0:1]
	v_cndmask_b32_e32 v3, v5, v3, vcc
	v_cndmask_b32_e32 v2, v4, v2, vcc
; %bb.192:
	s_or_b64 exec, exec, s[8:9]
	v_and_b32_e32 v1, 0xff, v6
	v_and_b32_e32 v6, 1, v6
	v_mov_b32_dpp v4, v2 quad_perm:[2,3,0,1] row_mask:0xf bank_mask:0xf bound_ctrl:1
	v_mov_b32_dpp v7, v1 quad_perm:[2,3,0,1] row_mask:0xf bank_mask:0xf bound_ctrl:1
	v_and_b32_e32 v8, 1, v7
	v_mov_b32_dpp v5, v3 quad_perm:[2,3,0,1] row_mask:0xf bank_mask:0xf bound_ctrl:1
	v_cmp_eq_u32_e32 vcc, 1, v8
	v_cmp_eq_u32_e64 s[0:1], 1, v6
	s_and_saveexec_b64 s[8:9], vcc
; %bb.193:
	v_cmp_lt_i64_e32 vcc, v[2:3], v[4:5]
	v_cndmask_b32_e64 v6, v7, 1, s[0:1]
	s_and_b64 vcc, s[0:1], vcc
	v_cndmask_b32_e32 v2, v4, v2, vcc
	v_and_b32_e32 v4, 1, v6
	v_cndmask_b32_e32 v3, v5, v3, vcc
	v_cmp_eq_u32_e32 vcc, 1, v4
	s_andn2_b64 s[0:1], s[0:1], exec
	s_and_b64 s[12:13], vcc, exec
	v_and_b32_e32 v1, 0xff, v6
	s_or_b64 s[0:1], s[0:1], s[12:13]
; %bb.194:
	s_or_b64 exec, exec, s[8:9]
	v_mov_b32_dpp v6, v1 row_ror:4 row_mask:0xf bank_mask:0xf bound_ctrl:1
	v_and_b32_e32 v7, 1, v6
	v_mov_b32_dpp v4, v2 row_ror:4 row_mask:0xf bank_mask:0xf bound_ctrl:1
	v_mov_b32_dpp v5, v3 row_ror:4 row_mask:0xf bank_mask:0xf bound_ctrl:1
	v_cmp_eq_u32_e32 vcc, 1, v7
	s_and_saveexec_b64 s[8:9], vcc
; %bb.195:
	v_cmp_lt_i64_e32 vcc, v[2:3], v[4:5]
	v_cndmask_b32_e64 v6, v6, 1, s[0:1]
	s_and_b64 vcc, s[0:1], vcc
	v_cndmask_b32_e32 v2, v4, v2, vcc
	v_and_b32_e32 v4, 1, v6
	v_cndmask_b32_e32 v3, v5, v3, vcc
	v_cmp_eq_u32_e32 vcc, 1, v4
	s_andn2_b64 s[0:1], s[0:1], exec
	s_and_b64 s[12:13], vcc, exec
	v_and_b32_e32 v1, 0xff, v6
	s_or_b64 s[0:1], s[0:1], s[12:13]
; %bb.196:
	s_or_b64 exec, exec, s[8:9]
	v_mov_b32_dpp v6, v1 row_ror:8 row_mask:0xf bank_mask:0xf bound_ctrl:1
	v_and_b32_e32 v7, 1, v6
	v_mov_b32_dpp v4, v2 row_ror:8 row_mask:0xf bank_mask:0xf bound_ctrl:1
	v_mov_b32_dpp v5, v3 row_ror:8 row_mask:0xf bank_mask:0xf bound_ctrl:1
	v_cmp_eq_u32_e32 vcc, 1, v7
	s_and_saveexec_b64 s[8:9], vcc
; %bb.197:
	v_cmp_lt_i64_e32 vcc, v[2:3], v[4:5]
	v_cndmask_b32_e64 v6, v6, 1, s[0:1]
	s_and_b64 vcc, s[0:1], vcc
	v_cndmask_b32_e32 v2, v4, v2, vcc
	v_and_b32_e32 v4, 1, v6
	v_cndmask_b32_e32 v3, v5, v3, vcc
	v_cmp_eq_u32_e32 vcc, 1, v4
	s_andn2_b64 s[0:1], s[0:1], exec
	s_and_b64 s[12:13], vcc, exec
	v_and_b32_e32 v1, 0xff, v6
	s_or_b64 s[0:1], s[0:1], s[12:13]
; %bb.198:
	s_or_b64 exec, exec, s[8:9]
	v_mov_b32_dpp v6, v1 row_bcast:15 row_mask:0xf bank_mask:0xf bound_ctrl:1
	v_and_b32_e32 v7, 1, v6
	v_mov_b32_dpp v4, v2 row_bcast:15 row_mask:0xf bank_mask:0xf bound_ctrl:1
	v_mov_b32_dpp v5, v3 row_bcast:15 row_mask:0xf bank_mask:0xf bound_ctrl:1
	v_cmp_eq_u32_e32 vcc, 1, v7
	s_and_saveexec_b64 s[8:9], vcc
; %bb.199:
	v_cmp_lt_i64_e32 vcc, v[2:3], v[4:5]
	v_cndmask_b32_e64 v6, v6, 1, s[0:1]
	s_and_b64 vcc, s[0:1], vcc
	v_cndmask_b32_e32 v2, v4, v2, vcc
	v_and_b32_e32 v4, 1, v6
	v_cndmask_b32_e32 v3, v5, v3, vcc
	v_cmp_eq_u32_e32 vcc, 1, v4
	s_andn2_b64 s[0:1], s[0:1], exec
	s_and_b64 s[12:13], vcc, exec
	v_and_b32_e32 v1, 0xff, v6
	s_or_b64 s[0:1], s[0:1], s[12:13]
; %bb.200:
	s_or_b64 exec, exec, s[8:9]
	v_mov_b32_dpp v6, v1 row_bcast:31 row_mask:0xf bank_mask:0xf bound_ctrl:1
	v_and_b32_e32 v7, 1, v6
	v_mov_b32_dpp v4, v2 row_bcast:31 row_mask:0xf bank_mask:0xf bound_ctrl:1
	v_mov_b32_dpp v5, v3 row_bcast:31 row_mask:0xf bank_mask:0xf bound_ctrl:1
	v_cmp_eq_u32_e32 vcc, 1, v7
	s_and_saveexec_b64 s[8:9], vcc
; %bb.201:
	v_cmp_lt_i64_e32 vcc, v[2:3], v[4:5]
	v_and_b32_e32 v1, 0xff, v6
	s_and_b64 vcc, s[0:1], vcc
	v_cndmask_b32_e32 v2, v4, v2, vcc
	v_cndmask_b32_e32 v3, v5, v3, vcc
	v_cndmask_b32_e64 v1, v1, 1, s[0:1]
; %bb.202:
	s_or_b64 exec, exec, s[8:9]
	v_mbcnt_lo_u32_b32 v4, -1, 0
	v_mbcnt_hi_u32_b32 v4, -1, v4
	v_bfrev_b32_e32 v5, 0.5
	v_lshl_or_b32 v5, v4, 2, v5
	ds_bpermute_b32 v6, v5, v1
	ds_bpermute_b32 v2, v5, v2
	;; [unrolled: 1-line block ×3, first 2 shown]
	v_cmp_eq_u32_e32 vcc, 0, v4
	s_and_saveexec_b64 s[0:1], vcc
	s_cbranch_execz .LBB88_204
; %bb.203:
	v_lshrrev_b32_e32 v1, 2, v0
	v_and_b32_e32 v1, 48, v1
	s_waitcnt lgkmcnt(2)
	ds_write_b8 v1, v6
	s_waitcnt lgkmcnt(1)
	ds_write_b64 v1, v[2:3] offset:8
.LBB88_204:
	s_or_b64 exec, exec, s[0:1]
	v_cmp_gt_u32_e32 vcc, 64, v0
	s_waitcnt lgkmcnt(0)
	s_barrier
	s_and_saveexec_b64 s[8:9], vcc
	s_cbranch_execz .LBB88_206
; %bb.205:
	v_and_b32_e32 v1, 3, v4
	v_lshlrev_b32_e32 v2, 4, v1
	ds_read_u8 v5, v2
	ds_read_b64 v[2:3], v2 offset:8
	v_cmp_ne_u32_e32 vcc, 3, v1
	v_addc_co_u32_e32 v6, vcc, 0, v4, vcc
	s_waitcnt lgkmcnt(1)
	v_and_b32_e32 v7, 0xff, v5
	v_lshlrev_b32_e32 v8, 2, v6
	ds_bpermute_b32 v9, v8, v7
	s_waitcnt lgkmcnt(1)
	ds_bpermute_b32 v6, v8, v2
	ds_bpermute_b32 v7, v8, v3
	v_and_b32_e32 v8, 1, v5
	s_waitcnt lgkmcnt(2)
	v_and_b32_e32 v10, 1, v9
	v_cmp_eq_u32_e64 s[0:1], 1, v10
	s_waitcnt lgkmcnt(0)
	v_cmp_lt_i64_e32 vcc, v[6:7], v[2:3]
	s_and_b64 vcc, s[0:1], vcc
	v_cndmask_b32_e64 v5, v5, 1, s[0:1]
	v_cndmask_b32_e32 v2, v2, v6, vcc
	v_cndmask_b32_e32 v3, v3, v7, vcc
	v_cmp_eq_u32_e32 vcc, 1, v8
	v_cndmask_b32_e32 v8, v9, v5, vcc
	v_cndmask_b32_e32 v3, v7, v3, vcc
	;; [unrolled: 1-line block ×3, first 2 shown]
	v_cmp_gt_u32_e32 vcc, 2, v1
	v_cndmask_b32_e64 v1, 0, 1, vcc
	v_lshlrev_b32_e32 v1, 1, v1
	v_and_b32_e32 v5, 0xff, v8
	v_add_lshl_u32 v1, v1, v4, 2
	ds_bpermute_b32 v6, v1, v5
	ds_bpermute_b32 v4, v1, v2
	;; [unrolled: 1-line block ×3, first 2 shown]
	v_and_b32_e32 v1, 1, v8
	s_waitcnt lgkmcnt(2)
	v_and_b32_e32 v7, 1, v6
	v_cmp_eq_u32_e64 s[0:1], 1, v7
	s_waitcnt lgkmcnt(0)
	v_cmp_lt_i64_e32 vcc, v[4:5], v[2:3]
	s_and_b64 vcc, s[0:1], vcc
	v_cndmask_b32_e64 v7, v8, 1, s[0:1]
	v_cndmask_b32_e32 v2, v2, v4, vcc
	v_cndmask_b32_e32 v3, v3, v5, vcc
	v_cmp_eq_u32_e32 vcc, 1, v1
	v_cndmask_b32_e32 v1, v6, v7, vcc
	v_cndmask_b32_e32 v3, v5, v3, vcc
	;; [unrolled: 1-line block ×3, first 2 shown]
	v_and_b32_e32 v6, 0xff, v1
.LBB88_206:
	s_or_b64 exec, exec, s[8:9]
	s_branch .LBB88_235
.LBB88_207:
                                        ; implicit-def: $vgpr4_vgpr5
                                        ; implicit-def: $vgpr1
                                        ; implicit-def: $sgpr6_sgpr7
.LBB88_208:
	s_and_saveexec_b64 s[0:1], s[10:11]
	s_cbranch_execz .LBB88_210
.LBB88_209:
	s_load_dwordx2 s[0:1], s[4:5], 0x38
	s_lshl_b64 s[2:3], s[6:7], 4
	v_mov_b32_e32 v0, 0
	s_waitcnt lgkmcnt(0)
	s_add_u32 s0, s0, s2
	s_addc_u32 s1, s1, s3
	global_store_byte v0, v1, s[0:1]
	global_store_dwordx2 v0, v[4:5], s[0:1] offset:8
.LBB88_210:
	s_endpgm
.LBB88_211:
                                        ; implicit-def: $vgpr2_vgpr3
                                        ; implicit-def: $vgpr6
	s_cbranch_execz .LBB88_235
; %bb.212:
	s_sub_i32 s8, s22, s2
	v_cmp_gt_u32_e32 vcc, s8, v0
	v_pk_mov_b32 v[2:3], 0, 0
	v_mov_b32_e32 v7, 0
	s_and_saveexec_b64 s[0:1], vcc
	s_cbranch_execz .LBB88_214
; %bb.213:
	s_lshl_b64 s[12:13], s[2:3], 2
	s_add_u32 s14, s26, s12
	s_addc_u32 s15, s27, s13
	s_add_u32 s12, s24, s12
	s_addc_u32 s13, s25, s13
	s_waitcnt lgkmcnt(2)
	v_lshlrev_b32_e32 v1, 2, v0
	s_waitcnt lgkmcnt(1)
	global_load_dword v4, v1, s[12:13]
	s_waitcnt lgkmcnt(0)
	global_load_dword v5, v1, s[14:15]
	s_add_u32 s2, s20, s2
	s_addc_u32 s3, s21, 0
	v_mov_b32_e32 v1, s3
	v_add_co_u32_e32 v2, vcc, s2, v0
	v_addc_co_u32_e32 v3, vcc, 0, v1, vcc
	s_waitcnt vmcnt(0)
	v_cmp_neq_f32_e32 vcc, v4, v5
	v_cndmask_b32_e64 v7, 0, 1, vcc
.LBB88_214:
	s_or_b64 exec, exec, s[0:1]
	s_waitcnt lgkmcnt(2)
	v_mbcnt_lo_u32_b32 v1, -1, 0
	v_mbcnt_hi_u32_b32 v1, -1, v1
	v_and_b32_e32 v8, 63, v1
	v_cmp_ne_u32_e32 vcc, 63, v8
	s_waitcnt lgkmcnt(1)
	v_addc_co_u32_e32 v4, vcc, 0, v1, vcc
	v_and_b32_e32 v6, 0xffff, v7
	s_waitcnt lgkmcnt(0)
	v_lshlrev_b32_e32 v5, 2, v4
	ds_bpermute_b32 v10, v5, v6
	ds_bpermute_b32 v4, v5, v2
	;; [unrolled: 1-line block ×3, first 2 shown]
	s_min_u32 s8, s8, 0x100
	v_and_b32_e32 v9, 0xc0, v0
	v_sub_u32_e64 v9, s8, v9 clamp
	v_add_u32_e32 v11, 1, v8
	v_cmp_lt_u32_e32 vcc, v11, v9
	s_and_saveexec_b64 s[2:3], vcc
	s_cbranch_execz .LBB88_216
; %bb.215:
	s_waitcnt lgkmcnt(2)
	v_and_b32_e32 v11, 1, v10
	s_waitcnt lgkmcnt(0)
	v_cmp_lt_i64_e32 vcc, v[4:5], v[2:3]
	v_cmp_eq_u32_e64 s[0:1], 1, v11
	v_and_b32_e32 v6, 1, v7
	s_and_b64 vcc, s[0:1], vcc
	v_cndmask_b32_e64 v7, v7, 1, s[0:1]
	v_cndmask_b32_e32 v2, v2, v4, vcc
	v_cndmask_b32_e32 v3, v3, v5, vcc
	v_cmp_eq_u32_e32 vcc, 1, v6
	v_cndmask_b32_e32 v7, v10, v7, vcc
	v_cndmask_b32_e32 v3, v5, v3, vcc
	v_cndmask_b32_e32 v2, v4, v2, vcc
	v_and_b32_e32 v6, 0xff, v7
.LBB88_216:
	s_or_b64 exec, exec, s[2:3]
	v_cmp_gt_u32_e32 vcc, 62, v8
	s_waitcnt lgkmcnt(1)
	v_cndmask_b32_e64 v4, 0, 1, vcc
	v_lshlrev_b32_e32 v4, 1, v4
	s_waitcnt lgkmcnt(0)
	v_add_lshl_u32 v5, v4, v1, 2
	ds_bpermute_b32 v10, v5, v6
	ds_bpermute_b32 v4, v5, v2
	ds_bpermute_b32 v5, v5, v3
	v_add_u32_e32 v11, 2, v8
	v_cmp_lt_u32_e32 vcc, v11, v9
	s_and_saveexec_b64 s[2:3], vcc
	s_cbranch_execz .LBB88_218
; %bb.217:
	s_waitcnt lgkmcnt(2)
	v_and_b32_e32 v11, 1, v10
	s_waitcnt lgkmcnt(0)
	v_cmp_lt_i64_e32 vcc, v[4:5], v[2:3]
	v_cmp_eq_u32_e64 s[0:1], 1, v11
	v_and_b32_e32 v6, 1, v7
	s_and_b64 vcc, s[0:1], vcc
	v_cndmask_b32_e64 v7, v7, 1, s[0:1]
	v_cndmask_b32_e32 v2, v2, v4, vcc
	v_cndmask_b32_e32 v3, v3, v5, vcc
	v_cmp_eq_u32_e32 vcc, 1, v6
	v_cndmask_b32_e32 v7, v10, v7, vcc
	v_cndmask_b32_e32 v3, v5, v3, vcc
	v_cndmask_b32_e32 v2, v4, v2, vcc
	v_and_b32_e32 v6, 0xff, v7
.LBB88_218:
	s_or_b64 exec, exec, s[2:3]
	v_cmp_gt_u32_e32 vcc, 60, v8
	s_waitcnt lgkmcnt(1)
	v_cndmask_b32_e64 v4, 0, 1, vcc
	v_lshlrev_b32_e32 v4, 2, v4
	s_waitcnt lgkmcnt(0)
	v_add_lshl_u32 v5, v4, v1, 2
	ds_bpermute_b32 v10, v5, v6
	ds_bpermute_b32 v4, v5, v2
	ds_bpermute_b32 v5, v5, v3
	;; [unrolled: 31-line block ×5, first 2 shown]
	v_add_u32_e32 v8, 32, v8
	v_cmp_lt_u32_e32 vcc, v8, v9
	s_and_saveexec_b64 s[2:3], vcc
	s_cbranch_execz .LBB88_226
; %bb.225:
	s_waitcnt lgkmcnt(2)
	v_and_b32_e32 v8, 1, v10
	s_waitcnt lgkmcnt(0)
	v_cmp_lt_i64_e32 vcc, v[4:5], v[2:3]
	v_cmp_eq_u32_e64 s[0:1], 1, v8
	v_and_b32_e32 v6, 1, v7
	s_and_b64 vcc, s[0:1], vcc
	v_cndmask_b32_e64 v7, v7, 1, s[0:1]
	v_cndmask_b32_e32 v2, v2, v4, vcc
	v_cndmask_b32_e32 v3, v3, v5, vcc
	v_cmp_eq_u32_e32 vcc, 1, v6
	v_cndmask_b32_e32 v7, v10, v7, vcc
	v_cndmask_b32_e32 v3, v5, v3, vcc
	;; [unrolled: 1-line block ×3, first 2 shown]
	v_and_b32_e32 v6, 0xff, v7
.LBB88_226:
	s_or_b64 exec, exec, s[2:3]
	v_cmp_eq_u32_e32 vcc, 0, v1
	s_and_saveexec_b64 s[0:1], vcc
	s_cbranch_execz .LBB88_228
; %bb.227:
	s_waitcnt lgkmcnt(1)
	v_lshrrev_b32_e32 v4, 2, v0
	v_and_b32_e32 v4, 48, v4
	ds_write_b8 v4, v7 offset:256
	ds_write_b64 v4, v[2:3] offset:264
.LBB88_228:
	s_or_b64 exec, exec, s[0:1]
	v_cmp_gt_u32_e32 vcc, 4, v0
	s_waitcnt lgkmcnt(0)
	s_barrier
	s_and_saveexec_b64 s[2:3], vcc
	s_cbranch_execz .LBB88_234
; %bb.229:
	v_lshlrev_b32_e32 v2, 4, v1
	ds_read_u8 v7, v2 offset:256
	ds_read_b64 v[2:3], v2 offset:264
	v_and_b32_e32 v8, 3, v1
	v_cmp_ne_u32_e32 vcc, 3, v8
	v_addc_co_u32_e32 v4, vcc, 0, v1, vcc
	s_waitcnt lgkmcnt(1)
	v_and_b32_e32 v6, 0xff, v7
	v_lshlrev_b32_e32 v5, 2, v4
	ds_bpermute_b32 v9, v5, v6
	s_waitcnt lgkmcnt(1)
	ds_bpermute_b32 v4, v5, v2
	ds_bpermute_b32 v5, v5, v3
	s_add_i32 s8, s8, 63
	s_lshr_b32 s12, s8, 6
	v_add_u32_e32 v10, 1, v8
	v_cmp_gt_u32_e32 vcc, s12, v10
	s_and_saveexec_b64 s[8:9], vcc
	s_cbranch_execz .LBB88_231
; %bb.230:
	s_waitcnt lgkmcnt(2)
	v_and_b32_e32 v10, 1, v9
	s_waitcnt lgkmcnt(0)
	v_cmp_lt_i64_e32 vcc, v[4:5], v[2:3]
	v_cmp_eq_u32_e64 s[0:1], 1, v10
	v_and_b32_e32 v6, 1, v7
	s_and_b64 vcc, s[0:1], vcc
	v_cndmask_b32_e64 v7, v7, 1, s[0:1]
	v_cndmask_b32_e32 v2, v2, v4, vcc
	v_cndmask_b32_e32 v3, v3, v5, vcc
	v_cmp_eq_u32_e32 vcc, 1, v6
	v_cndmask_b32_e32 v7, v9, v7, vcc
	v_cndmask_b32_e32 v3, v5, v3, vcc
	;; [unrolled: 1-line block ×3, first 2 shown]
	v_and_b32_e32 v6, 0xff, v7
.LBB88_231:
	s_or_b64 exec, exec, s[8:9]
	v_cmp_gt_u32_e32 vcc, 2, v8
	s_waitcnt lgkmcnt(1)
	v_cndmask_b32_e64 v4, 0, 1, vcc
	v_lshlrev_b32_e32 v4, 1, v4
	s_waitcnt lgkmcnt(0)
	v_add_lshl_u32 v5, v4, v1, 2
	ds_bpermute_b32 v1, v5, v6
	ds_bpermute_b32 v4, v5, v2
	;; [unrolled: 1-line block ×3, first 2 shown]
	v_add_u32_e32 v8, 2, v8
	v_cmp_gt_u32_e32 vcc, s12, v8
	s_and_saveexec_b64 s[8:9], vcc
	s_cbranch_execz .LBB88_233
; %bb.232:
	s_waitcnt lgkmcnt(2)
	v_and_b32_e32 v8, 1, v1
	s_waitcnt lgkmcnt(0)
	v_cmp_lt_i64_e32 vcc, v[4:5], v[2:3]
	v_cmp_eq_u32_e64 s[0:1], 1, v8
	v_and_b32_e32 v6, 1, v7
	s_and_b64 vcc, s[0:1], vcc
	v_cndmask_b32_e64 v7, v7, 1, s[0:1]
	v_cndmask_b32_e32 v2, v2, v4, vcc
	v_cndmask_b32_e32 v3, v3, v5, vcc
	v_cmp_eq_u32_e32 vcc, 1, v6
	v_cndmask_b32_e32 v1, v1, v7, vcc
	v_cndmask_b32_e32 v3, v5, v3, vcc
	;; [unrolled: 1-line block ×3, first 2 shown]
	v_and_b32_e32 v6, 0xff, v1
.LBB88_233:
	s_or_b64 exec, exec, s[8:9]
.LBB88_234:
	s_or_b64 exec, exec, s[2:3]
.LBB88_235:
	v_cmp_eq_u32_e32 vcc, 0, v0
                                        ; implicit-def: $vgpr4_vgpr5
                                        ; implicit-def: $vgpr1
	s_and_saveexec_b64 s[8:9], vcc
	s_cbranch_execz .LBB88_239
; %bb.236:
	s_cmp_eq_u64 s[22:23], 0
	s_waitcnt lgkmcnt(0)
	v_pk_mov_b32 v[4:5], s[18:19], s[18:19] op_sel:[0,1]
	v_mov_b32_e32 v1, s33
	s_cbranch_scc1 .LBB88_238
; %bb.237:
	v_and_b32_e32 v0, 1, v6
	s_bitcmp1_b32 s33, 0
	v_mov_b32_e32 v1, s33
	v_cmp_eq_u32_e32 vcc, 1, v0
	v_cmp_gt_i64_e64 s[2:3], s[18:19], v[2:3]
	v_cndmask_b32_e64 v0, v1, 1, vcc
	s_cselect_b64 s[0:1], -1, 0
	v_mov_b32_e32 v1, s18
	s_and_b64 vcc, vcc, s[2:3]
	v_cndmask_b32_e32 v4, v1, v2, vcc
	v_mov_b32_e32 v1, s19
	v_cndmask_b32_e32 v5, v1, v3, vcc
	v_cndmask_b32_e64 v1, v6, v0, s[0:1]
	v_cndmask_b32_e64 v5, v3, v5, s[0:1]
	;; [unrolled: 1-line block ×3, first 2 shown]
.LBB88_238:
	s_or_b64 s[10:11], s[10:11], exec
.LBB88_239:
	s_or_b64 exec, exec, s[8:9]
	s_and_saveexec_b64 s[0:1], s[10:11]
	s_cbranch_execnz .LBB88_209
	s_branch .LBB88_210
.LBB88_240:
	v_lshlrev_b32_e32 v10, 2, v25
	global_load_dword v21, v10, s[16:17]
	global_load_dword v26, v10, s[30:31]
	v_mov_b32_e32 v11, s38
	v_add_co_u32_e64 v10, s[16:17], s37, v25
	v_addc_co_u32_e64 v11, s[16:17], 0, v11, s[16:17]
	s_waitcnt vmcnt(0)
	v_cmp_neq_f32_e64 s[16:17], v21, v26
	v_cndmask_b32_e64 v21, 0, 1, s[16:17]
	s_or_b64 exec, exec, s[34:35]
	s_and_saveexec_b64 s[30:31], s[8:9]
	s_cbranch_execz .LBB88_61
.LBB88_241:
	v_and_b32_e32 v26, 1, v18
	v_cmp_lt_i64_e64 s[8:9], v[4:5], v[2:3]
	v_cmp_eq_u32_e64 s[16:17], 1, v26
	v_and_b32_e32 v25, 1, v1
	s_and_b64 s[8:9], s[16:17], s[8:9]
	v_cndmask_b32_e64 v1, v1, 1, s[16:17]
	v_cndmask_b32_e64 v2, v2, v4, s[8:9]
	;; [unrolled: 1-line block ×3, first 2 shown]
	v_cmp_eq_u32_e64 s[8:9], 1, v25
	v_cndmask_b32_e64 v1, v18, v1, s[8:9]
	v_cndmask_b32_e64 v3, v5, v3, s[8:9]
	;; [unrolled: 1-line block ×3, first 2 shown]
	s_or_b64 exec, exec, s[30:31]
	s_and_saveexec_b64 s[16:17], vcc
	s_cbranch_execz .LBB88_62
.LBB88_242:
	v_and_b32_e32 v5, 1, v23
	v_cmp_lt_i64_e32 vcc, v[12:13], v[2:3]
	v_cmp_eq_u32_e64 s[8:9], 1, v5
	v_and_b32_e32 v4, 1, v1
	s_and_b64 vcc, s[8:9], vcc
	v_cndmask_b32_e64 v1, v1, 1, s[8:9]
	v_cndmask_b32_e32 v2, v2, v12, vcc
	v_cndmask_b32_e32 v3, v3, v13, vcc
	v_cmp_eq_u32_e32 vcc, 1, v4
	v_cndmask_b32_e32 v1, v23, v1, vcc
	v_cndmask_b32_e32 v3, v13, v3, vcc
	;; [unrolled: 1-line block ×3, first 2 shown]
	s_or_b64 exec, exec, s[16:17]
	s_and_saveexec_b64 s[16:17], s[10:11]
	s_cbranch_execz .LBB88_63
.LBB88_243:
	v_and_b32_e32 v5, 1, v19
	v_cmp_lt_i64_e32 vcc, v[6:7], v[2:3]
	v_cmp_eq_u32_e64 s[8:9], 1, v5
	v_and_b32_e32 v4, 1, v1
	s_and_b64 vcc, s[8:9], vcc
	v_cndmask_b32_e64 v1, v1, 1, s[8:9]
	v_cndmask_b32_e32 v2, v2, v6, vcc
	v_cndmask_b32_e32 v3, v3, v7, vcc
	v_cmp_eq_u32_e32 vcc, 1, v4
	v_cndmask_b32_e32 v1, v19, v1, vcc
	v_cndmask_b32_e32 v3, v7, v3, vcc
	;; [unrolled: 1-line block ×3, first 2 shown]
	s_or_b64 exec, exec, s[16:17]
	s_and_saveexec_b64 s[8:9], s[0:1]
	s_cbranch_execz .LBB88_64
.LBB88_244:
	v_and_b32_e32 v5, 1, v24
	v_cmp_lt_i64_e32 vcc, v[14:15], v[2:3]
	v_cmp_eq_u32_e64 s[0:1], 1, v5
	v_and_b32_e32 v4, 1, v1
	s_and_b64 vcc, s[0:1], vcc
	v_cndmask_b32_e64 v1, v1, 1, s[0:1]
	v_cndmask_b32_e32 v2, v2, v14, vcc
	v_cndmask_b32_e32 v3, v3, v15, vcc
	v_cmp_eq_u32_e32 vcc, 1, v4
	v_cndmask_b32_e32 v1, v24, v1, vcc
	v_cndmask_b32_e32 v3, v15, v3, vcc
	v_cndmask_b32_e32 v2, v14, v2, vcc
	s_or_b64 exec, exec, s[8:9]
	s_and_saveexec_b64 s[8:9], s[12:13]
	s_cbranch_execz .LBB88_65
.LBB88_245:
	v_and_b32_e32 v5, 1, v20
	v_cmp_lt_i64_e32 vcc, v[8:9], v[2:3]
	v_cmp_eq_u32_e64 s[0:1], 1, v5
	v_and_b32_e32 v4, 1, v1
	s_and_b64 vcc, s[0:1], vcc
	v_cndmask_b32_e64 v1, v1, 1, s[0:1]
	v_cndmask_b32_e32 v2, v2, v8, vcc
	v_cndmask_b32_e32 v3, v3, v9, vcc
	v_cmp_eq_u32_e32 vcc, 1, v4
	v_cndmask_b32_e32 v1, v20, v1, vcc
	v_cndmask_b32_e32 v3, v9, v3, vcc
	;; [unrolled: 1-line block ×3, first 2 shown]
	s_or_b64 exec, exec, s[8:9]
	s_and_saveexec_b64 s[8:9], s[2:3]
	s_cbranch_execz .LBB88_66
.LBB88_246:
	v_and_b32_e32 v5, 1, v22
	v_cmp_lt_i64_e32 vcc, v[16:17], v[2:3]
	v_cmp_eq_u32_e64 s[0:1], 1, v5
	v_and_b32_e32 v4, 1, v1
	s_and_b64 vcc, s[0:1], vcc
	v_cndmask_b32_e64 v1, v1, 1, s[0:1]
	v_cndmask_b32_e32 v2, v2, v16, vcc
	v_cndmask_b32_e32 v3, v3, v17, vcc
	v_cmp_eq_u32_e32 vcc, 1, v4
	v_cndmask_b32_e32 v1, v22, v1, vcc
	v_cndmask_b32_e32 v3, v17, v3, vcc
	v_cndmask_b32_e32 v2, v16, v2, vcc
	s_or_b64 exec, exec, s[8:9]
	s_and_saveexec_b64 s[2:3], s[14:15]
	s_cbranch_execnz .LBB88_67
	s_branch .LBB88_68
.LBB88_247:
	v_lshlrev_b32_e32 v6, 2, v0
	global_load_dword v11, v6, s[12:13] offset:3072
	global_load_dword v14, v6, s[14:15] offset:3072
	v_mov_b32_e32 v7, s29
	v_add_co_u32_e64 v6, s[8:9], s28, v13
	v_addc_co_u32_e64 v7, s[8:9], 0, v7, s[8:9]
	s_waitcnt vmcnt(0)
	v_cmp_neq_f32_e64 s[8:9], v11, v14
	v_cndmask_b32_e64 v11, 0, 1, s[8:9]
	s_or_b64 exec, exec, s[16:17]
	s_and_saveexec_b64 s[12:13], s[0:1]
	s_cbranch_execz .LBB88_104
.LBB88_248:
	v_and_b32_e32 v14, 1, v1
	v_cmp_lt_i64_e64 s[0:1], v[4:5], v[2:3]
	v_cmp_eq_u32_e64 s[8:9], 1, v14
	v_and_b32_e32 v13, 1, v10
	s_and_b64 s[0:1], s[8:9], s[0:1]
	v_cndmask_b32_e64 v10, v10, 1, s[8:9]
	v_cndmask_b32_e64 v2, v2, v4, s[0:1]
	;; [unrolled: 1-line block ×3, first 2 shown]
	v_cmp_eq_u32_e64 s[0:1], 1, v13
	v_cndmask_b32_e64 v10, v1, v10, s[0:1]
	v_cndmask_b32_e64 v3, v5, v3, s[0:1]
	;; [unrolled: 1-line block ×3, first 2 shown]
	s_or_b64 exec, exec, s[12:13]
	s_and_saveexec_b64 s[8:9], vcc
	s_cbranch_execz .LBB88_105
.LBB88_249:
	v_and_b32_e32 v4, 1, v12
	v_cmp_lt_i64_e32 vcc, v[8:9], v[2:3]
	v_cmp_eq_u32_e64 s[0:1], 1, v4
	v_and_b32_e32 v1, 1, v10
	s_and_b64 vcc, s[0:1], vcc
	v_cndmask_b32_e64 v4, v10, 1, s[0:1]
	v_cndmask_b32_e32 v2, v2, v8, vcc
	v_cndmask_b32_e32 v3, v3, v9, vcc
	v_cmp_eq_u32_e32 vcc, 1, v1
	v_cndmask_b32_e32 v10, v12, v4, vcc
	v_cndmask_b32_e32 v3, v9, v3, vcc
	;; [unrolled: 1-line block ×3, first 2 shown]
	s_or_b64 exec, exec, s[8:9]
	s_and_saveexec_b64 s[8:9], s[2:3]
	s_cbranch_execnz .LBB88_106
	s_branch .LBB88_107
	.section	.rodata,"a",@progbits
	.p2align	6, 0x0
	.amdhsa_kernel _ZN7rocprim17ROCPRIM_400000_NS6detail17trampoline_kernelINS0_14default_configENS1_22reduce_config_selectorIN6thrust23THRUST_200600_302600_NS5tupleIblNS6_9null_typeES8_S8_S8_S8_S8_S8_S8_EEEEZNS1_11reduce_implILb1ES3_NS6_12zip_iteratorINS7_INS6_11hip_rocprim26transform_input_iterator_tIbNSD_35transform_pair_of_input_iterators_tIbNS6_6detail15normal_iteratorINS6_10device_ptrIKfEEEESL_NS6_8equal_toIfEEEENSG_9not_fun_tINSD_8identityEEEEENSD_19counting_iterator_tIlEES8_S8_S8_S8_S8_S8_S8_S8_EEEEPS9_S9_NSD_9__find_if7functorIS9_EEEE10hipError_tPvRmT1_T2_T3_mT4_P12ihipStream_tbEUlT_E1_NS1_11comp_targetILNS1_3genE4ELNS1_11target_archE910ELNS1_3gpuE8ELNS1_3repE0EEENS1_30default_config_static_selectorELNS0_4arch9wavefront6targetE1EEEvS14_
		.amdhsa_group_segment_fixed_size 320
		.amdhsa_private_segment_fixed_size 0
		.amdhsa_kernarg_size 88
		.amdhsa_user_sgpr_count 6
		.amdhsa_user_sgpr_private_segment_buffer 1
		.amdhsa_user_sgpr_dispatch_ptr 0
		.amdhsa_user_sgpr_queue_ptr 0
		.amdhsa_user_sgpr_kernarg_segment_ptr 1
		.amdhsa_user_sgpr_dispatch_id 0
		.amdhsa_user_sgpr_flat_scratch_init 0
		.amdhsa_user_sgpr_kernarg_preload_length 0
		.amdhsa_user_sgpr_kernarg_preload_offset 0
		.amdhsa_user_sgpr_private_segment_size 0
		.amdhsa_uses_dynamic_stack 0
		.amdhsa_system_sgpr_private_segment_wavefront_offset 0
		.amdhsa_system_sgpr_workgroup_id_x 1
		.amdhsa_system_sgpr_workgroup_id_y 0
		.amdhsa_system_sgpr_workgroup_id_z 0
		.amdhsa_system_sgpr_workgroup_info 0
		.amdhsa_system_vgpr_workitem_id 0
		.amdhsa_next_free_vgpr 27
		.amdhsa_next_free_sgpr 40
		.amdhsa_accum_offset 28
		.amdhsa_reserve_vcc 1
		.amdhsa_reserve_flat_scratch 0
		.amdhsa_float_round_mode_32 0
		.amdhsa_float_round_mode_16_64 0
		.amdhsa_float_denorm_mode_32 3
		.amdhsa_float_denorm_mode_16_64 3
		.amdhsa_dx10_clamp 1
		.amdhsa_ieee_mode 1
		.amdhsa_fp16_overflow 0
		.amdhsa_tg_split 0
		.amdhsa_exception_fp_ieee_invalid_op 0
		.amdhsa_exception_fp_denorm_src 0
		.amdhsa_exception_fp_ieee_div_zero 0
		.amdhsa_exception_fp_ieee_overflow 0
		.amdhsa_exception_fp_ieee_underflow 0
		.amdhsa_exception_fp_ieee_inexact 0
		.amdhsa_exception_int_div_zero 0
	.end_amdhsa_kernel
	.section	.text._ZN7rocprim17ROCPRIM_400000_NS6detail17trampoline_kernelINS0_14default_configENS1_22reduce_config_selectorIN6thrust23THRUST_200600_302600_NS5tupleIblNS6_9null_typeES8_S8_S8_S8_S8_S8_S8_EEEEZNS1_11reduce_implILb1ES3_NS6_12zip_iteratorINS7_INS6_11hip_rocprim26transform_input_iterator_tIbNSD_35transform_pair_of_input_iterators_tIbNS6_6detail15normal_iteratorINS6_10device_ptrIKfEEEESL_NS6_8equal_toIfEEEENSG_9not_fun_tINSD_8identityEEEEENSD_19counting_iterator_tIlEES8_S8_S8_S8_S8_S8_S8_S8_EEEEPS9_S9_NSD_9__find_if7functorIS9_EEEE10hipError_tPvRmT1_T2_T3_mT4_P12ihipStream_tbEUlT_E1_NS1_11comp_targetILNS1_3genE4ELNS1_11target_archE910ELNS1_3gpuE8ELNS1_3repE0EEENS1_30default_config_static_selectorELNS0_4arch9wavefront6targetE1EEEvS14_,"axG",@progbits,_ZN7rocprim17ROCPRIM_400000_NS6detail17trampoline_kernelINS0_14default_configENS1_22reduce_config_selectorIN6thrust23THRUST_200600_302600_NS5tupleIblNS6_9null_typeES8_S8_S8_S8_S8_S8_S8_EEEEZNS1_11reduce_implILb1ES3_NS6_12zip_iteratorINS7_INS6_11hip_rocprim26transform_input_iterator_tIbNSD_35transform_pair_of_input_iterators_tIbNS6_6detail15normal_iteratorINS6_10device_ptrIKfEEEESL_NS6_8equal_toIfEEEENSG_9not_fun_tINSD_8identityEEEEENSD_19counting_iterator_tIlEES8_S8_S8_S8_S8_S8_S8_S8_EEEEPS9_S9_NSD_9__find_if7functorIS9_EEEE10hipError_tPvRmT1_T2_T3_mT4_P12ihipStream_tbEUlT_E1_NS1_11comp_targetILNS1_3genE4ELNS1_11target_archE910ELNS1_3gpuE8ELNS1_3repE0EEENS1_30default_config_static_selectorELNS0_4arch9wavefront6targetE1EEEvS14_,comdat
.Lfunc_end88:
	.size	_ZN7rocprim17ROCPRIM_400000_NS6detail17trampoline_kernelINS0_14default_configENS1_22reduce_config_selectorIN6thrust23THRUST_200600_302600_NS5tupleIblNS6_9null_typeES8_S8_S8_S8_S8_S8_S8_EEEEZNS1_11reduce_implILb1ES3_NS6_12zip_iteratorINS7_INS6_11hip_rocprim26transform_input_iterator_tIbNSD_35transform_pair_of_input_iterators_tIbNS6_6detail15normal_iteratorINS6_10device_ptrIKfEEEESL_NS6_8equal_toIfEEEENSG_9not_fun_tINSD_8identityEEEEENSD_19counting_iterator_tIlEES8_S8_S8_S8_S8_S8_S8_S8_EEEEPS9_S9_NSD_9__find_if7functorIS9_EEEE10hipError_tPvRmT1_T2_T3_mT4_P12ihipStream_tbEUlT_E1_NS1_11comp_targetILNS1_3genE4ELNS1_11target_archE910ELNS1_3gpuE8ELNS1_3repE0EEENS1_30default_config_static_selectorELNS0_4arch9wavefront6targetE1EEEvS14_, .Lfunc_end88-_ZN7rocprim17ROCPRIM_400000_NS6detail17trampoline_kernelINS0_14default_configENS1_22reduce_config_selectorIN6thrust23THRUST_200600_302600_NS5tupleIblNS6_9null_typeES8_S8_S8_S8_S8_S8_S8_EEEEZNS1_11reduce_implILb1ES3_NS6_12zip_iteratorINS7_INS6_11hip_rocprim26transform_input_iterator_tIbNSD_35transform_pair_of_input_iterators_tIbNS6_6detail15normal_iteratorINS6_10device_ptrIKfEEEESL_NS6_8equal_toIfEEEENSG_9not_fun_tINSD_8identityEEEEENSD_19counting_iterator_tIlEES8_S8_S8_S8_S8_S8_S8_S8_EEEEPS9_S9_NSD_9__find_if7functorIS9_EEEE10hipError_tPvRmT1_T2_T3_mT4_P12ihipStream_tbEUlT_E1_NS1_11comp_targetILNS1_3genE4ELNS1_11target_archE910ELNS1_3gpuE8ELNS1_3repE0EEENS1_30default_config_static_selectorELNS0_4arch9wavefront6targetE1EEEvS14_
                                        ; -- End function
	.section	.AMDGPU.csdata,"",@progbits
; Kernel info:
; codeLenInByte = 13144
; NumSgprs: 44
; NumVgprs: 27
; NumAgprs: 0
; TotalNumVgprs: 27
; ScratchSize: 0
; MemoryBound: 0
; FloatMode: 240
; IeeeMode: 1
; LDSByteSize: 320 bytes/workgroup (compile time only)
; SGPRBlocks: 5
; VGPRBlocks: 3
; NumSGPRsForWavesPerEU: 44
; NumVGPRsForWavesPerEU: 27
; AccumOffset: 28
; Occupancy: 8
; WaveLimiterHint : 0
; COMPUTE_PGM_RSRC2:SCRATCH_EN: 0
; COMPUTE_PGM_RSRC2:USER_SGPR: 6
; COMPUTE_PGM_RSRC2:TRAP_HANDLER: 0
; COMPUTE_PGM_RSRC2:TGID_X_EN: 1
; COMPUTE_PGM_RSRC2:TGID_Y_EN: 0
; COMPUTE_PGM_RSRC2:TGID_Z_EN: 0
; COMPUTE_PGM_RSRC2:TIDIG_COMP_CNT: 0
; COMPUTE_PGM_RSRC3_GFX90A:ACCUM_OFFSET: 6
; COMPUTE_PGM_RSRC3_GFX90A:TG_SPLIT: 0
	.section	.text._ZN7rocprim17ROCPRIM_400000_NS6detail17trampoline_kernelINS0_14default_configENS1_22reduce_config_selectorIN6thrust23THRUST_200600_302600_NS5tupleIblNS6_9null_typeES8_S8_S8_S8_S8_S8_S8_EEEEZNS1_11reduce_implILb1ES3_NS6_12zip_iteratorINS7_INS6_11hip_rocprim26transform_input_iterator_tIbNSD_35transform_pair_of_input_iterators_tIbNS6_6detail15normal_iteratorINS6_10device_ptrIKfEEEESL_NS6_8equal_toIfEEEENSG_9not_fun_tINSD_8identityEEEEENSD_19counting_iterator_tIlEES8_S8_S8_S8_S8_S8_S8_S8_EEEEPS9_S9_NSD_9__find_if7functorIS9_EEEE10hipError_tPvRmT1_T2_T3_mT4_P12ihipStream_tbEUlT_E1_NS1_11comp_targetILNS1_3genE3ELNS1_11target_archE908ELNS1_3gpuE7ELNS1_3repE0EEENS1_30default_config_static_selectorELNS0_4arch9wavefront6targetE1EEEvS14_,"axG",@progbits,_ZN7rocprim17ROCPRIM_400000_NS6detail17trampoline_kernelINS0_14default_configENS1_22reduce_config_selectorIN6thrust23THRUST_200600_302600_NS5tupleIblNS6_9null_typeES8_S8_S8_S8_S8_S8_S8_EEEEZNS1_11reduce_implILb1ES3_NS6_12zip_iteratorINS7_INS6_11hip_rocprim26transform_input_iterator_tIbNSD_35transform_pair_of_input_iterators_tIbNS6_6detail15normal_iteratorINS6_10device_ptrIKfEEEESL_NS6_8equal_toIfEEEENSG_9not_fun_tINSD_8identityEEEEENSD_19counting_iterator_tIlEES8_S8_S8_S8_S8_S8_S8_S8_EEEEPS9_S9_NSD_9__find_if7functorIS9_EEEE10hipError_tPvRmT1_T2_T3_mT4_P12ihipStream_tbEUlT_E1_NS1_11comp_targetILNS1_3genE3ELNS1_11target_archE908ELNS1_3gpuE7ELNS1_3repE0EEENS1_30default_config_static_selectorELNS0_4arch9wavefront6targetE1EEEvS14_,comdat
	.protected	_ZN7rocprim17ROCPRIM_400000_NS6detail17trampoline_kernelINS0_14default_configENS1_22reduce_config_selectorIN6thrust23THRUST_200600_302600_NS5tupleIblNS6_9null_typeES8_S8_S8_S8_S8_S8_S8_EEEEZNS1_11reduce_implILb1ES3_NS6_12zip_iteratorINS7_INS6_11hip_rocprim26transform_input_iterator_tIbNSD_35transform_pair_of_input_iterators_tIbNS6_6detail15normal_iteratorINS6_10device_ptrIKfEEEESL_NS6_8equal_toIfEEEENSG_9not_fun_tINSD_8identityEEEEENSD_19counting_iterator_tIlEES8_S8_S8_S8_S8_S8_S8_S8_EEEEPS9_S9_NSD_9__find_if7functorIS9_EEEE10hipError_tPvRmT1_T2_T3_mT4_P12ihipStream_tbEUlT_E1_NS1_11comp_targetILNS1_3genE3ELNS1_11target_archE908ELNS1_3gpuE7ELNS1_3repE0EEENS1_30default_config_static_selectorELNS0_4arch9wavefront6targetE1EEEvS14_ ; -- Begin function _ZN7rocprim17ROCPRIM_400000_NS6detail17trampoline_kernelINS0_14default_configENS1_22reduce_config_selectorIN6thrust23THRUST_200600_302600_NS5tupleIblNS6_9null_typeES8_S8_S8_S8_S8_S8_S8_EEEEZNS1_11reduce_implILb1ES3_NS6_12zip_iteratorINS7_INS6_11hip_rocprim26transform_input_iterator_tIbNSD_35transform_pair_of_input_iterators_tIbNS6_6detail15normal_iteratorINS6_10device_ptrIKfEEEESL_NS6_8equal_toIfEEEENSG_9not_fun_tINSD_8identityEEEEENSD_19counting_iterator_tIlEES8_S8_S8_S8_S8_S8_S8_S8_EEEEPS9_S9_NSD_9__find_if7functorIS9_EEEE10hipError_tPvRmT1_T2_T3_mT4_P12ihipStream_tbEUlT_E1_NS1_11comp_targetILNS1_3genE3ELNS1_11target_archE908ELNS1_3gpuE7ELNS1_3repE0EEENS1_30default_config_static_selectorELNS0_4arch9wavefront6targetE1EEEvS14_
	.globl	_ZN7rocprim17ROCPRIM_400000_NS6detail17trampoline_kernelINS0_14default_configENS1_22reduce_config_selectorIN6thrust23THRUST_200600_302600_NS5tupleIblNS6_9null_typeES8_S8_S8_S8_S8_S8_S8_EEEEZNS1_11reduce_implILb1ES3_NS6_12zip_iteratorINS7_INS6_11hip_rocprim26transform_input_iterator_tIbNSD_35transform_pair_of_input_iterators_tIbNS6_6detail15normal_iteratorINS6_10device_ptrIKfEEEESL_NS6_8equal_toIfEEEENSG_9not_fun_tINSD_8identityEEEEENSD_19counting_iterator_tIlEES8_S8_S8_S8_S8_S8_S8_S8_EEEEPS9_S9_NSD_9__find_if7functorIS9_EEEE10hipError_tPvRmT1_T2_T3_mT4_P12ihipStream_tbEUlT_E1_NS1_11comp_targetILNS1_3genE3ELNS1_11target_archE908ELNS1_3gpuE7ELNS1_3repE0EEENS1_30default_config_static_selectorELNS0_4arch9wavefront6targetE1EEEvS14_
	.p2align	8
	.type	_ZN7rocprim17ROCPRIM_400000_NS6detail17trampoline_kernelINS0_14default_configENS1_22reduce_config_selectorIN6thrust23THRUST_200600_302600_NS5tupleIblNS6_9null_typeES8_S8_S8_S8_S8_S8_S8_EEEEZNS1_11reduce_implILb1ES3_NS6_12zip_iteratorINS7_INS6_11hip_rocprim26transform_input_iterator_tIbNSD_35transform_pair_of_input_iterators_tIbNS6_6detail15normal_iteratorINS6_10device_ptrIKfEEEESL_NS6_8equal_toIfEEEENSG_9not_fun_tINSD_8identityEEEEENSD_19counting_iterator_tIlEES8_S8_S8_S8_S8_S8_S8_S8_EEEEPS9_S9_NSD_9__find_if7functorIS9_EEEE10hipError_tPvRmT1_T2_T3_mT4_P12ihipStream_tbEUlT_E1_NS1_11comp_targetILNS1_3genE3ELNS1_11target_archE908ELNS1_3gpuE7ELNS1_3repE0EEENS1_30default_config_static_selectorELNS0_4arch9wavefront6targetE1EEEvS14_,@function
_ZN7rocprim17ROCPRIM_400000_NS6detail17trampoline_kernelINS0_14default_configENS1_22reduce_config_selectorIN6thrust23THRUST_200600_302600_NS5tupleIblNS6_9null_typeES8_S8_S8_S8_S8_S8_S8_EEEEZNS1_11reduce_implILb1ES3_NS6_12zip_iteratorINS7_INS6_11hip_rocprim26transform_input_iterator_tIbNSD_35transform_pair_of_input_iterators_tIbNS6_6detail15normal_iteratorINS6_10device_ptrIKfEEEESL_NS6_8equal_toIfEEEENSG_9not_fun_tINSD_8identityEEEEENSD_19counting_iterator_tIlEES8_S8_S8_S8_S8_S8_S8_S8_EEEEPS9_S9_NSD_9__find_if7functorIS9_EEEE10hipError_tPvRmT1_T2_T3_mT4_P12ihipStream_tbEUlT_E1_NS1_11comp_targetILNS1_3genE3ELNS1_11target_archE908ELNS1_3gpuE7ELNS1_3repE0EEENS1_30default_config_static_selectorELNS0_4arch9wavefront6targetE1EEEvS14_: ; @_ZN7rocprim17ROCPRIM_400000_NS6detail17trampoline_kernelINS0_14default_configENS1_22reduce_config_selectorIN6thrust23THRUST_200600_302600_NS5tupleIblNS6_9null_typeES8_S8_S8_S8_S8_S8_S8_EEEEZNS1_11reduce_implILb1ES3_NS6_12zip_iteratorINS7_INS6_11hip_rocprim26transform_input_iterator_tIbNSD_35transform_pair_of_input_iterators_tIbNS6_6detail15normal_iteratorINS6_10device_ptrIKfEEEESL_NS6_8equal_toIfEEEENSG_9not_fun_tINSD_8identityEEEEENSD_19counting_iterator_tIlEES8_S8_S8_S8_S8_S8_S8_S8_EEEEPS9_S9_NSD_9__find_if7functorIS9_EEEE10hipError_tPvRmT1_T2_T3_mT4_P12ihipStream_tbEUlT_E1_NS1_11comp_targetILNS1_3genE3ELNS1_11target_archE908ELNS1_3gpuE7ELNS1_3repE0EEENS1_30default_config_static_selectorELNS0_4arch9wavefront6targetE1EEEvS14_
; %bb.0:
	.section	.rodata,"a",@progbits
	.p2align	6, 0x0
	.amdhsa_kernel _ZN7rocprim17ROCPRIM_400000_NS6detail17trampoline_kernelINS0_14default_configENS1_22reduce_config_selectorIN6thrust23THRUST_200600_302600_NS5tupleIblNS6_9null_typeES8_S8_S8_S8_S8_S8_S8_EEEEZNS1_11reduce_implILb1ES3_NS6_12zip_iteratorINS7_INS6_11hip_rocprim26transform_input_iterator_tIbNSD_35transform_pair_of_input_iterators_tIbNS6_6detail15normal_iteratorINS6_10device_ptrIKfEEEESL_NS6_8equal_toIfEEEENSG_9not_fun_tINSD_8identityEEEEENSD_19counting_iterator_tIlEES8_S8_S8_S8_S8_S8_S8_S8_EEEEPS9_S9_NSD_9__find_if7functorIS9_EEEE10hipError_tPvRmT1_T2_T3_mT4_P12ihipStream_tbEUlT_E1_NS1_11comp_targetILNS1_3genE3ELNS1_11target_archE908ELNS1_3gpuE7ELNS1_3repE0EEENS1_30default_config_static_selectorELNS0_4arch9wavefront6targetE1EEEvS14_
		.amdhsa_group_segment_fixed_size 0
		.amdhsa_private_segment_fixed_size 0
		.amdhsa_kernarg_size 88
		.amdhsa_user_sgpr_count 6
		.amdhsa_user_sgpr_private_segment_buffer 1
		.amdhsa_user_sgpr_dispatch_ptr 0
		.amdhsa_user_sgpr_queue_ptr 0
		.amdhsa_user_sgpr_kernarg_segment_ptr 1
		.amdhsa_user_sgpr_dispatch_id 0
		.amdhsa_user_sgpr_flat_scratch_init 0
		.amdhsa_user_sgpr_kernarg_preload_length 0
		.amdhsa_user_sgpr_kernarg_preload_offset 0
		.amdhsa_user_sgpr_private_segment_size 0
		.amdhsa_uses_dynamic_stack 0
		.amdhsa_system_sgpr_private_segment_wavefront_offset 0
		.amdhsa_system_sgpr_workgroup_id_x 1
		.amdhsa_system_sgpr_workgroup_id_y 0
		.amdhsa_system_sgpr_workgroup_id_z 0
		.amdhsa_system_sgpr_workgroup_info 0
		.amdhsa_system_vgpr_workitem_id 0
		.amdhsa_next_free_vgpr 1
		.amdhsa_next_free_sgpr 0
		.amdhsa_accum_offset 4
		.amdhsa_reserve_vcc 0
		.amdhsa_reserve_flat_scratch 0
		.amdhsa_float_round_mode_32 0
		.amdhsa_float_round_mode_16_64 0
		.amdhsa_float_denorm_mode_32 3
		.amdhsa_float_denorm_mode_16_64 3
		.amdhsa_dx10_clamp 1
		.amdhsa_ieee_mode 1
		.amdhsa_fp16_overflow 0
		.amdhsa_tg_split 0
		.amdhsa_exception_fp_ieee_invalid_op 0
		.amdhsa_exception_fp_denorm_src 0
		.amdhsa_exception_fp_ieee_div_zero 0
		.amdhsa_exception_fp_ieee_overflow 0
		.amdhsa_exception_fp_ieee_underflow 0
		.amdhsa_exception_fp_ieee_inexact 0
		.amdhsa_exception_int_div_zero 0
	.end_amdhsa_kernel
	.section	.text._ZN7rocprim17ROCPRIM_400000_NS6detail17trampoline_kernelINS0_14default_configENS1_22reduce_config_selectorIN6thrust23THRUST_200600_302600_NS5tupleIblNS6_9null_typeES8_S8_S8_S8_S8_S8_S8_EEEEZNS1_11reduce_implILb1ES3_NS6_12zip_iteratorINS7_INS6_11hip_rocprim26transform_input_iterator_tIbNSD_35transform_pair_of_input_iterators_tIbNS6_6detail15normal_iteratorINS6_10device_ptrIKfEEEESL_NS6_8equal_toIfEEEENSG_9not_fun_tINSD_8identityEEEEENSD_19counting_iterator_tIlEES8_S8_S8_S8_S8_S8_S8_S8_EEEEPS9_S9_NSD_9__find_if7functorIS9_EEEE10hipError_tPvRmT1_T2_T3_mT4_P12ihipStream_tbEUlT_E1_NS1_11comp_targetILNS1_3genE3ELNS1_11target_archE908ELNS1_3gpuE7ELNS1_3repE0EEENS1_30default_config_static_selectorELNS0_4arch9wavefront6targetE1EEEvS14_,"axG",@progbits,_ZN7rocprim17ROCPRIM_400000_NS6detail17trampoline_kernelINS0_14default_configENS1_22reduce_config_selectorIN6thrust23THRUST_200600_302600_NS5tupleIblNS6_9null_typeES8_S8_S8_S8_S8_S8_S8_EEEEZNS1_11reduce_implILb1ES3_NS6_12zip_iteratorINS7_INS6_11hip_rocprim26transform_input_iterator_tIbNSD_35transform_pair_of_input_iterators_tIbNS6_6detail15normal_iteratorINS6_10device_ptrIKfEEEESL_NS6_8equal_toIfEEEENSG_9not_fun_tINSD_8identityEEEEENSD_19counting_iterator_tIlEES8_S8_S8_S8_S8_S8_S8_S8_EEEEPS9_S9_NSD_9__find_if7functorIS9_EEEE10hipError_tPvRmT1_T2_T3_mT4_P12ihipStream_tbEUlT_E1_NS1_11comp_targetILNS1_3genE3ELNS1_11target_archE908ELNS1_3gpuE7ELNS1_3repE0EEENS1_30default_config_static_selectorELNS0_4arch9wavefront6targetE1EEEvS14_,comdat
.Lfunc_end89:
	.size	_ZN7rocprim17ROCPRIM_400000_NS6detail17trampoline_kernelINS0_14default_configENS1_22reduce_config_selectorIN6thrust23THRUST_200600_302600_NS5tupleIblNS6_9null_typeES8_S8_S8_S8_S8_S8_S8_EEEEZNS1_11reduce_implILb1ES3_NS6_12zip_iteratorINS7_INS6_11hip_rocprim26transform_input_iterator_tIbNSD_35transform_pair_of_input_iterators_tIbNS6_6detail15normal_iteratorINS6_10device_ptrIKfEEEESL_NS6_8equal_toIfEEEENSG_9not_fun_tINSD_8identityEEEEENSD_19counting_iterator_tIlEES8_S8_S8_S8_S8_S8_S8_S8_EEEEPS9_S9_NSD_9__find_if7functorIS9_EEEE10hipError_tPvRmT1_T2_T3_mT4_P12ihipStream_tbEUlT_E1_NS1_11comp_targetILNS1_3genE3ELNS1_11target_archE908ELNS1_3gpuE7ELNS1_3repE0EEENS1_30default_config_static_selectorELNS0_4arch9wavefront6targetE1EEEvS14_, .Lfunc_end89-_ZN7rocprim17ROCPRIM_400000_NS6detail17trampoline_kernelINS0_14default_configENS1_22reduce_config_selectorIN6thrust23THRUST_200600_302600_NS5tupleIblNS6_9null_typeES8_S8_S8_S8_S8_S8_S8_EEEEZNS1_11reduce_implILb1ES3_NS6_12zip_iteratorINS7_INS6_11hip_rocprim26transform_input_iterator_tIbNSD_35transform_pair_of_input_iterators_tIbNS6_6detail15normal_iteratorINS6_10device_ptrIKfEEEESL_NS6_8equal_toIfEEEENSG_9not_fun_tINSD_8identityEEEEENSD_19counting_iterator_tIlEES8_S8_S8_S8_S8_S8_S8_S8_EEEEPS9_S9_NSD_9__find_if7functorIS9_EEEE10hipError_tPvRmT1_T2_T3_mT4_P12ihipStream_tbEUlT_E1_NS1_11comp_targetILNS1_3genE3ELNS1_11target_archE908ELNS1_3gpuE7ELNS1_3repE0EEENS1_30default_config_static_selectorELNS0_4arch9wavefront6targetE1EEEvS14_
                                        ; -- End function
	.section	.AMDGPU.csdata,"",@progbits
; Kernel info:
; codeLenInByte = 0
; NumSgprs: 4
; NumVgprs: 0
; NumAgprs: 0
; TotalNumVgprs: 0
; ScratchSize: 0
; MemoryBound: 0
; FloatMode: 240
; IeeeMode: 1
; LDSByteSize: 0 bytes/workgroup (compile time only)
; SGPRBlocks: 0
; VGPRBlocks: 0
; NumSGPRsForWavesPerEU: 4
; NumVGPRsForWavesPerEU: 1
; AccumOffset: 4
; Occupancy: 8
; WaveLimiterHint : 0
; COMPUTE_PGM_RSRC2:SCRATCH_EN: 0
; COMPUTE_PGM_RSRC2:USER_SGPR: 6
; COMPUTE_PGM_RSRC2:TRAP_HANDLER: 0
; COMPUTE_PGM_RSRC2:TGID_X_EN: 1
; COMPUTE_PGM_RSRC2:TGID_Y_EN: 0
; COMPUTE_PGM_RSRC2:TGID_Z_EN: 0
; COMPUTE_PGM_RSRC2:TIDIG_COMP_CNT: 0
; COMPUTE_PGM_RSRC3_GFX90A:ACCUM_OFFSET: 0
; COMPUTE_PGM_RSRC3_GFX90A:TG_SPLIT: 0
	.section	.text._ZN7rocprim17ROCPRIM_400000_NS6detail17trampoline_kernelINS0_14default_configENS1_22reduce_config_selectorIN6thrust23THRUST_200600_302600_NS5tupleIblNS6_9null_typeES8_S8_S8_S8_S8_S8_S8_EEEEZNS1_11reduce_implILb1ES3_NS6_12zip_iteratorINS7_INS6_11hip_rocprim26transform_input_iterator_tIbNSD_35transform_pair_of_input_iterators_tIbNS6_6detail15normal_iteratorINS6_10device_ptrIKfEEEESL_NS6_8equal_toIfEEEENSG_9not_fun_tINSD_8identityEEEEENSD_19counting_iterator_tIlEES8_S8_S8_S8_S8_S8_S8_S8_EEEEPS9_S9_NSD_9__find_if7functorIS9_EEEE10hipError_tPvRmT1_T2_T3_mT4_P12ihipStream_tbEUlT_E1_NS1_11comp_targetILNS1_3genE2ELNS1_11target_archE906ELNS1_3gpuE6ELNS1_3repE0EEENS1_30default_config_static_selectorELNS0_4arch9wavefront6targetE1EEEvS14_,"axG",@progbits,_ZN7rocprim17ROCPRIM_400000_NS6detail17trampoline_kernelINS0_14default_configENS1_22reduce_config_selectorIN6thrust23THRUST_200600_302600_NS5tupleIblNS6_9null_typeES8_S8_S8_S8_S8_S8_S8_EEEEZNS1_11reduce_implILb1ES3_NS6_12zip_iteratorINS7_INS6_11hip_rocprim26transform_input_iterator_tIbNSD_35transform_pair_of_input_iterators_tIbNS6_6detail15normal_iteratorINS6_10device_ptrIKfEEEESL_NS6_8equal_toIfEEEENSG_9not_fun_tINSD_8identityEEEEENSD_19counting_iterator_tIlEES8_S8_S8_S8_S8_S8_S8_S8_EEEEPS9_S9_NSD_9__find_if7functorIS9_EEEE10hipError_tPvRmT1_T2_T3_mT4_P12ihipStream_tbEUlT_E1_NS1_11comp_targetILNS1_3genE2ELNS1_11target_archE906ELNS1_3gpuE6ELNS1_3repE0EEENS1_30default_config_static_selectorELNS0_4arch9wavefront6targetE1EEEvS14_,comdat
	.protected	_ZN7rocprim17ROCPRIM_400000_NS6detail17trampoline_kernelINS0_14default_configENS1_22reduce_config_selectorIN6thrust23THRUST_200600_302600_NS5tupleIblNS6_9null_typeES8_S8_S8_S8_S8_S8_S8_EEEEZNS1_11reduce_implILb1ES3_NS6_12zip_iteratorINS7_INS6_11hip_rocprim26transform_input_iterator_tIbNSD_35transform_pair_of_input_iterators_tIbNS6_6detail15normal_iteratorINS6_10device_ptrIKfEEEESL_NS6_8equal_toIfEEEENSG_9not_fun_tINSD_8identityEEEEENSD_19counting_iterator_tIlEES8_S8_S8_S8_S8_S8_S8_S8_EEEEPS9_S9_NSD_9__find_if7functorIS9_EEEE10hipError_tPvRmT1_T2_T3_mT4_P12ihipStream_tbEUlT_E1_NS1_11comp_targetILNS1_3genE2ELNS1_11target_archE906ELNS1_3gpuE6ELNS1_3repE0EEENS1_30default_config_static_selectorELNS0_4arch9wavefront6targetE1EEEvS14_ ; -- Begin function _ZN7rocprim17ROCPRIM_400000_NS6detail17trampoline_kernelINS0_14default_configENS1_22reduce_config_selectorIN6thrust23THRUST_200600_302600_NS5tupleIblNS6_9null_typeES8_S8_S8_S8_S8_S8_S8_EEEEZNS1_11reduce_implILb1ES3_NS6_12zip_iteratorINS7_INS6_11hip_rocprim26transform_input_iterator_tIbNSD_35transform_pair_of_input_iterators_tIbNS6_6detail15normal_iteratorINS6_10device_ptrIKfEEEESL_NS6_8equal_toIfEEEENSG_9not_fun_tINSD_8identityEEEEENSD_19counting_iterator_tIlEES8_S8_S8_S8_S8_S8_S8_S8_EEEEPS9_S9_NSD_9__find_if7functorIS9_EEEE10hipError_tPvRmT1_T2_T3_mT4_P12ihipStream_tbEUlT_E1_NS1_11comp_targetILNS1_3genE2ELNS1_11target_archE906ELNS1_3gpuE6ELNS1_3repE0EEENS1_30default_config_static_selectorELNS0_4arch9wavefront6targetE1EEEvS14_
	.globl	_ZN7rocprim17ROCPRIM_400000_NS6detail17trampoline_kernelINS0_14default_configENS1_22reduce_config_selectorIN6thrust23THRUST_200600_302600_NS5tupleIblNS6_9null_typeES8_S8_S8_S8_S8_S8_S8_EEEEZNS1_11reduce_implILb1ES3_NS6_12zip_iteratorINS7_INS6_11hip_rocprim26transform_input_iterator_tIbNSD_35transform_pair_of_input_iterators_tIbNS6_6detail15normal_iteratorINS6_10device_ptrIKfEEEESL_NS6_8equal_toIfEEEENSG_9not_fun_tINSD_8identityEEEEENSD_19counting_iterator_tIlEES8_S8_S8_S8_S8_S8_S8_S8_EEEEPS9_S9_NSD_9__find_if7functorIS9_EEEE10hipError_tPvRmT1_T2_T3_mT4_P12ihipStream_tbEUlT_E1_NS1_11comp_targetILNS1_3genE2ELNS1_11target_archE906ELNS1_3gpuE6ELNS1_3repE0EEENS1_30default_config_static_selectorELNS0_4arch9wavefront6targetE1EEEvS14_
	.p2align	8
	.type	_ZN7rocprim17ROCPRIM_400000_NS6detail17trampoline_kernelINS0_14default_configENS1_22reduce_config_selectorIN6thrust23THRUST_200600_302600_NS5tupleIblNS6_9null_typeES8_S8_S8_S8_S8_S8_S8_EEEEZNS1_11reduce_implILb1ES3_NS6_12zip_iteratorINS7_INS6_11hip_rocprim26transform_input_iterator_tIbNSD_35transform_pair_of_input_iterators_tIbNS6_6detail15normal_iteratorINS6_10device_ptrIKfEEEESL_NS6_8equal_toIfEEEENSG_9not_fun_tINSD_8identityEEEEENSD_19counting_iterator_tIlEES8_S8_S8_S8_S8_S8_S8_S8_EEEEPS9_S9_NSD_9__find_if7functorIS9_EEEE10hipError_tPvRmT1_T2_T3_mT4_P12ihipStream_tbEUlT_E1_NS1_11comp_targetILNS1_3genE2ELNS1_11target_archE906ELNS1_3gpuE6ELNS1_3repE0EEENS1_30default_config_static_selectorELNS0_4arch9wavefront6targetE1EEEvS14_,@function
_ZN7rocprim17ROCPRIM_400000_NS6detail17trampoline_kernelINS0_14default_configENS1_22reduce_config_selectorIN6thrust23THRUST_200600_302600_NS5tupleIblNS6_9null_typeES8_S8_S8_S8_S8_S8_S8_EEEEZNS1_11reduce_implILb1ES3_NS6_12zip_iteratorINS7_INS6_11hip_rocprim26transform_input_iterator_tIbNSD_35transform_pair_of_input_iterators_tIbNS6_6detail15normal_iteratorINS6_10device_ptrIKfEEEESL_NS6_8equal_toIfEEEENSG_9not_fun_tINSD_8identityEEEEENSD_19counting_iterator_tIlEES8_S8_S8_S8_S8_S8_S8_S8_EEEEPS9_S9_NSD_9__find_if7functorIS9_EEEE10hipError_tPvRmT1_T2_T3_mT4_P12ihipStream_tbEUlT_E1_NS1_11comp_targetILNS1_3genE2ELNS1_11target_archE906ELNS1_3gpuE6ELNS1_3repE0EEENS1_30default_config_static_selectorELNS0_4arch9wavefront6targetE1EEEvS14_: ; @_ZN7rocprim17ROCPRIM_400000_NS6detail17trampoline_kernelINS0_14default_configENS1_22reduce_config_selectorIN6thrust23THRUST_200600_302600_NS5tupleIblNS6_9null_typeES8_S8_S8_S8_S8_S8_S8_EEEEZNS1_11reduce_implILb1ES3_NS6_12zip_iteratorINS7_INS6_11hip_rocprim26transform_input_iterator_tIbNSD_35transform_pair_of_input_iterators_tIbNS6_6detail15normal_iteratorINS6_10device_ptrIKfEEEESL_NS6_8equal_toIfEEEENSG_9not_fun_tINSD_8identityEEEEENSD_19counting_iterator_tIlEES8_S8_S8_S8_S8_S8_S8_S8_EEEEPS9_S9_NSD_9__find_if7functorIS9_EEEE10hipError_tPvRmT1_T2_T3_mT4_P12ihipStream_tbEUlT_E1_NS1_11comp_targetILNS1_3genE2ELNS1_11target_archE906ELNS1_3gpuE6ELNS1_3repE0EEENS1_30default_config_static_selectorELNS0_4arch9wavefront6targetE1EEEvS14_
; %bb.0:
	.section	.rodata,"a",@progbits
	.p2align	6, 0x0
	.amdhsa_kernel _ZN7rocprim17ROCPRIM_400000_NS6detail17trampoline_kernelINS0_14default_configENS1_22reduce_config_selectorIN6thrust23THRUST_200600_302600_NS5tupleIblNS6_9null_typeES8_S8_S8_S8_S8_S8_S8_EEEEZNS1_11reduce_implILb1ES3_NS6_12zip_iteratorINS7_INS6_11hip_rocprim26transform_input_iterator_tIbNSD_35transform_pair_of_input_iterators_tIbNS6_6detail15normal_iteratorINS6_10device_ptrIKfEEEESL_NS6_8equal_toIfEEEENSG_9not_fun_tINSD_8identityEEEEENSD_19counting_iterator_tIlEES8_S8_S8_S8_S8_S8_S8_S8_EEEEPS9_S9_NSD_9__find_if7functorIS9_EEEE10hipError_tPvRmT1_T2_T3_mT4_P12ihipStream_tbEUlT_E1_NS1_11comp_targetILNS1_3genE2ELNS1_11target_archE906ELNS1_3gpuE6ELNS1_3repE0EEENS1_30default_config_static_selectorELNS0_4arch9wavefront6targetE1EEEvS14_
		.amdhsa_group_segment_fixed_size 0
		.amdhsa_private_segment_fixed_size 0
		.amdhsa_kernarg_size 88
		.amdhsa_user_sgpr_count 6
		.amdhsa_user_sgpr_private_segment_buffer 1
		.amdhsa_user_sgpr_dispatch_ptr 0
		.amdhsa_user_sgpr_queue_ptr 0
		.amdhsa_user_sgpr_kernarg_segment_ptr 1
		.amdhsa_user_sgpr_dispatch_id 0
		.amdhsa_user_sgpr_flat_scratch_init 0
		.amdhsa_user_sgpr_kernarg_preload_length 0
		.amdhsa_user_sgpr_kernarg_preload_offset 0
		.amdhsa_user_sgpr_private_segment_size 0
		.amdhsa_uses_dynamic_stack 0
		.amdhsa_system_sgpr_private_segment_wavefront_offset 0
		.amdhsa_system_sgpr_workgroup_id_x 1
		.amdhsa_system_sgpr_workgroup_id_y 0
		.amdhsa_system_sgpr_workgroup_id_z 0
		.amdhsa_system_sgpr_workgroup_info 0
		.amdhsa_system_vgpr_workitem_id 0
		.amdhsa_next_free_vgpr 1
		.amdhsa_next_free_sgpr 0
		.amdhsa_accum_offset 4
		.amdhsa_reserve_vcc 0
		.amdhsa_reserve_flat_scratch 0
		.amdhsa_float_round_mode_32 0
		.amdhsa_float_round_mode_16_64 0
		.amdhsa_float_denorm_mode_32 3
		.amdhsa_float_denorm_mode_16_64 3
		.amdhsa_dx10_clamp 1
		.amdhsa_ieee_mode 1
		.amdhsa_fp16_overflow 0
		.amdhsa_tg_split 0
		.amdhsa_exception_fp_ieee_invalid_op 0
		.amdhsa_exception_fp_denorm_src 0
		.amdhsa_exception_fp_ieee_div_zero 0
		.amdhsa_exception_fp_ieee_overflow 0
		.amdhsa_exception_fp_ieee_underflow 0
		.amdhsa_exception_fp_ieee_inexact 0
		.amdhsa_exception_int_div_zero 0
	.end_amdhsa_kernel
	.section	.text._ZN7rocprim17ROCPRIM_400000_NS6detail17trampoline_kernelINS0_14default_configENS1_22reduce_config_selectorIN6thrust23THRUST_200600_302600_NS5tupleIblNS6_9null_typeES8_S8_S8_S8_S8_S8_S8_EEEEZNS1_11reduce_implILb1ES3_NS6_12zip_iteratorINS7_INS6_11hip_rocprim26transform_input_iterator_tIbNSD_35transform_pair_of_input_iterators_tIbNS6_6detail15normal_iteratorINS6_10device_ptrIKfEEEESL_NS6_8equal_toIfEEEENSG_9not_fun_tINSD_8identityEEEEENSD_19counting_iterator_tIlEES8_S8_S8_S8_S8_S8_S8_S8_EEEEPS9_S9_NSD_9__find_if7functorIS9_EEEE10hipError_tPvRmT1_T2_T3_mT4_P12ihipStream_tbEUlT_E1_NS1_11comp_targetILNS1_3genE2ELNS1_11target_archE906ELNS1_3gpuE6ELNS1_3repE0EEENS1_30default_config_static_selectorELNS0_4arch9wavefront6targetE1EEEvS14_,"axG",@progbits,_ZN7rocprim17ROCPRIM_400000_NS6detail17trampoline_kernelINS0_14default_configENS1_22reduce_config_selectorIN6thrust23THRUST_200600_302600_NS5tupleIblNS6_9null_typeES8_S8_S8_S8_S8_S8_S8_EEEEZNS1_11reduce_implILb1ES3_NS6_12zip_iteratorINS7_INS6_11hip_rocprim26transform_input_iterator_tIbNSD_35transform_pair_of_input_iterators_tIbNS6_6detail15normal_iteratorINS6_10device_ptrIKfEEEESL_NS6_8equal_toIfEEEENSG_9not_fun_tINSD_8identityEEEEENSD_19counting_iterator_tIlEES8_S8_S8_S8_S8_S8_S8_S8_EEEEPS9_S9_NSD_9__find_if7functorIS9_EEEE10hipError_tPvRmT1_T2_T3_mT4_P12ihipStream_tbEUlT_E1_NS1_11comp_targetILNS1_3genE2ELNS1_11target_archE906ELNS1_3gpuE6ELNS1_3repE0EEENS1_30default_config_static_selectorELNS0_4arch9wavefront6targetE1EEEvS14_,comdat
.Lfunc_end90:
	.size	_ZN7rocprim17ROCPRIM_400000_NS6detail17trampoline_kernelINS0_14default_configENS1_22reduce_config_selectorIN6thrust23THRUST_200600_302600_NS5tupleIblNS6_9null_typeES8_S8_S8_S8_S8_S8_S8_EEEEZNS1_11reduce_implILb1ES3_NS6_12zip_iteratorINS7_INS6_11hip_rocprim26transform_input_iterator_tIbNSD_35transform_pair_of_input_iterators_tIbNS6_6detail15normal_iteratorINS6_10device_ptrIKfEEEESL_NS6_8equal_toIfEEEENSG_9not_fun_tINSD_8identityEEEEENSD_19counting_iterator_tIlEES8_S8_S8_S8_S8_S8_S8_S8_EEEEPS9_S9_NSD_9__find_if7functorIS9_EEEE10hipError_tPvRmT1_T2_T3_mT4_P12ihipStream_tbEUlT_E1_NS1_11comp_targetILNS1_3genE2ELNS1_11target_archE906ELNS1_3gpuE6ELNS1_3repE0EEENS1_30default_config_static_selectorELNS0_4arch9wavefront6targetE1EEEvS14_, .Lfunc_end90-_ZN7rocprim17ROCPRIM_400000_NS6detail17trampoline_kernelINS0_14default_configENS1_22reduce_config_selectorIN6thrust23THRUST_200600_302600_NS5tupleIblNS6_9null_typeES8_S8_S8_S8_S8_S8_S8_EEEEZNS1_11reduce_implILb1ES3_NS6_12zip_iteratorINS7_INS6_11hip_rocprim26transform_input_iterator_tIbNSD_35transform_pair_of_input_iterators_tIbNS6_6detail15normal_iteratorINS6_10device_ptrIKfEEEESL_NS6_8equal_toIfEEEENSG_9not_fun_tINSD_8identityEEEEENSD_19counting_iterator_tIlEES8_S8_S8_S8_S8_S8_S8_S8_EEEEPS9_S9_NSD_9__find_if7functorIS9_EEEE10hipError_tPvRmT1_T2_T3_mT4_P12ihipStream_tbEUlT_E1_NS1_11comp_targetILNS1_3genE2ELNS1_11target_archE906ELNS1_3gpuE6ELNS1_3repE0EEENS1_30default_config_static_selectorELNS0_4arch9wavefront6targetE1EEEvS14_
                                        ; -- End function
	.section	.AMDGPU.csdata,"",@progbits
; Kernel info:
; codeLenInByte = 0
; NumSgprs: 4
; NumVgprs: 0
; NumAgprs: 0
; TotalNumVgprs: 0
; ScratchSize: 0
; MemoryBound: 0
; FloatMode: 240
; IeeeMode: 1
; LDSByteSize: 0 bytes/workgroup (compile time only)
; SGPRBlocks: 0
; VGPRBlocks: 0
; NumSGPRsForWavesPerEU: 4
; NumVGPRsForWavesPerEU: 1
; AccumOffset: 4
; Occupancy: 8
; WaveLimiterHint : 0
; COMPUTE_PGM_RSRC2:SCRATCH_EN: 0
; COMPUTE_PGM_RSRC2:USER_SGPR: 6
; COMPUTE_PGM_RSRC2:TRAP_HANDLER: 0
; COMPUTE_PGM_RSRC2:TGID_X_EN: 1
; COMPUTE_PGM_RSRC2:TGID_Y_EN: 0
; COMPUTE_PGM_RSRC2:TGID_Z_EN: 0
; COMPUTE_PGM_RSRC2:TIDIG_COMP_CNT: 0
; COMPUTE_PGM_RSRC3_GFX90A:ACCUM_OFFSET: 0
; COMPUTE_PGM_RSRC3_GFX90A:TG_SPLIT: 0
	.section	.text._ZN7rocprim17ROCPRIM_400000_NS6detail17trampoline_kernelINS0_14default_configENS1_22reduce_config_selectorIN6thrust23THRUST_200600_302600_NS5tupleIblNS6_9null_typeES8_S8_S8_S8_S8_S8_S8_EEEEZNS1_11reduce_implILb1ES3_NS6_12zip_iteratorINS7_INS6_11hip_rocprim26transform_input_iterator_tIbNSD_35transform_pair_of_input_iterators_tIbNS6_6detail15normal_iteratorINS6_10device_ptrIKfEEEESL_NS6_8equal_toIfEEEENSG_9not_fun_tINSD_8identityEEEEENSD_19counting_iterator_tIlEES8_S8_S8_S8_S8_S8_S8_S8_EEEEPS9_S9_NSD_9__find_if7functorIS9_EEEE10hipError_tPvRmT1_T2_T3_mT4_P12ihipStream_tbEUlT_E1_NS1_11comp_targetILNS1_3genE10ELNS1_11target_archE1201ELNS1_3gpuE5ELNS1_3repE0EEENS1_30default_config_static_selectorELNS0_4arch9wavefront6targetE1EEEvS14_,"axG",@progbits,_ZN7rocprim17ROCPRIM_400000_NS6detail17trampoline_kernelINS0_14default_configENS1_22reduce_config_selectorIN6thrust23THRUST_200600_302600_NS5tupleIblNS6_9null_typeES8_S8_S8_S8_S8_S8_S8_EEEEZNS1_11reduce_implILb1ES3_NS6_12zip_iteratorINS7_INS6_11hip_rocprim26transform_input_iterator_tIbNSD_35transform_pair_of_input_iterators_tIbNS6_6detail15normal_iteratorINS6_10device_ptrIKfEEEESL_NS6_8equal_toIfEEEENSG_9not_fun_tINSD_8identityEEEEENSD_19counting_iterator_tIlEES8_S8_S8_S8_S8_S8_S8_S8_EEEEPS9_S9_NSD_9__find_if7functorIS9_EEEE10hipError_tPvRmT1_T2_T3_mT4_P12ihipStream_tbEUlT_E1_NS1_11comp_targetILNS1_3genE10ELNS1_11target_archE1201ELNS1_3gpuE5ELNS1_3repE0EEENS1_30default_config_static_selectorELNS0_4arch9wavefront6targetE1EEEvS14_,comdat
	.protected	_ZN7rocprim17ROCPRIM_400000_NS6detail17trampoline_kernelINS0_14default_configENS1_22reduce_config_selectorIN6thrust23THRUST_200600_302600_NS5tupleIblNS6_9null_typeES8_S8_S8_S8_S8_S8_S8_EEEEZNS1_11reduce_implILb1ES3_NS6_12zip_iteratorINS7_INS6_11hip_rocprim26transform_input_iterator_tIbNSD_35transform_pair_of_input_iterators_tIbNS6_6detail15normal_iteratorINS6_10device_ptrIKfEEEESL_NS6_8equal_toIfEEEENSG_9not_fun_tINSD_8identityEEEEENSD_19counting_iterator_tIlEES8_S8_S8_S8_S8_S8_S8_S8_EEEEPS9_S9_NSD_9__find_if7functorIS9_EEEE10hipError_tPvRmT1_T2_T3_mT4_P12ihipStream_tbEUlT_E1_NS1_11comp_targetILNS1_3genE10ELNS1_11target_archE1201ELNS1_3gpuE5ELNS1_3repE0EEENS1_30default_config_static_selectorELNS0_4arch9wavefront6targetE1EEEvS14_ ; -- Begin function _ZN7rocprim17ROCPRIM_400000_NS6detail17trampoline_kernelINS0_14default_configENS1_22reduce_config_selectorIN6thrust23THRUST_200600_302600_NS5tupleIblNS6_9null_typeES8_S8_S8_S8_S8_S8_S8_EEEEZNS1_11reduce_implILb1ES3_NS6_12zip_iteratorINS7_INS6_11hip_rocprim26transform_input_iterator_tIbNSD_35transform_pair_of_input_iterators_tIbNS6_6detail15normal_iteratorINS6_10device_ptrIKfEEEESL_NS6_8equal_toIfEEEENSG_9not_fun_tINSD_8identityEEEEENSD_19counting_iterator_tIlEES8_S8_S8_S8_S8_S8_S8_S8_EEEEPS9_S9_NSD_9__find_if7functorIS9_EEEE10hipError_tPvRmT1_T2_T3_mT4_P12ihipStream_tbEUlT_E1_NS1_11comp_targetILNS1_3genE10ELNS1_11target_archE1201ELNS1_3gpuE5ELNS1_3repE0EEENS1_30default_config_static_selectorELNS0_4arch9wavefront6targetE1EEEvS14_
	.globl	_ZN7rocprim17ROCPRIM_400000_NS6detail17trampoline_kernelINS0_14default_configENS1_22reduce_config_selectorIN6thrust23THRUST_200600_302600_NS5tupleIblNS6_9null_typeES8_S8_S8_S8_S8_S8_S8_EEEEZNS1_11reduce_implILb1ES3_NS6_12zip_iteratorINS7_INS6_11hip_rocprim26transform_input_iterator_tIbNSD_35transform_pair_of_input_iterators_tIbNS6_6detail15normal_iteratorINS6_10device_ptrIKfEEEESL_NS6_8equal_toIfEEEENSG_9not_fun_tINSD_8identityEEEEENSD_19counting_iterator_tIlEES8_S8_S8_S8_S8_S8_S8_S8_EEEEPS9_S9_NSD_9__find_if7functorIS9_EEEE10hipError_tPvRmT1_T2_T3_mT4_P12ihipStream_tbEUlT_E1_NS1_11comp_targetILNS1_3genE10ELNS1_11target_archE1201ELNS1_3gpuE5ELNS1_3repE0EEENS1_30default_config_static_selectorELNS0_4arch9wavefront6targetE1EEEvS14_
	.p2align	8
	.type	_ZN7rocprim17ROCPRIM_400000_NS6detail17trampoline_kernelINS0_14default_configENS1_22reduce_config_selectorIN6thrust23THRUST_200600_302600_NS5tupleIblNS6_9null_typeES8_S8_S8_S8_S8_S8_S8_EEEEZNS1_11reduce_implILb1ES3_NS6_12zip_iteratorINS7_INS6_11hip_rocprim26transform_input_iterator_tIbNSD_35transform_pair_of_input_iterators_tIbNS6_6detail15normal_iteratorINS6_10device_ptrIKfEEEESL_NS6_8equal_toIfEEEENSG_9not_fun_tINSD_8identityEEEEENSD_19counting_iterator_tIlEES8_S8_S8_S8_S8_S8_S8_S8_EEEEPS9_S9_NSD_9__find_if7functorIS9_EEEE10hipError_tPvRmT1_T2_T3_mT4_P12ihipStream_tbEUlT_E1_NS1_11comp_targetILNS1_3genE10ELNS1_11target_archE1201ELNS1_3gpuE5ELNS1_3repE0EEENS1_30default_config_static_selectorELNS0_4arch9wavefront6targetE1EEEvS14_,@function
_ZN7rocprim17ROCPRIM_400000_NS6detail17trampoline_kernelINS0_14default_configENS1_22reduce_config_selectorIN6thrust23THRUST_200600_302600_NS5tupleIblNS6_9null_typeES8_S8_S8_S8_S8_S8_S8_EEEEZNS1_11reduce_implILb1ES3_NS6_12zip_iteratorINS7_INS6_11hip_rocprim26transform_input_iterator_tIbNSD_35transform_pair_of_input_iterators_tIbNS6_6detail15normal_iteratorINS6_10device_ptrIKfEEEESL_NS6_8equal_toIfEEEENSG_9not_fun_tINSD_8identityEEEEENSD_19counting_iterator_tIlEES8_S8_S8_S8_S8_S8_S8_S8_EEEEPS9_S9_NSD_9__find_if7functorIS9_EEEE10hipError_tPvRmT1_T2_T3_mT4_P12ihipStream_tbEUlT_E1_NS1_11comp_targetILNS1_3genE10ELNS1_11target_archE1201ELNS1_3gpuE5ELNS1_3repE0EEENS1_30default_config_static_selectorELNS0_4arch9wavefront6targetE1EEEvS14_: ; @_ZN7rocprim17ROCPRIM_400000_NS6detail17trampoline_kernelINS0_14default_configENS1_22reduce_config_selectorIN6thrust23THRUST_200600_302600_NS5tupleIblNS6_9null_typeES8_S8_S8_S8_S8_S8_S8_EEEEZNS1_11reduce_implILb1ES3_NS6_12zip_iteratorINS7_INS6_11hip_rocprim26transform_input_iterator_tIbNSD_35transform_pair_of_input_iterators_tIbNS6_6detail15normal_iteratorINS6_10device_ptrIKfEEEESL_NS6_8equal_toIfEEEENSG_9not_fun_tINSD_8identityEEEEENSD_19counting_iterator_tIlEES8_S8_S8_S8_S8_S8_S8_S8_EEEEPS9_S9_NSD_9__find_if7functorIS9_EEEE10hipError_tPvRmT1_T2_T3_mT4_P12ihipStream_tbEUlT_E1_NS1_11comp_targetILNS1_3genE10ELNS1_11target_archE1201ELNS1_3gpuE5ELNS1_3repE0EEENS1_30default_config_static_selectorELNS0_4arch9wavefront6targetE1EEEvS14_
; %bb.0:
	.section	.rodata,"a",@progbits
	.p2align	6, 0x0
	.amdhsa_kernel _ZN7rocprim17ROCPRIM_400000_NS6detail17trampoline_kernelINS0_14default_configENS1_22reduce_config_selectorIN6thrust23THRUST_200600_302600_NS5tupleIblNS6_9null_typeES8_S8_S8_S8_S8_S8_S8_EEEEZNS1_11reduce_implILb1ES3_NS6_12zip_iteratorINS7_INS6_11hip_rocprim26transform_input_iterator_tIbNSD_35transform_pair_of_input_iterators_tIbNS6_6detail15normal_iteratorINS6_10device_ptrIKfEEEESL_NS6_8equal_toIfEEEENSG_9not_fun_tINSD_8identityEEEEENSD_19counting_iterator_tIlEES8_S8_S8_S8_S8_S8_S8_S8_EEEEPS9_S9_NSD_9__find_if7functorIS9_EEEE10hipError_tPvRmT1_T2_T3_mT4_P12ihipStream_tbEUlT_E1_NS1_11comp_targetILNS1_3genE10ELNS1_11target_archE1201ELNS1_3gpuE5ELNS1_3repE0EEENS1_30default_config_static_selectorELNS0_4arch9wavefront6targetE1EEEvS14_
		.amdhsa_group_segment_fixed_size 0
		.amdhsa_private_segment_fixed_size 0
		.amdhsa_kernarg_size 88
		.amdhsa_user_sgpr_count 6
		.amdhsa_user_sgpr_private_segment_buffer 1
		.amdhsa_user_sgpr_dispatch_ptr 0
		.amdhsa_user_sgpr_queue_ptr 0
		.amdhsa_user_sgpr_kernarg_segment_ptr 1
		.amdhsa_user_sgpr_dispatch_id 0
		.amdhsa_user_sgpr_flat_scratch_init 0
		.amdhsa_user_sgpr_kernarg_preload_length 0
		.amdhsa_user_sgpr_kernarg_preload_offset 0
		.amdhsa_user_sgpr_private_segment_size 0
		.amdhsa_uses_dynamic_stack 0
		.amdhsa_system_sgpr_private_segment_wavefront_offset 0
		.amdhsa_system_sgpr_workgroup_id_x 1
		.amdhsa_system_sgpr_workgroup_id_y 0
		.amdhsa_system_sgpr_workgroup_id_z 0
		.amdhsa_system_sgpr_workgroup_info 0
		.amdhsa_system_vgpr_workitem_id 0
		.amdhsa_next_free_vgpr 1
		.amdhsa_next_free_sgpr 0
		.amdhsa_accum_offset 4
		.amdhsa_reserve_vcc 0
		.amdhsa_reserve_flat_scratch 0
		.amdhsa_float_round_mode_32 0
		.amdhsa_float_round_mode_16_64 0
		.amdhsa_float_denorm_mode_32 3
		.amdhsa_float_denorm_mode_16_64 3
		.amdhsa_dx10_clamp 1
		.amdhsa_ieee_mode 1
		.amdhsa_fp16_overflow 0
		.amdhsa_tg_split 0
		.amdhsa_exception_fp_ieee_invalid_op 0
		.amdhsa_exception_fp_denorm_src 0
		.amdhsa_exception_fp_ieee_div_zero 0
		.amdhsa_exception_fp_ieee_overflow 0
		.amdhsa_exception_fp_ieee_underflow 0
		.amdhsa_exception_fp_ieee_inexact 0
		.amdhsa_exception_int_div_zero 0
	.end_amdhsa_kernel
	.section	.text._ZN7rocprim17ROCPRIM_400000_NS6detail17trampoline_kernelINS0_14default_configENS1_22reduce_config_selectorIN6thrust23THRUST_200600_302600_NS5tupleIblNS6_9null_typeES8_S8_S8_S8_S8_S8_S8_EEEEZNS1_11reduce_implILb1ES3_NS6_12zip_iteratorINS7_INS6_11hip_rocprim26transform_input_iterator_tIbNSD_35transform_pair_of_input_iterators_tIbNS6_6detail15normal_iteratorINS6_10device_ptrIKfEEEESL_NS6_8equal_toIfEEEENSG_9not_fun_tINSD_8identityEEEEENSD_19counting_iterator_tIlEES8_S8_S8_S8_S8_S8_S8_S8_EEEEPS9_S9_NSD_9__find_if7functorIS9_EEEE10hipError_tPvRmT1_T2_T3_mT4_P12ihipStream_tbEUlT_E1_NS1_11comp_targetILNS1_3genE10ELNS1_11target_archE1201ELNS1_3gpuE5ELNS1_3repE0EEENS1_30default_config_static_selectorELNS0_4arch9wavefront6targetE1EEEvS14_,"axG",@progbits,_ZN7rocprim17ROCPRIM_400000_NS6detail17trampoline_kernelINS0_14default_configENS1_22reduce_config_selectorIN6thrust23THRUST_200600_302600_NS5tupleIblNS6_9null_typeES8_S8_S8_S8_S8_S8_S8_EEEEZNS1_11reduce_implILb1ES3_NS6_12zip_iteratorINS7_INS6_11hip_rocprim26transform_input_iterator_tIbNSD_35transform_pair_of_input_iterators_tIbNS6_6detail15normal_iteratorINS6_10device_ptrIKfEEEESL_NS6_8equal_toIfEEEENSG_9not_fun_tINSD_8identityEEEEENSD_19counting_iterator_tIlEES8_S8_S8_S8_S8_S8_S8_S8_EEEEPS9_S9_NSD_9__find_if7functorIS9_EEEE10hipError_tPvRmT1_T2_T3_mT4_P12ihipStream_tbEUlT_E1_NS1_11comp_targetILNS1_3genE10ELNS1_11target_archE1201ELNS1_3gpuE5ELNS1_3repE0EEENS1_30default_config_static_selectorELNS0_4arch9wavefront6targetE1EEEvS14_,comdat
.Lfunc_end91:
	.size	_ZN7rocprim17ROCPRIM_400000_NS6detail17trampoline_kernelINS0_14default_configENS1_22reduce_config_selectorIN6thrust23THRUST_200600_302600_NS5tupleIblNS6_9null_typeES8_S8_S8_S8_S8_S8_S8_EEEEZNS1_11reduce_implILb1ES3_NS6_12zip_iteratorINS7_INS6_11hip_rocprim26transform_input_iterator_tIbNSD_35transform_pair_of_input_iterators_tIbNS6_6detail15normal_iteratorINS6_10device_ptrIKfEEEESL_NS6_8equal_toIfEEEENSG_9not_fun_tINSD_8identityEEEEENSD_19counting_iterator_tIlEES8_S8_S8_S8_S8_S8_S8_S8_EEEEPS9_S9_NSD_9__find_if7functorIS9_EEEE10hipError_tPvRmT1_T2_T3_mT4_P12ihipStream_tbEUlT_E1_NS1_11comp_targetILNS1_3genE10ELNS1_11target_archE1201ELNS1_3gpuE5ELNS1_3repE0EEENS1_30default_config_static_selectorELNS0_4arch9wavefront6targetE1EEEvS14_, .Lfunc_end91-_ZN7rocprim17ROCPRIM_400000_NS6detail17trampoline_kernelINS0_14default_configENS1_22reduce_config_selectorIN6thrust23THRUST_200600_302600_NS5tupleIblNS6_9null_typeES8_S8_S8_S8_S8_S8_S8_EEEEZNS1_11reduce_implILb1ES3_NS6_12zip_iteratorINS7_INS6_11hip_rocprim26transform_input_iterator_tIbNSD_35transform_pair_of_input_iterators_tIbNS6_6detail15normal_iteratorINS6_10device_ptrIKfEEEESL_NS6_8equal_toIfEEEENSG_9not_fun_tINSD_8identityEEEEENSD_19counting_iterator_tIlEES8_S8_S8_S8_S8_S8_S8_S8_EEEEPS9_S9_NSD_9__find_if7functorIS9_EEEE10hipError_tPvRmT1_T2_T3_mT4_P12ihipStream_tbEUlT_E1_NS1_11comp_targetILNS1_3genE10ELNS1_11target_archE1201ELNS1_3gpuE5ELNS1_3repE0EEENS1_30default_config_static_selectorELNS0_4arch9wavefront6targetE1EEEvS14_
                                        ; -- End function
	.section	.AMDGPU.csdata,"",@progbits
; Kernel info:
; codeLenInByte = 0
; NumSgprs: 4
; NumVgprs: 0
; NumAgprs: 0
; TotalNumVgprs: 0
; ScratchSize: 0
; MemoryBound: 0
; FloatMode: 240
; IeeeMode: 1
; LDSByteSize: 0 bytes/workgroup (compile time only)
; SGPRBlocks: 0
; VGPRBlocks: 0
; NumSGPRsForWavesPerEU: 4
; NumVGPRsForWavesPerEU: 1
; AccumOffset: 4
; Occupancy: 8
; WaveLimiterHint : 0
; COMPUTE_PGM_RSRC2:SCRATCH_EN: 0
; COMPUTE_PGM_RSRC2:USER_SGPR: 6
; COMPUTE_PGM_RSRC2:TRAP_HANDLER: 0
; COMPUTE_PGM_RSRC2:TGID_X_EN: 1
; COMPUTE_PGM_RSRC2:TGID_Y_EN: 0
; COMPUTE_PGM_RSRC2:TGID_Z_EN: 0
; COMPUTE_PGM_RSRC2:TIDIG_COMP_CNT: 0
; COMPUTE_PGM_RSRC3_GFX90A:ACCUM_OFFSET: 0
; COMPUTE_PGM_RSRC3_GFX90A:TG_SPLIT: 0
	.section	.text._ZN7rocprim17ROCPRIM_400000_NS6detail17trampoline_kernelINS0_14default_configENS1_22reduce_config_selectorIN6thrust23THRUST_200600_302600_NS5tupleIblNS6_9null_typeES8_S8_S8_S8_S8_S8_S8_EEEEZNS1_11reduce_implILb1ES3_NS6_12zip_iteratorINS7_INS6_11hip_rocprim26transform_input_iterator_tIbNSD_35transform_pair_of_input_iterators_tIbNS6_6detail15normal_iteratorINS6_10device_ptrIKfEEEESL_NS6_8equal_toIfEEEENSG_9not_fun_tINSD_8identityEEEEENSD_19counting_iterator_tIlEES8_S8_S8_S8_S8_S8_S8_S8_EEEEPS9_S9_NSD_9__find_if7functorIS9_EEEE10hipError_tPvRmT1_T2_T3_mT4_P12ihipStream_tbEUlT_E1_NS1_11comp_targetILNS1_3genE10ELNS1_11target_archE1200ELNS1_3gpuE4ELNS1_3repE0EEENS1_30default_config_static_selectorELNS0_4arch9wavefront6targetE1EEEvS14_,"axG",@progbits,_ZN7rocprim17ROCPRIM_400000_NS6detail17trampoline_kernelINS0_14default_configENS1_22reduce_config_selectorIN6thrust23THRUST_200600_302600_NS5tupleIblNS6_9null_typeES8_S8_S8_S8_S8_S8_S8_EEEEZNS1_11reduce_implILb1ES3_NS6_12zip_iteratorINS7_INS6_11hip_rocprim26transform_input_iterator_tIbNSD_35transform_pair_of_input_iterators_tIbNS6_6detail15normal_iteratorINS6_10device_ptrIKfEEEESL_NS6_8equal_toIfEEEENSG_9not_fun_tINSD_8identityEEEEENSD_19counting_iterator_tIlEES8_S8_S8_S8_S8_S8_S8_S8_EEEEPS9_S9_NSD_9__find_if7functorIS9_EEEE10hipError_tPvRmT1_T2_T3_mT4_P12ihipStream_tbEUlT_E1_NS1_11comp_targetILNS1_3genE10ELNS1_11target_archE1200ELNS1_3gpuE4ELNS1_3repE0EEENS1_30default_config_static_selectorELNS0_4arch9wavefront6targetE1EEEvS14_,comdat
	.protected	_ZN7rocprim17ROCPRIM_400000_NS6detail17trampoline_kernelINS0_14default_configENS1_22reduce_config_selectorIN6thrust23THRUST_200600_302600_NS5tupleIblNS6_9null_typeES8_S8_S8_S8_S8_S8_S8_EEEEZNS1_11reduce_implILb1ES3_NS6_12zip_iteratorINS7_INS6_11hip_rocprim26transform_input_iterator_tIbNSD_35transform_pair_of_input_iterators_tIbNS6_6detail15normal_iteratorINS6_10device_ptrIKfEEEESL_NS6_8equal_toIfEEEENSG_9not_fun_tINSD_8identityEEEEENSD_19counting_iterator_tIlEES8_S8_S8_S8_S8_S8_S8_S8_EEEEPS9_S9_NSD_9__find_if7functorIS9_EEEE10hipError_tPvRmT1_T2_T3_mT4_P12ihipStream_tbEUlT_E1_NS1_11comp_targetILNS1_3genE10ELNS1_11target_archE1200ELNS1_3gpuE4ELNS1_3repE0EEENS1_30default_config_static_selectorELNS0_4arch9wavefront6targetE1EEEvS14_ ; -- Begin function _ZN7rocprim17ROCPRIM_400000_NS6detail17trampoline_kernelINS0_14default_configENS1_22reduce_config_selectorIN6thrust23THRUST_200600_302600_NS5tupleIblNS6_9null_typeES8_S8_S8_S8_S8_S8_S8_EEEEZNS1_11reduce_implILb1ES3_NS6_12zip_iteratorINS7_INS6_11hip_rocprim26transform_input_iterator_tIbNSD_35transform_pair_of_input_iterators_tIbNS6_6detail15normal_iteratorINS6_10device_ptrIKfEEEESL_NS6_8equal_toIfEEEENSG_9not_fun_tINSD_8identityEEEEENSD_19counting_iterator_tIlEES8_S8_S8_S8_S8_S8_S8_S8_EEEEPS9_S9_NSD_9__find_if7functorIS9_EEEE10hipError_tPvRmT1_T2_T3_mT4_P12ihipStream_tbEUlT_E1_NS1_11comp_targetILNS1_3genE10ELNS1_11target_archE1200ELNS1_3gpuE4ELNS1_3repE0EEENS1_30default_config_static_selectorELNS0_4arch9wavefront6targetE1EEEvS14_
	.globl	_ZN7rocprim17ROCPRIM_400000_NS6detail17trampoline_kernelINS0_14default_configENS1_22reduce_config_selectorIN6thrust23THRUST_200600_302600_NS5tupleIblNS6_9null_typeES8_S8_S8_S8_S8_S8_S8_EEEEZNS1_11reduce_implILb1ES3_NS6_12zip_iteratorINS7_INS6_11hip_rocprim26transform_input_iterator_tIbNSD_35transform_pair_of_input_iterators_tIbNS6_6detail15normal_iteratorINS6_10device_ptrIKfEEEESL_NS6_8equal_toIfEEEENSG_9not_fun_tINSD_8identityEEEEENSD_19counting_iterator_tIlEES8_S8_S8_S8_S8_S8_S8_S8_EEEEPS9_S9_NSD_9__find_if7functorIS9_EEEE10hipError_tPvRmT1_T2_T3_mT4_P12ihipStream_tbEUlT_E1_NS1_11comp_targetILNS1_3genE10ELNS1_11target_archE1200ELNS1_3gpuE4ELNS1_3repE0EEENS1_30default_config_static_selectorELNS0_4arch9wavefront6targetE1EEEvS14_
	.p2align	8
	.type	_ZN7rocprim17ROCPRIM_400000_NS6detail17trampoline_kernelINS0_14default_configENS1_22reduce_config_selectorIN6thrust23THRUST_200600_302600_NS5tupleIblNS6_9null_typeES8_S8_S8_S8_S8_S8_S8_EEEEZNS1_11reduce_implILb1ES3_NS6_12zip_iteratorINS7_INS6_11hip_rocprim26transform_input_iterator_tIbNSD_35transform_pair_of_input_iterators_tIbNS6_6detail15normal_iteratorINS6_10device_ptrIKfEEEESL_NS6_8equal_toIfEEEENSG_9not_fun_tINSD_8identityEEEEENSD_19counting_iterator_tIlEES8_S8_S8_S8_S8_S8_S8_S8_EEEEPS9_S9_NSD_9__find_if7functorIS9_EEEE10hipError_tPvRmT1_T2_T3_mT4_P12ihipStream_tbEUlT_E1_NS1_11comp_targetILNS1_3genE10ELNS1_11target_archE1200ELNS1_3gpuE4ELNS1_3repE0EEENS1_30default_config_static_selectorELNS0_4arch9wavefront6targetE1EEEvS14_,@function
_ZN7rocprim17ROCPRIM_400000_NS6detail17trampoline_kernelINS0_14default_configENS1_22reduce_config_selectorIN6thrust23THRUST_200600_302600_NS5tupleIblNS6_9null_typeES8_S8_S8_S8_S8_S8_S8_EEEEZNS1_11reduce_implILb1ES3_NS6_12zip_iteratorINS7_INS6_11hip_rocprim26transform_input_iterator_tIbNSD_35transform_pair_of_input_iterators_tIbNS6_6detail15normal_iteratorINS6_10device_ptrIKfEEEESL_NS6_8equal_toIfEEEENSG_9not_fun_tINSD_8identityEEEEENSD_19counting_iterator_tIlEES8_S8_S8_S8_S8_S8_S8_S8_EEEEPS9_S9_NSD_9__find_if7functorIS9_EEEE10hipError_tPvRmT1_T2_T3_mT4_P12ihipStream_tbEUlT_E1_NS1_11comp_targetILNS1_3genE10ELNS1_11target_archE1200ELNS1_3gpuE4ELNS1_3repE0EEENS1_30default_config_static_selectorELNS0_4arch9wavefront6targetE1EEEvS14_: ; @_ZN7rocprim17ROCPRIM_400000_NS6detail17trampoline_kernelINS0_14default_configENS1_22reduce_config_selectorIN6thrust23THRUST_200600_302600_NS5tupleIblNS6_9null_typeES8_S8_S8_S8_S8_S8_S8_EEEEZNS1_11reduce_implILb1ES3_NS6_12zip_iteratorINS7_INS6_11hip_rocprim26transform_input_iterator_tIbNSD_35transform_pair_of_input_iterators_tIbNS6_6detail15normal_iteratorINS6_10device_ptrIKfEEEESL_NS6_8equal_toIfEEEENSG_9not_fun_tINSD_8identityEEEEENSD_19counting_iterator_tIlEES8_S8_S8_S8_S8_S8_S8_S8_EEEEPS9_S9_NSD_9__find_if7functorIS9_EEEE10hipError_tPvRmT1_T2_T3_mT4_P12ihipStream_tbEUlT_E1_NS1_11comp_targetILNS1_3genE10ELNS1_11target_archE1200ELNS1_3gpuE4ELNS1_3repE0EEENS1_30default_config_static_selectorELNS0_4arch9wavefront6targetE1EEEvS14_
; %bb.0:
	.section	.rodata,"a",@progbits
	.p2align	6, 0x0
	.amdhsa_kernel _ZN7rocprim17ROCPRIM_400000_NS6detail17trampoline_kernelINS0_14default_configENS1_22reduce_config_selectorIN6thrust23THRUST_200600_302600_NS5tupleIblNS6_9null_typeES8_S8_S8_S8_S8_S8_S8_EEEEZNS1_11reduce_implILb1ES3_NS6_12zip_iteratorINS7_INS6_11hip_rocprim26transform_input_iterator_tIbNSD_35transform_pair_of_input_iterators_tIbNS6_6detail15normal_iteratorINS6_10device_ptrIKfEEEESL_NS6_8equal_toIfEEEENSG_9not_fun_tINSD_8identityEEEEENSD_19counting_iterator_tIlEES8_S8_S8_S8_S8_S8_S8_S8_EEEEPS9_S9_NSD_9__find_if7functorIS9_EEEE10hipError_tPvRmT1_T2_T3_mT4_P12ihipStream_tbEUlT_E1_NS1_11comp_targetILNS1_3genE10ELNS1_11target_archE1200ELNS1_3gpuE4ELNS1_3repE0EEENS1_30default_config_static_selectorELNS0_4arch9wavefront6targetE1EEEvS14_
		.amdhsa_group_segment_fixed_size 0
		.amdhsa_private_segment_fixed_size 0
		.amdhsa_kernarg_size 88
		.amdhsa_user_sgpr_count 6
		.amdhsa_user_sgpr_private_segment_buffer 1
		.amdhsa_user_sgpr_dispatch_ptr 0
		.amdhsa_user_sgpr_queue_ptr 0
		.amdhsa_user_sgpr_kernarg_segment_ptr 1
		.amdhsa_user_sgpr_dispatch_id 0
		.amdhsa_user_sgpr_flat_scratch_init 0
		.amdhsa_user_sgpr_kernarg_preload_length 0
		.amdhsa_user_sgpr_kernarg_preload_offset 0
		.amdhsa_user_sgpr_private_segment_size 0
		.amdhsa_uses_dynamic_stack 0
		.amdhsa_system_sgpr_private_segment_wavefront_offset 0
		.amdhsa_system_sgpr_workgroup_id_x 1
		.amdhsa_system_sgpr_workgroup_id_y 0
		.amdhsa_system_sgpr_workgroup_id_z 0
		.amdhsa_system_sgpr_workgroup_info 0
		.amdhsa_system_vgpr_workitem_id 0
		.amdhsa_next_free_vgpr 1
		.amdhsa_next_free_sgpr 0
		.amdhsa_accum_offset 4
		.amdhsa_reserve_vcc 0
		.amdhsa_reserve_flat_scratch 0
		.amdhsa_float_round_mode_32 0
		.amdhsa_float_round_mode_16_64 0
		.amdhsa_float_denorm_mode_32 3
		.amdhsa_float_denorm_mode_16_64 3
		.amdhsa_dx10_clamp 1
		.amdhsa_ieee_mode 1
		.amdhsa_fp16_overflow 0
		.amdhsa_tg_split 0
		.amdhsa_exception_fp_ieee_invalid_op 0
		.amdhsa_exception_fp_denorm_src 0
		.amdhsa_exception_fp_ieee_div_zero 0
		.amdhsa_exception_fp_ieee_overflow 0
		.amdhsa_exception_fp_ieee_underflow 0
		.amdhsa_exception_fp_ieee_inexact 0
		.amdhsa_exception_int_div_zero 0
	.end_amdhsa_kernel
	.section	.text._ZN7rocprim17ROCPRIM_400000_NS6detail17trampoline_kernelINS0_14default_configENS1_22reduce_config_selectorIN6thrust23THRUST_200600_302600_NS5tupleIblNS6_9null_typeES8_S8_S8_S8_S8_S8_S8_EEEEZNS1_11reduce_implILb1ES3_NS6_12zip_iteratorINS7_INS6_11hip_rocprim26transform_input_iterator_tIbNSD_35transform_pair_of_input_iterators_tIbNS6_6detail15normal_iteratorINS6_10device_ptrIKfEEEESL_NS6_8equal_toIfEEEENSG_9not_fun_tINSD_8identityEEEEENSD_19counting_iterator_tIlEES8_S8_S8_S8_S8_S8_S8_S8_EEEEPS9_S9_NSD_9__find_if7functorIS9_EEEE10hipError_tPvRmT1_T2_T3_mT4_P12ihipStream_tbEUlT_E1_NS1_11comp_targetILNS1_3genE10ELNS1_11target_archE1200ELNS1_3gpuE4ELNS1_3repE0EEENS1_30default_config_static_selectorELNS0_4arch9wavefront6targetE1EEEvS14_,"axG",@progbits,_ZN7rocprim17ROCPRIM_400000_NS6detail17trampoline_kernelINS0_14default_configENS1_22reduce_config_selectorIN6thrust23THRUST_200600_302600_NS5tupleIblNS6_9null_typeES8_S8_S8_S8_S8_S8_S8_EEEEZNS1_11reduce_implILb1ES3_NS6_12zip_iteratorINS7_INS6_11hip_rocprim26transform_input_iterator_tIbNSD_35transform_pair_of_input_iterators_tIbNS6_6detail15normal_iteratorINS6_10device_ptrIKfEEEESL_NS6_8equal_toIfEEEENSG_9not_fun_tINSD_8identityEEEEENSD_19counting_iterator_tIlEES8_S8_S8_S8_S8_S8_S8_S8_EEEEPS9_S9_NSD_9__find_if7functorIS9_EEEE10hipError_tPvRmT1_T2_T3_mT4_P12ihipStream_tbEUlT_E1_NS1_11comp_targetILNS1_3genE10ELNS1_11target_archE1200ELNS1_3gpuE4ELNS1_3repE0EEENS1_30default_config_static_selectorELNS0_4arch9wavefront6targetE1EEEvS14_,comdat
.Lfunc_end92:
	.size	_ZN7rocprim17ROCPRIM_400000_NS6detail17trampoline_kernelINS0_14default_configENS1_22reduce_config_selectorIN6thrust23THRUST_200600_302600_NS5tupleIblNS6_9null_typeES8_S8_S8_S8_S8_S8_S8_EEEEZNS1_11reduce_implILb1ES3_NS6_12zip_iteratorINS7_INS6_11hip_rocprim26transform_input_iterator_tIbNSD_35transform_pair_of_input_iterators_tIbNS6_6detail15normal_iteratorINS6_10device_ptrIKfEEEESL_NS6_8equal_toIfEEEENSG_9not_fun_tINSD_8identityEEEEENSD_19counting_iterator_tIlEES8_S8_S8_S8_S8_S8_S8_S8_EEEEPS9_S9_NSD_9__find_if7functorIS9_EEEE10hipError_tPvRmT1_T2_T3_mT4_P12ihipStream_tbEUlT_E1_NS1_11comp_targetILNS1_3genE10ELNS1_11target_archE1200ELNS1_3gpuE4ELNS1_3repE0EEENS1_30default_config_static_selectorELNS0_4arch9wavefront6targetE1EEEvS14_, .Lfunc_end92-_ZN7rocprim17ROCPRIM_400000_NS6detail17trampoline_kernelINS0_14default_configENS1_22reduce_config_selectorIN6thrust23THRUST_200600_302600_NS5tupleIblNS6_9null_typeES8_S8_S8_S8_S8_S8_S8_EEEEZNS1_11reduce_implILb1ES3_NS6_12zip_iteratorINS7_INS6_11hip_rocprim26transform_input_iterator_tIbNSD_35transform_pair_of_input_iterators_tIbNS6_6detail15normal_iteratorINS6_10device_ptrIKfEEEESL_NS6_8equal_toIfEEEENSG_9not_fun_tINSD_8identityEEEEENSD_19counting_iterator_tIlEES8_S8_S8_S8_S8_S8_S8_S8_EEEEPS9_S9_NSD_9__find_if7functorIS9_EEEE10hipError_tPvRmT1_T2_T3_mT4_P12ihipStream_tbEUlT_E1_NS1_11comp_targetILNS1_3genE10ELNS1_11target_archE1200ELNS1_3gpuE4ELNS1_3repE0EEENS1_30default_config_static_selectorELNS0_4arch9wavefront6targetE1EEEvS14_
                                        ; -- End function
	.section	.AMDGPU.csdata,"",@progbits
; Kernel info:
; codeLenInByte = 0
; NumSgprs: 4
; NumVgprs: 0
; NumAgprs: 0
; TotalNumVgprs: 0
; ScratchSize: 0
; MemoryBound: 0
; FloatMode: 240
; IeeeMode: 1
; LDSByteSize: 0 bytes/workgroup (compile time only)
; SGPRBlocks: 0
; VGPRBlocks: 0
; NumSGPRsForWavesPerEU: 4
; NumVGPRsForWavesPerEU: 1
; AccumOffset: 4
; Occupancy: 8
; WaveLimiterHint : 0
; COMPUTE_PGM_RSRC2:SCRATCH_EN: 0
; COMPUTE_PGM_RSRC2:USER_SGPR: 6
; COMPUTE_PGM_RSRC2:TRAP_HANDLER: 0
; COMPUTE_PGM_RSRC2:TGID_X_EN: 1
; COMPUTE_PGM_RSRC2:TGID_Y_EN: 0
; COMPUTE_PGM_RSRC2:TGID_Z_EN: 0
; COMPUTE_PGM_RSRC2:TIDIG_COMP_CNT: 0
; COMPUTE_PGM_RSRC3_GFX90A:ACCUM_OFFSET: 0
; COMPUTE_PGM_RSRC3_GFX90A:TG_SPLIT: 0
	.section	.text._ZN7rocprim17ROCPRIM_400000_NS6detail17trampoline_kernelINS0_14default_configENS1_22reduce_config_selectorIN6thrust23THRUST_200600_302600_NS5tupleIblNS6_9null_typeES8_S8_S8_S8_S8_S8_S8_EEEEZNS1_11reduce_implILb1ES3_NS6_12zip_iteratorINS7_INS6_11hip_rocprim26transform_input_iterator_tIbNSD_35transform_pair_of_input_iterators_tIbNS6_6detail15normal_iteratorINS6_10device_ptrIKfEEEESL_NS6_8equal_toIfEEEENSG_9not_fun_tINSD_8identityEEEEENSD_19counting_iterator_tIlEES8_S8_S8_S8_S8_S8_S8_S8_EEEEPS9_S9_NSD_9__find_if7functorIS9_EEEE10hipError_tPvRmT1_T2_T3_mT4_P12ihipStream_tbEUlT_E1_NS1_11comp_targetILNS1_3genE9ELNS1_11target_archE1100ELNS1_3gpuE3ELNS1_3repE0EEENS1_30default_config_static_selectorELNS0_4arch9wavefront6targetE1EEEvS14_,"axG",@progbits,_ZN7rocprim17ROCPRIM_400000_NS6detail17trampoline_kernelINS0_14default_configENS1_22reduce_config_selectorIN6thrust23THRUST_200600_302600_NS5tupleIblNS6_9null_typeES8_S8_S8_S8_S8_S8_S8_EEEEZNS1_11reduce_implILb1ES3_NS6_12zip_iteratorINS7_INS6_11hip_rocprim26transform_input_iterator_tIbNSD_35transform_pair_of_input_iterators_tIbNS6_6detail15normal_iteratorINS6_10device_ptrIKfEEEESL_NS6_8equal_toIfEEEENSG_9not_fun_tINSD_8identityEEEEENSD_19counting_iterator_tIlEES8_S8_S8_S8_S8_S8_S8_S8_EEEEPS9_S9_NSD_9__find_if7functorIS9_EEEE10hipError_tPvRmT1_T2_T3_mT4_P12ihipStream_tbEUlT_E1_NS1_11comp_targetILNS1_3genE9ELNS1_11target_archE1100ELNS1_3gpuE3ELNS1_3repE0EEENS1_30default_config_static_selectorELNS0_4arch9wavefront6targetE1EEEvS14_,comdat
	.protected	_ZN7rocprim17ROCPRIM_400000_NS6detail17trampoline_kernelINS0_14default_configENS1_22reduce_config_selectorIN6thrust23THRUST_200600_302600_NS5tupleIblNS6_9null_typeES8_S8_S8_S8_S8_S8_S8_EEEEZNS1_11reduce_implILb1ES3_NS6_12zip_iteratorINS7_INS6_11hip_rocprim26transform_input_iterator_tIbNSD_35transform_pair_of_input_iterators_tIbNS6_6detail15normal_iteratorINS6_10device_ptrIKfEEEESL_NS6_8equal_toIfEEEENSG_9not_fun_tINSD_8identityEEEEENSD_19counting_iterator_tIlEES8_S8_S8_S8_S8_S8_S8_S8_EEEEPS9_S9_NSD_9__find_if7functorIS9_EEEE10hipError_tPvRmT1_T2_T3_mT4_P12ihipStream_tbEUlT_E1_NS1_11comp_targetILNS1_3genE9ELNS1_11target_archE1100ELNS1_3gpuE3ELNS1_3repE0EEENS1_30default_config_static_selectorELNS0_4arch9wavefront6targetE1EEEvS14_ ; -- Begin function _ZN7rocprim17ROCPRIM_400000_NS6detail17trampoline_kernelINS0_14default_configENS1_22reduce_config_selectorIN6thrust23THRUST_200600_302600_NS5tupleIblNS6_9null_typeES8_S8_S8_S8_S8_S8_S8_EEEEZNS1_11reduce_implILb1ES3_NS6_12zip_iteratorINS7_INS6_11hip_rocprim26transform_input_iterator_tIbNSD_35transform_pair_of_input_iterators_tIbNS6_6detail15normal_iteratorINS6_10device_ptrIKfEEEESL_NS6_8equal_toIfEEEENSG_9not_fun_tINSD_8identityEEEEENSD_19counting_iterator_tIlEES8_S8_S8_S8_S8_S8_S8_S8_EEEEPS9_S9_NSD_9__find_if7functorIS9_EEEE10hipError_tPvRmT1_T2_T3_mT4_P12ihipStream_tbEUlT_E1_NS1_11comp_targetILNS1_3genE9ELNS1_11target_archE1100ELNS1_3gpuE3ELNS1_3repE0EEENS1_30default_config_static_selectorELNS0_4arch9wavefront6targetE1EEEvS14_
	.globl	_ZN7rocprim17ROCPRIM_400000_NS6detail17trampoline_kernelINS0_14default_configENS1_22reduce_config_selectorIN6thrust23THRUST_200600_302600_NS5tupleIblNS6_9null_typeES8_S8_S8_S8_S8_S8_S8_EEEEZNS1_11reduce_implILb1ES3_NS6_12zip_iteratorINS7_INS6_11hip_rocprim26transform_input_iterator_tIbNSD_35transform_pair_of_input_iterators_tIbNS6_6detail15normal_iteratorINS6_10device_ptrIKfEEEESL_NS6_8equal_toIfEEEENSG_9not_fun_tINSD_8identityEEEEENSD_19counting_iterator_tIlEES8_S8_S8_S8_S8_S8_S8_S8_EEEEPS9_S9_NSD_9__find_if7functorIS9_EEEE10hipError_tPvRmT1_T2_T3_mT4_P12ihipStream_tbEUlT_E1_NS1_11comp_targetILNS1_3genE9ELNS1_11target_archE1100ELNS1_3gpuE3ELNS1_3repE0EEENS1_30default_config_static_selectorELNS0_4arch9wavefront6targetE1EEEvS14_
	.p2align	8
	.type	_ZN7rocprim17ROCPRIM_400000_NS6detail17trampoline_kernelINS0_14default_configENS1_22reduce_config_selectorIN6thrust23THRUST_200600_302600_NS5tupleIblNS6_9null_typeES8_S8_S8_S8_S8_S8_S8_EEEEZNS1_11reduce_implILb1ES3_NS6_12zip_iteratorINS7_INS6_11hip_rocprim26transform_input_iterator_tIbNSD_35transform_pair_of_input_iterators_tIbNS6_6detail15normal_iteratorINS6_10device_ptrIKfEEEESL_NS6_8equal_toIfEEEENSG_9not_fun_tINSD_8identityEEEEENSD_19counting_iterator_tIlEES8_S8_S8_S8_S8_S8_S8_S8_EEEEPS9_S9_NSD_9__find_if7functorIS9_EEEE10hipError_tPvRmT1_T2_T3_mT4_P12ihipStream_tbEUlT_E1_NS1_11comp_targetILNS1_3genE9ELNS1_11target_archE1100ELNS1_3gpuE3ELNS1_3repE0EEENS1_30default_config_static_selectorELNS0_4arch9wavefront6targetE1EEEvS14_,@function
_ZN7rocprim17ROCPRIM_400000_NS6detail17trampoline_kernelINS0_14default_configENS1_22reduce_config_selectorIN6thrust23THRUST_200600_302600_NS5tupleIblNS6_9null_typeES8_S8_S8_S8_S8_S8_S8_EEEEZNS1_11reduce_implILb1ES3_NS6_12zip_iteratorINS7_INS6_11hip_rocprim26transform_input_iterator_tIbNSD_35transform_pair_of_input_iterators_tIbNS6_6detail15normal_iteratorINS6_10device_ptrIKfEEEESL_NS6_8equal_toIfEEEENSG_9not_fun_tINSD_8identityEEEEENSD_19counting_iterator_tIlEES8_S8_S8_S8_S8_S8_S8_S8_EEEEPS9_S9_NSD_9__find_if7functorIS9_EEEE10hipError_tPvRmT1_T2_T3_mT4_P12ihipStream_tbEUlT_E1_NS1_11comp_targetILNS1_3genE9ELNS1_11target_archE1100ELNS1_3gpuE3ELNS1_3repE0EEENS1_30default_config_static_selectorELNS0_4arch9wavefront6targetE1EEEvS14_: ; @_ZN7rocprim17ROCPRIM_400000_NS6detail17trampoline_kernelINS0_14default_configENS1_22reduce_config_selectorIN6thrust23THRUST_200600_302600_NS5tupleIblNS6_9null_typeES8_S8_S8_S8_S8_S8_S8_EEEEZNS1_11reduce_implILb1ES3_NS6_12zip_iteratorINS7_INS6_11hip_rocprim26transform_input_iterator_tIbNSD_35transform_pair_of_input_iterators_tIbNS6_6detail15normal_iteratorINS6_10device_ptrIKfEEEESL_NS6_8equal_toIfEEEENSG_9not_fun_tINSD_8identityEEEEENSD_19counting_iterator_tIlEES8_S8_S8_S8_S8_S8_S8_S8_EEEEPS9_S9_NSD_9__find_if7functorIS9_EEEE10hipError_tPvRmT1_T2_T3_mT4_P12ihipStream_tbEUlT_E1_NS1_11comp_targetILNS1_3genE9ELNS1_11target_archE1100ELNS1_3gpuE3ELNS1_3repE0EEENS1_30default_config_static_selectorELNS0_4arch9wavefront6targetE1EEEvS14_
; %bb.0:
	.section	.rodata,"a",@progbits
	.p2align	6, 0x0
	.amdhsa_kernel _ZN7rocprim17ROCPRIM_400000_NS6detail17trampoline_kernelINS0_14default_configENS1_22reduce_config_selectorIN6thrust23THRUST_200600_302600_NS5tupleIblNS6_9null_typeES8_S8_S8_S8_S8_S8_S8_EEEEZNS1_11reduce_implILb1ES3_NS6_12zip_iteratorINS7_INS6_11hip_rocprim26transform_input_iterator_tIbNSD_35transform_pair_of_input_iterators_tIbNS6_6detail15normal_iteratorINS6_10device_ptrIKfEEEESL_NS6_8equal_toIfEEEENSG_9not_fun_tINSD_8identityEEEEENSD_19counting_iterator_tIlEES8_S8_S8_S8_S8_S8_S8_S8_EEEEPS9_S9_NSD_9__find_if7functorIS9_EEEE10hipError_tPvRmT1_T2_T3_mT4_P12ihipStream_tbEUlT_E1_NS1_11comp_targetILNS1_3genE9ELNS1_11target_archE1100ELNS1_3gpuE3ELNS1_3repE0EEENS1_30default_config_static_selectorELNS0_4arch9wavefront6targetE1EEEvS14_
		.amdhsa_group_segment_fixed_size 0
		.amdhsa_private_segment_fixed_size 0
		.amdhsa_kernarg_size 88
		.amdhsa_user_sgpr_count 6
		.amdhsa_user_sgpr_private_segment_buffer 1
		.amdhsa_user_sgpr_dispatch_ptr 0
		.amdhsa_user_sgpr_queue_ptr 0
		.amdhsa_user_sgpr_kernarg_segment_ptr 1
		.amdhsa_user_sgpr_dispatch_id 0
		.amdhsa_user_sgpr_flat_scratch_init 0
		.amdhsa_user_sgpr_kernarg_preload_length 0
		.amdhsa_user_sgpr_kernarg_preload_offset 0
		.amdhsa_user_sgpr_private_segment_size 0
		.amdhsa_uses_dynamic_stack 0
		.amdhsa_system_sgpr_private_segment_wavefront_offset 0
		.amdhsa_system_sgpr_workgroup_id_x 1
		.amdhsa_system_sgpr_workgroup_id_y 0
		.amdhsa_system_sgpr_workgroup_id_z 0
		.amdhsa_system_sgpr_workgroup_info 0
		.amdhsa_system_vgpr_workitem_id 0
		.amdhsa_next_free_vgpr 1
		.amdhsa_next_free_sgpr 0
		.amdhsa_accum_offset 4
		.amdhsa_reserve_vcc 0
		.amdhsa_reserve_flat_scratch 0
		.amdhsa_float_round_mode_32 0
		.amdhsa_float_round_mode_16_64 0
		.amdhsa_float_denorm_mode_32 3
		.amdhsa_float_denorm_mode_16_64 3
		.amdhsa_dx10_clamp 1
		.amdhsa_ieee_mode 1
		.amdhsa_fp16_overflow 0
		.amdhsa_tg_split 0
		.amdhsa_exception_fp_ieee_invalid_op 0
		.amdhsa_exception_fp_denorm_src 0
		.amdhsa_exception_fp_ieee_div_zero 0
		.amdhsa_exception_fp_ieee_overflow 0
		.amdhsa_exception_fp_ieee_underflow 0
		.amdhsa_exception_fp_ieee_inexact 0
		.amdhsa_exception_int_div_zero 0
	.end_amdhsa_kernel
	.section	.text._ZN7rocprim17ROCPRIM_400000_NS6detail17trampoline_kernelINS0_14default_configENS1_22reduce_config_selectorIN6thrust23THRUST_200600_302600_NS5tupleIblNS6_9null_typeES8_S8_S8_S8_S8_S8_S8_EEEEZNS1_11reduce_implILb1ES3_NS6_12zip_iteratorINS7_INS6_11hip_rocprim26transform_input_iterator_tIbNSD_35transform_pair_of_input_iterators_tIbNS6_6detail15normal_iteratorINS6_10device_ptrIKfEEEESL_NS6_8equal_toIfEEEENSG_9not_fun_tINSD_8identityEEEEENSD_19counting_iterator_tIlEES8_S8_S8_S8_S8_S8_S8_S8_EEEEPS9_S9_NSD_9__find_if7functorIS9_EEEE10hipError_tPvRmT1_T2_T3_mT4_P12ihipStream_tbEUlT_E1_NS1_11comp_targetILNS1_3genE9ELNS1_11target_archE1100ELNS1_3gpuE3ELNS1_3repE0EEENS1_30default_config_static_selectorELNS0_4arch9wavefront6targetE1EEEvS14_,"axG",@progbits,_ZN7rocprim17ROCPRIM_400000_NS6detail17trampoline_kernelINS0_14default_configENS1_22reduce_config_selectorIN6thrust23THRUST_200600_302600_NS5tupleIblNS6_9null_typeES8_S8_S8_S8_S8_S8_S8_EEEEZNS1_11reduce_implILb1ES3_NS6_12zip_iteratorINS7_INS6_11hip_rocprim26transform_input_iterator_tIbNSD_35transform_pair_of_input_iterators_tIbNS6_6detail15normal_iteratorINS6_10device_ptrIKfEEEESL_NS6_8equal_toIfEEEENSG_9not_fun_tINSD_8identityEEEEENSD_19counting_iterator_tIlEES8_S8_S8_S8_S8_S8_S8_S8_EEEEPS9_S9_NSD_9__find_if7functorIS9_EEEE10hipError_tPvRmT1_T2_T3_mT4_P12ihipStream_tbEUlT_E1_NS1_11comp_targetILNS1_3genE9ELNS1_11target_archE1100ELNS1_3gpuE3ELNS1_3repE0EEENS1_30default_config_static_selectorELNS0_4arch9wavefront6targetE1EEEvS14_,comdat
.Lfunc_end93:
	.size	_ZN7rocprim17ROCPRIM_400000_NS6detail17trampoline_kernelINS0_14default_configENS1_22reduce_config_selectorIN6thrust23THRUST_200600_302600_NS5tupleIblNS6_9null_typeES8_S8_S8_S8_S8_S8_S8_EEEEZNS1_11reduce_implILb1ES3_NS6_12zip_iteratorINS7_INS6_11hip_rocprim26transform_input_iterator_tIbNSD_35transform_pair_of_input_iterators_tIbNS6_6detail15normal_iteratorINS6_10device_ptrIKfEEEESL_NS6_8equal_toIfEEEENSG_9not_fun_tINSD_8identityEEEEENSD_19counting_iterator_tIlEES8_S8_S8_S8_S8_S8_S8_S8_EEEEPS9_S9_NSD_9__find_if7functorIS9_EEEE10hipError_tPvRmT1_T2_T3_mT4_P12ihipStream_tbEUlT_E1_NS1_11comp_targetILNS1_3genE9ELNS1_11target_archE1100ELNS1_3gpuE3ELNS1_3repE0EEENS1_30default_config_static_selectorELNS0_4arch9wavefront6targetE1EEEvS14_, .Lfunc_end93-_ZN7rocprim17ROCPRIM_400000_NS6detail17trampoline_kernelINS0_14default_configENS1_22reduce_config_selectorIN6thrust23THRUST_200600_302600_NS5tupleIblNS6_9null_typeES8_S8_S8_S8_S8_S8_S8_EEEEZNS1_11reduce_implILb1ES3_NS6_12zip_iteratorINS7_INS6_11hip_rocprim26transform_input_iterator_tIbNSD_35transform_pair_of_input_iterators_tIbNS6_6detail15normal_iteratorINS6_10device_ptrIKfEEEESL_NS6_8equal_toIfEEEENSG_9not_fun_tINSD_8identityEEEEENSD_19counting_iterator_tIlEES8_S8_S8_S8_S8_S8_S8_S8_EEEEPS9_S9_NSD_9__find_if7functorIS9_EEEE10hipError_tPvRmT1_T2_T3_mT4_P12ihipStream_tbEUlT_E1_NS1_11comp_targetILNS1_3genE9ELNS1_11target_archE1100ELNS1_3gpuE3ELNS1_3repE0EEENS1_30default_config_static_selectorELNS0_4arch9wavefront6targetE1EEEvS14_
                                        ; -- End function
	.section	.AMDGPU.csdata,"",@progbits
; Kernel info:
; codeLenInByte = 0
; NumSgprs: 4
; NumVgprs: 0
; NumAgprs: 0
; TotalNumVgprs: 0
; ScratchSize: 0
; MemoryBound: 0
; FloatMode: 240
; IeeeMode: 1
; LDSByteSize: 0 bytes/workgroup (compile time only)
; SGPRBlocks: 0
; VGPRBlocks: 0
; NumSGPRsForWavesPerEU: 4
; NumVGPRsForWavesPerEU: 1
; AccumOffset: 4
; Occupancy: 8
; WaveLimiterHint : 0
; COMPUTE_PGM_RSRC2:SCRATCH_EN: 0
; COMPUTE_PGM_RSRC2:USER_SGPR: 6
; COMPUTE_PGM_RSRC2:TRAP_HANDLER: 0
; COMPUTE_PGM_RSRC2:TGID_X_EN: 1
; COMPUTE_PGM_RSRC2:TGID_Y_EN: 0
; COMPUTE_PGM_RSRC2:TGID_Z_EN: 0
; COMPUTE_PGM_RSRC2:TIDIG_COMP_CNT: 0
; COMPUTE_PGM_RSRC3_GFX90A:ACCUM_OFFSET: 0
; COMPUTE_PGM_RSRC3_GFX90A:TG_SPLIT: 0
	.section	.text._ZN7rocprim17ROCPRIM_400000_NS6detail17trampoline_kernelINS0_14default_configENS1_22reduce_config_selectorIN6thrust23THRUST_200600_302600_NS5tupleIblNS6_9null_typeES8_S8_S8_S8_S8_S8_S8_EEEEZNS1_11reduce_implILb1ES3_NS6_12zip_iteratorINS7_INS6_11hip_rocprim26transform_input_iterator_tIbNSD_35transform_pair_of_input_iterators_tIbNS6_6detail15normal_iteratorINS6_10device_ptrIKfEEEESL_NS6_8equal_toIfEEEENSG_9not_fun_tINSD_8identityEEEEENSD_19counting_iterator_tIlEES8_S8_S8_S8_S8_S8_S8_S8_EEEEPS9_S9_NSD_9__find_if7functorIS9_EEEE10hipError_tPvRmT1_T2_T3_mT4_P12ihipStream_tbEUlT_E1_NS1_11comp_targetILNS1_3genE8ELNS1_11target_archE1030ELNS1_3gpuE2ELNS1_3repE0EEENS1_30default_config_static_selectorELNS0_4arch9wavefront6targetE1EEEvS14_,"axG",@progbits,_ZN7rocprim17ROCPRIM_400000_NS6detail17trampoline_kernelINS0_14default_configENS1_22reduce_config_selectorIN6thrust23THRUST_200600_302600_NS5tupleIblNS6_9null_typeES8_S8_S8_S8_S8_S8_S8_EEEEZNS1_11reduce_implILb1ES3_NS6_12zip_iteratorINS7_INS6_11hip_rocprim26transform_input_iterator_tIbNSD_35transform_pair_of_input_iterators_tIbNS6_6detail15normal_iteratorINS6_10device_ptrIKfEEEESL_NS6_8equal_toIfEEEENSG_9not_fun_tINSD_8identityEEEEENSD_19counting_iterator_tIlEES8_S8_S8_S8_S8_S8_S8_S8_EEEEPS9_S9_NSD_9__find_if7functorIS9_EEEE10hipError_tPvRmT1_T2_T3_mT4_P12ihipStream_tbEUlT_E1_NS1_11comp_targetILNS1_3genE8ELNS1_11target_archE1030ELNS1_3gpuE2ELNS1_3repE0EEENS1_30default_config_static_selectorELNS0_4arch9wavefront6targetE1EEEvS14_,comdat
	.protected	_ZN7rocprim17ROCPRIM_400000_NS6detail17trampoline_kernelINS0_14default_configENS1_22reduce_config_selectorIN6thrust23THRUST_200600_302600_NS5tupleIblNS6_9null_typeES8_S8_S8_S8_S8_S8_S8_EEEEZNS1_11reduce_implILb1ES3_NS6_12zip_iteratorINS7_INS6_11hip_rocprim26transform_input_iterator_tIbNSD_35transform_pair_of_input_iterators_tIbNS6_6detail15normal_iteratorINS6_10device_ptrIKfEEEESL_NS6_8equal_toIfEEEENSG_9not_fun_tINSD_8identityEEEEENSD_19counting_iterator_tIlEES8_S8_S8_S8_S8_S8_S8_S8_EEEEPS9_S9_NSD_9__find_if7functorIS9_EEEE10hipError_tPvRmT1_T2_T3_mT4_P12ihipStream_tbEUlT_E1_NS1_11comp_targetILNS1_3genE8ELNS1_11target_archE1030ELNS1_3gpuE2ELNS1_3repE0EEENS1_30default_config_static_selectorELNS0_4arch9wavefront6targetE1EEEvS14_ ; -- Begin function _ZN7rocprim17ROCPRIM_400000_NS6detail17trampoline_kernelINS0_14default_configENS1_22reduce_config_selectorIN6thrust23THRUST_200600_302600_NS5tupleIblNS6_9null_typeES8_S8_S8_S8_S8_S8_S8_EEEEZNS1_11reduce_implILb1ES3_NS6_12zip_iteratorINS7_INS6_11hip_rocprim26transform_input_iterator_tIbNSD_35transform_pair_of_input_iterators_tIbNS6_6detail15normal_iteratorINS6_10device_ptrIKfEEEESL_NS6_8equal_toIfEEEENSG_9not_fun_tINSD_8identityEEEEENSD_19counting_iterator_tIlEES8_S8_S8_S8_S8_S8_S8_S8_EEEEPS9_S9_NSD_9__find_if7functorIS9_EEEE10hipError_tPvRmT1_T2_T3_mT4_P12ihipStream_tbEUlT_E1_NS1_11comp_targetILNS1_3genE8ELNS1_11target_archE1030ELNS1_3gpuE2ELNS1_3repE0EEENS1_30default_config_static_selectorELNS0_4arch9wavefront6targetE1EEEvS14_
	.globl	_ZN7rocprim17ROCPRIM_400000_NS6detail17trampoline_kernelINS0_14default_configENS1_22reduce_config_selectorIN6thrust23THRUST_200600_302600_NS5tupleIblNS6_9null_typeES8_S8_S8_S8_S8_S8_S8_EEEEZNS1_11reduce_implILb1ES3_NS6_12zip_iteratorINS7_INS6_11hip_rocprim26transform_input_iterator_tIbNSD_35transform_pair_of_input_iterators_tIbNS6_6detail15normal_iteratorINS6_10device_ptrIKfEEEESL_NS6_8equal_toIfEEEENSG_9not_fun_tINSD_8identityEEEEENSD_19counting_iterator_tIlEES8_S8_S8_S8_S8_S8_S8_S8_EEEEPS9_S9_NSD_9__find_if7functorIS9_EEEE10hipError_tPvRmT1_T2_T3_mT4_P12ihipStream_tbEUlT_E1_NS1_11comp_targetILNS1_3genE8ELNS1_11target_archE1030ELNS1_3gpuE2ELNS1_3repE0EEENS1_30default_config_static_selectorELNS0_4arch9wavefront6targetE1EEEvS14_
	.p2align	8
	.type	_ZN7rocprim17ROCPRIM_400000_NS6detail17trampoline_kernelINS0_14default_configENS1_22reduce_config_selectorIN6thrust23THRUST_200600_302600_NS5tupleIblNS6_9null_typeES8_S8_S8_S8_S8_S8_S8_EEEEZNS1_11reduce_implILb1ES3_NS6_12zip_iteratorINS7_INS6_11hip_rocprim26transform_input_iterator_tIbNSD_35transform_pair_of_input_iterators_tIbNS6_6detail15normal_iteratorINS6_10device_ptrIKfEEEESL_NS6_8equal_toIfEEEENSG_9not_fun_tINSD_8identityEEEEENSD_19counting_iterator_tIlEES8_S8_S8_S8_S8_S8_S8_S8_EEEEPS9_S9_NSD_9__find_if7functorIS9_EEEE10hipError_tPvRmT1_T2_T3_mT4_P12ihipStream_tbEUlT_E1_NS1_11comp_targetILNS1_3genE8ELNS1_11target_archE1030ELNS1_3gpuE2ELNS1_3repE0EEENS1_30default_config_static_selectorELNS0_4arch9wavefront6targetE1EEEvS14_,@function
_ZN7rocprim17ROCPRIM_400000_NS6detail17trampoline_kernelINS0_14default_configENS1_22reduce_config_selectorIN6thrust23THRUST_200600_302600_NS5tupleIblNS6_9null_typeES8_S8_S8_S8_S8_S8_S8_EEEEZNS1_11reduce_implILb1ES3_NS6_12zip_iteratorINS7_INS6_11hip_rocprim26transform_input_iterator_tIbNSD_35transform_pair_of_input_iterators_tIbNS6_6detail15normal_iteratorINS6_10device_ptrIKfEEEESL_NS6_8equal_toIfEEEENSG_9not_fun_tINSD_8identityEEEEENSD_19counting_iterator_tIlEES8_S8_S8_S8_S8_S8_S8_S8_EEEEPS9_S9_NSD_9__find_if7functorIS9_EEEE10hipError_tPvRmT1_T2_T3_mT4_P12ihipStream_tbEUlT_E1_NS1_11comp_targetILNS1_3genE8ELNS1_11target_archE1030ELNS1_3gpuE2ELNS1_3repE0EEENS1_30default_config_static_selectorELNS0_4arch9wavefront6targetE1EEEvS14_: ; @_ZN7rocprim17ROCPRIM_400000_NS6detail17trampoline_kernelINS0_14default_configENS1_22reduce_config_selectorIN6thrust23THRUST_200600_302600_NS5tupleIblNS6_9null_typeES8_S8_S8_S8_S8_S8_S8_EEEEZNS1_11reduce_implILb1ES3_NS6_12zip_iteratorINS7_INS6_11hip_rocprim26transform_input_iterator_tIbNSD_35transform_pair_of_input_iterators_tIbNS6_6detail15normal_iteratorINS6_10device_ptrIKfEEEESL_NS6_8equal_toIfEEEENSG_9not_fun_tINSD_8identityEEEEENSD_19counting_iterator_tIlEES8_S8_S8_S8_S8_S8_S8_S8_EEEEPS9_S9_NSD_9__find_if7functorIS9_EEEE10hipError_tPvRmT1_T2_T3_mT4_P12ihipStream_tbEUlT_E1_NS1_11comp_targetILNS1_3genE8ELNS1_11target_archE1030ELNS1_3gpuE2ELNS1_3repE0EEENS1_30default_config_static_selectorELNS0_4arch9wavefront6targetE1EEEvS14_
; %bb.0:
	.section	.rodata,"a",@progbits
	.p2align	6, 0x0
	.amdhsa_kernel _ZN7rocprim17ROCPRIM_400000_NS6detail17trampoline_kernelINS0_14default_configENS1_22reduce_config_selectorIN6thrust23THRUST_200600_302600_NS5tupleIblNS6_9null_typeES8_S8_S8_S8_S8_S8_S8_EEEEZNS1_11reduce_implILb1ES3_NS6_12zip_iteratorINS7_INS6_11hip_rocprim26transform_input_iterator_tIbNSD_35transform_pair_of_input_iterators_tIbNS6_6detail15normal_iteratorINS6_10device_ptrIKfEEEESL_NS6_8equal_toIfEEEENSG_9not_fun_tINSD_8identityEEEEENSD_19counting_iterator_tIlEES8_S8_S8_S8_S8_S8_S8_S8_EEEEPS9_S9_NSD_9__find_if7functorIS9_EEEE10hipError_tPvRmT1_T2_T3_mT4_P12ihipStream_tbEUlT_E1_NS1_11comp_targetILNS1_3genE8ELNS1_11target_archE1030ELNS1_3gpuE2ELNS1_3repE0EEENS1_30default_config_static_selectorELNS0_4arch9wavefront6targetE1EEEvS14_
		.amdhsa_group_segment_fixed_size 0
		.amdhsa_private_segment_fixed_size 0
		.amdhsa_kernarg_size 88
		.amdhsa_user_sgpr_count 6
		.amdhsa_user_sgpr_private_segment_buffer 1
		.amdhsa_user_sgpr_dispatch_ptr 0
		.amdhsa_user_sgpr_queue_ptr 0
		.amdhsa_user_sgpr_kernarg_segment_ptr 1
		.amdhsa_user_sgpr_dispatch_id 0
		.amdhsa_user_sgpr_flat_scratch_init 0
		.amdhsa_user_sgpr_kernarg_preload_length 0
		.amdhsa_user_sgpr_kernarg_preload_offset 0
		.amdhsa_user_sgpr_private_segment_size 0
		.amdhsa_uses_dynamic_stack 0
		.amdhsa_system_sgpr_private_segment_wavefront_offset 0
		.amdhsa_system_sgpr_workgroup_id_x 1
		.amdhsa_system_sgpr_workgroup_id_y 0
		.amdhsa_system_sgpr_workgroup_id_z 0
		.amdhsa_system_sgpr_workgroup_info 0
		.amdhsa_system_vgpr_workitem_id 0
		.amdhsa_next_free_vgpr 1
		.amdhsa_next_free_sgpr 0
		.amdhsa_accum_offset 4
		.amdhsa_reserve_vcc 0
		.amdhsa_reserve_flat_scratch 0
		.amdhsa_float_round_mode_32 0
		.amdhsa_float_round_mode_16_64 0
		.amdhsa_float_denorm_mode_32 3
		.amdhsa_float_denorm_mode_16_64 3
		.amdhsa_dx10_clamp 1
		.amdhsa_ieee_mode 1
		.amdhsa_fp16_overflow 0
		.amdhsa_tg_split 0
		.amdhsa_exception_fp_ieee_invalid_op 0
		.amdhsa_exception_fp_denorm_src 0
		.amdhsa_exception_fp_ieee_div_zero 0
		.amdhsa_exception_fp_ieee_overflow 0
		.amdhsa_exception_fp_ieee_underflow 0
		.amdhsa_exception_fp_ieee_inexact 0
		.amdhsa_exception_int_div_zero 0
	.end_amdhsa_kernel
	.section	.text._ZN7rocprim17ROCPRIM_400000_NS6detail17trampoline_kernelINS0_14default_configENS1_22reduce_config_selectorIN6thrust23THRUST_200600_302600_NS5tupleIblNS6_9null_typeES8_S8_S8_S8_S8_S8_S8_EEEEZNS1_11reduce_implILb1ES3_NS6_12zip_iteratorINS7_INS6_11hip_rocprim26transform_input_iterator_tIbNSD_35transform_pair_of_input_iterators_tIbNS6_6detail15normal_iteratorINS6_10device_ptrIKfEEEESL_NS6_8equal_toIfEEEENSG_9not_fun_tINSD_8identityEEEEENSD_19counting_iterator_tIlEES8_S8_S8_S8_S8_S8_S8_S8_EEEEPS9_S9_NSD_9__find_if7functorIS9_EEEE10hipError_tPvRmT1_T2_T3_mT4_P12ihipStream_tbEUlT_E1_NS1_11comp_targetILNS1_3genE8ELNS1_11target_archE1030ELNS1_3gpuE2ELNS1_3repE0EEENS1_30default_config_static_selectorELNS0_4arch9wavefront6targetE1EEEvS14_,"axG",@progbits,_ZN7rocprim17ROCPRIM_400000_NS6detail17trampoline_kernelINS0_14default_configENS1_22reduce_config_selectorIN6thrust23THRUST_200600_302600_NS5tupleIblNS6_9null_typeES8_S8_S8_S8_S8_S8_S8_EEEEZNS1_11reduce_implILb1ES3_NS6_12zip_iteratorINS7_INS6_11hip_rocprim26transform_input_iterator_tIbNSD_35transform_pair_of_input_iterators_tIbNS6_6detail15normal_iteratorINS6_10device_ptrIKfEEEESL_NS6_8equal_toIfEEEENSG_9not_fun_tINSD_8identityEEEEENSD_19counting_iterator_tIlEES8_S8_S8_S8_S8_S8_S8_S8_EEEEPS9_S9_NSD_9__find_if7functorIS9_EEEE10hipError_tPvRmT1_T2_T3_mT4_P12ihipStream_tbEUlT_E1_NS1_11comp_targetILNS1_3genE8ELNS1_11target_archE1030ELNS1_3gpuE2ELNS1_3repE0EEENS1_30default_config_static_selectorELNS0_4arch9wavefront6targetE1EEEvS14_,comdat
.Lfunc_end94:
	.size	_ZN7rocprim17ROCPRIM_400000_NS6detail17trampoline_kernelINS0_14default_configENS1_22reduce_config_selectorIN6thrust23THRUST_200600_302600_NS5tupleIblNS6_9null_typeES8_S8_S8_S8_S8_S8_S8_EEEEZNS1_11reduce_implILb1ES3_NS6_12zip_iteratorINS7_INS6_11hip_rocprim26transform_input_iterator_tIbNSD_35transform_pair_of_input_iterators_tIbNS6_6detail15normal_iteratorINS6_10device_ptrIKfEEEESL_NS6_8equal_toIfEEEENSG_9not_fun_tINSD_8identityEEEEENSD_19counting_iterator_tIlEES8_S8_S8_S8_S8_S8_S8_S8_EEEEPS9_S9_NSD_9__find_if7functorIS9_EEEE10hipError_tPvRmT1_T2_T3_mT4_P12ihipStream_tbEUlT_E1_NS1_11comp_targetILNS1_3genE8ELNS1_11target_archE1030ELNS1_3gpuE2ELNS1_3repE0EEENS1_30default_config_static_selectorELNS0_4arch9wavefront6targetE1EEEvS14_, .Lfunc_end94-_ZN7rocprim17ROCPRIM_400000_NS6detail17trampoline_kernelINS0_14default_configENS1_22reduce_config_selectorIN6thrust23THRUST_200600_302600_NS5tupleIblNS6_9null_typeES8_S8_S8_S8_S8_S8_S8_EEEEZNS1_11reduce_implILb1ES3_NS6_12zip_iteratorINS7_INS6_11hip_rocprim26transform_input_iterator_tIbNSD_35transform_pair_of_input_iterators_tIbNS6_6detail15normal_iteratorINS6_10device_ptrIKfEEEESL_NS6_8equal_toIfEEEENSG_9not_fun_tINSD_8identityEEEEENSD_19counting_iterator_tIlEES8_S8_S8_S8_S8_S8_S8_S8_EEEEPS9_S9_NSD_9__find_if7functorIS9_EEEE10hipError_tPvRmT1_T2_T3_mT4_P12ihipStream_tbEUlT_E1_NS1_11comp_targetILNS1_3genE8ELNS1_11target_archE1030ELNS1_3gpuE2ELNS1_3repE0EEENS1_30default_config_static_selectorELNS0_4arch9wavefront6targetE1EEEvS14_
                                        ; -- End function
	.section	.AMDGPU.csdata,"",@progbits
; Kernel info:
; codeLenInByte = 0
; NumSgprs: 4
; NumVgprs: 0
; NumAgprs: 0
; TotalNumVgprs: 0
; ScratchSize: 0
; MemoryBound: 0
; FloatMode: 240
; IeeeMode: 1
; LDSByteSize: 0 bytes/workgroup (compile time only)
; SGPRBlocks: 0
; VGPRBlocks: 0
; NumSGPRsForWavesPerEU: 4
; NumVGPRsForWavesPerEU: 1
; AccumOffset: 4
; Occupancy: 8
; WaveLimiterHint : 0
; COMPUTE_PGM_RSRC2:SCRATCH_EN: 0
; COMPUTE_PGM_RSRC2:USER_SGPR: 6
; COMPUTE_PGM_RSRC2:TRAP_HANDLER: 0
; COMPUTE_PGM_RSRC2:TGID_X_EN: 1
; COMPUTE_PGM_RSRC2:TGID_Y_EN: 0
; COMPUTE_PGM_RSRC2:TGID_Z_EN: 0
; COMPUTE_PGM_RSRC2:TIDIG_COMP_CNT: 0
; COMPUTE_PGM_RSRC3_GFX90A:ACCUM_OFFSET: 0
; COMPUTE_PGM_RSRC3_GFX90A:TG_SPLIT: 0
	.section	.text._ZN6thrust23THRUST_200600_302600_NS11hip_rocprim14__parallel_for6kernelILj256ENS1_20__uninitialized_fill7functorINS0_10device_ptrIyEEyEEmLj1EEEvT0_T1_SA_,"axG",@progbits,_ZN6thrust23THRUST_200600_302600_NS11hip_rocprim14__parallel_for6kernelILj256ENS1_20__uninitialized_fill7functorINS0_10device_ptrIyEEyEEmLj1EEEvT0_T1_SA_,comdat
	.protected	_ZN6thrust23THRUST_200600_302600_NS11hip_rocprim14__parallel_for6kernelILj256ENS1_20__uninitialized_fill7functorINS0_10device_ptrIyEEyEEmLj1EEEvT0_T1_SA_ ; -- Begin function _ZN6thrust23THRUST_200600_302600_NS11hip_rocprim14__parallel_for6kernelILj256ENS1_20__uninitialized_fill7functorINS0_10device_ptrIyEEyEEmLj1EEEvT0_T1_SA_
	.globl	_ZN6thrust23THRUST_200600_302600_NS11hip_rocprim14__parallel_for6kernelILj256ENS1_20__uninitialized_fill7functorINS0_10device_ptrIyEEyEEmLj1EEEvT0_T1_SA_
	.p2align	8
	.type	_ZN6thrust23THRUST_200600_302600_NS11hip_rocprim14__parallel_for6kernelILj256ENS1_20__uninitialized_fill7functorINS0_10device_ptrIyEEyEEmLj1EEEvT0_T1_SA_,@function
_ZN6thrust23THRUST_200600_302600_NS11hip_rocprim14__parallel_for6kernelILj256ENS1_20__uninitialized_fill7functorINS0_10device_ptrIyEEyEEmLj1EEEvT0_T1_SA_: ; @_ZN6thrust23THRUST_200600_302600_NS11hip_rocprim14__parallel_for6kernelILj256ENS1_20__uninitialized_fill7functorINS0_10device_ptrIyEEyEEmLj1EEEvT0_T1_SA_
; %bb.0:
	s_load_dwordx8 s[8:15], s[4:5], 0x0
	s_lshl_b32 s0, s6, 8
	v_mov_b32_e32 v2, 0x100
	v_mov_b32_e32 v3, 0
	s_waitcnt lgkmcnt(0)
	s_add_u32 s0, s0, s14
	s_addc_u32 s1, 0, s15
	s_sub_u32 s2, s12, s0
	s_subb_u32 s3, s13, s1
	v_cmp_lt_u64_e32 vcc, s[2:3], v[2:3]
	s_cbranch_vccz .LBB95_2
; %bb.1:
	v_cmp_gt_u32_e32 vcc, s2, v0
	s_and_b64 s[2:3], vcc, exec
	s_cbranch_execz .LBB95_3
	s_branch .LBB95_4
.LBB95_2:
	s_mov_b64 s[2:3], 0
.LBB95_3:
	s_or_b64 s[2:3], s[2:3], exec
.LBB95_4:
	s_and_saveexec_b64 s[4:5], s[2:3]
	s_cbranch_execnz .LBB95_6
; %bb.5:
	s_endpgm
.LBB95_6:
	s_lshl_b64 s[0:1], s[0:1], 3
	v_mov_b32_e32 v1, 0
	s_add_u32 s0, s8, s0
	s_addc_u32 s1, s9, s1
	v_lshlrev_b64 v[0:1], 3, v[0:1]
	v_mov_b32_e32 v4, s1
	v_add_co_u32_e32 v0, vcc, s0, v0
	v_mov_b32_e32 v2, s10
	v_mov_b32_e32 v3, s11
	v_addc_co_u32_e32 v1, vcc, v4, v1, vcc
	flat_store_dwordx2 v[0:1], v[2:3]
	s_endpgm
	.section	.rodata,"a",@progbits
	.p2align	6, 0x0
	.amdhsa_kernel _ZN6thrust23THRUST_200600_302600_NS11hip_rocprim14__parallel_for6kernelILj256ENS1_20__uninitialized_fill7functorINS0_10device_ptrIyEEyEEmLj1EEEvT0_T1_SA_
		.amdhsa_group_segment_fixed_size 0
		.amdhsa_private_segment_fixed_size 0
		.amdhsa_kernarg_size 32
		.amdhsa_user_sgpr_count 6
		.amdhsa_user_sgpr_private_segment_buffer 1
		.amdhsa_user_sgpr_dispatch_ptr 0
		.amdhsa_user_sgpr_queue_ptr 0
		.amdhsa_user_sgpr_kernarg_segment_ptr 1
		.amdhsa_user_sgpr_dispatch_id 0
		.amdhsa_user_sgpr_flat_scratch_init 0
		.amdhsa_user_sgpr_kernarg_preload_length 0
		.amdhsa_user_sgpr_kernarg_preload_offset 0
		.amdhsa_user_sgpr_private_segment_size 0
		.amdhsa_uses_dynamic_stack 0
		.amdhsa_system_sgpr_private_segment_wavefront_offset 0
		.amdhsa_system_sgpr_workgroup_id_x 1
		.amdhsa_system_sgpr_workgroup_id_y 0
		.amdhsa_system_sgpr_workgroup_id_z 0
		.amdhsa_system_sgpr_workgroup_info 0
		.amdhsa_system_vgpr_workitem_id 0
		.amdhsa_next_free_vgpr 5
		.amdhsa_next_free_sgpr 16
		.amdhsa_accum_offset 8
		.amdhsa_reserve_vcc 1
		.amdhsa_reserve_flat_scratch 0
		.amdhsa_float_round_mode_32 0
		.amdhsa_float_round_mode_16_64 0
		.amdhsa_float_denorm_mode_32 3
		.amdhsa_float_denorm_mode_16_64 3
		.amdhsa_dx10_clamp 1
		.amdhsa_ieee_mode 1
		.amdhsa_fp16_overflow 0
		.amdhsa_tg_split 0
		.amdhsa_exception_fp_ieee_invalid_op 0
		.amdhsa_exception_fp_denorm_src 0
		.amdhsa_exception_fp_ieee_div_zero 0
		.amdhsa_exception_fp_ieee_overflow 0
		.amdhsa_exception_fp_ieee_underflow 0
		.amdhsa_exception_fp_ieee_inexact 0
		.amdhsa_exception_int_div_zero 0
	.end_amdhsa_kernel
	.section	.text._ZN6thrust23THRUST_200600_302600_NS11hip_rocprim14__parallel_for6kernelILj256ENS1_20__uninitialized_fill7functorINS0_10device_ptrIyEEyEEmLj1EEEvT0_T1_SA_,"axG",@progbits,_ZN6thrust23THRUST_200600_302600_NS11hip_rocprim14__parallel_for6kernelILj256ENS1_20__uninitialized_fill7functorINS0_10device_ptrIyEEyEEmLj1EEEvT0_T1_SA_,comdat
.Lfunc_end95:
	.size	_ZN6thrust23THRUST_200600_302600_NS11hip_rocprim14__parallel_for6kernelILj256ENS1_20__uninitialized_fill7functorINS0_10device_ptrIyEEyEEmLj1EEEvT0_T1_SA_, .Lfunc_end95-_ZN6thrust23THRUST_200600_302600_NS11hip_rocprim14__parallel_for6kernelILj256ENS1_20__uninitialized_fill7functorINS0_10device_ptrIyEEyEEmLj1EEEvT0_T1_SA_
                                        ; -- End function
	.section	.AMDGPU.csdata,"",@progbits
; Kernel info:
; codeLenInByte = 144
; NumSgprs: 20
; NumVgprs: 5
; NumAgprs: 0
; TotalNumVgprs: 5
; ScratchSize: 0
; MemoryBound: 0
; FloatMode: 240
; IeeeMode: 1
; LDSByteSize: 0 bytes/workgroup (compile time only)
; SGPRBlocks: 2
; VGPRBlocks: 0
; NumSGPRsForWavesPerEU: 20
; NumVGPRsForWavesPerEU: 5
; AccumOffset: 8
; Occupancy: 8
; WaveLimiterHint : 0
; COMPUTE_PGM_RSRC2:SCRATCH_EN: 0
; COMPUTE_PGM_RSRC2:USER_SGPR: 6
; COMPUTE_PGM_RSRC2:TRAP_HANDLER: 0
; COMPUTE_PGM_RSRC2:TGID_X_EN: 1
; COMPUTE_PGM_RSRC2:TGID_Y_EN: 0
; COMPUTE_PGM_RSRC2:TGID_Z_EN: 0
; COMPUTE_PGM_RSRC2:TIDIG_COMP_CNT: 0
; COMPUTE_PGM_RSRC3_GFX90A:ACCUM_OFFSET: 1
; COMPUTE_PGM_RSRC3_GFX90A:TG_SPLIT: 0
	.section	.text._ZN7rocprim17ROCPRIM_400000_NS6detail17trampoline_kernelINS0_14default_configENS1_21merge_config_selectorIyNS0_10empty_typeEEEZNS1_10merge_implIS3_N6thrust23THRUST_200600_302600_NS6detail15normal_iteratorINS9_10device_ptrIKyEEEESF_NSB_INSC_IyEEEEPS5_SI_SI_NS9_4lessIyEEEE10hipError_tPvRmT0_T1_T2_T3_T4_T5_mmT6_P12ihipStream_tbEUlT_E_NS1_11comp_targetILNS1_3genE0ELNS1_11target_archE4294967295ELNS1_3gpuE0ELNS1_3repE0EEENS1_30default_config_static_selectorELNS0_4arch9wavefront6targetE1EEEvSP_,"axG",@progbits,_ZN7rocprim17ROCPRIM_400000_NS6detail17trampoline_kernelINS0_14default_configENS1_21merge_config_selectorIyNS0_10empty_typeEEEZNS1_10merge_implIS3_N6thrust23THRUST_200600_302600_NS6detail15normal_iteratorINS9_10device_ptrIKyEEEESF_NSB_INSC_IyEEEEPS5_SI_SI_NS9_4lessIyEEEE10hipError_tPvRmT0_T1_T2_T3_T4_T5_mmT6_P12ihipStream_tbEUlT_E_NS1_11comp_targetILNS1_3genE0ELNS1_11target_archE4294967295ELNS1_3gpuE0ELNS1_3repE0EEENS1_30default_config_static_selectorELNS0_4arch9wavefront6targetE1EEEvSP_,comdat
	.protected	_ZN7rocprim17ROCPRIM_400000_NS6detail17trampoline_kernelINS0_14default_configENS1_21merge_config_selectorIyNS0_10empty_typeEEEZNS1_10merge_implIS3_N6thrust23THRUST_200600_302600_NS6detail15normal_iteratorINS9_10device_ptrIKyEEEESF_NSB_INSC_IyEEEEPS5_SI_SI_NS9_4lessIyEEEE10hipError_tPvRmT0_T1_T2_T3_T4_T5_mmT6_P12ihipStream_tbEUlT_E_NS1_11comp_targetILNS1_3genE0ELNS1_11target_archE4294967295ELNS1_3gpuE0ELNS1_3repE0EEENS1_30default_config_static_selectorELNS0_4arch9wavefront6targetE1EEEvSP_ ; -- Begin function _ZN7rocprim17ROCPRIM_400000_NS6detail17trampoline_kernelINS0_14default_configENS1_21merge_config_selectorIyNS0_10empty_typeEEEZNS1_10merge_implIS3_N6thrust23THRUST_200600_302600_NS6detail15normal_iteratorINS9_10device_ptrIKyEEEESF_NSB_INSC_IyEEEEPS5_SI_SI_NS9_4lessIyEEEE10hipError_tPvRmT0_T1_T2_T3_T4_T5_mmT6_P12ihipStream_tbEUlT_E_NS1_11comp_targetILNS1_3genE0ELNS1_11target_archE4294967295ELNS1_3gpuE0ELNS1_3repE0EEENS1_30default_config_static_selectorELNS0_4arch9wavefront6targetE1EEEvSP_
	.globl	_ZN7rocprim17ROCPRIM_400000_NS6detail17trampoline_kernelINS0_14default_configENS1_21merge_config_selectorIyNS0_10empty_typeEEEZNS1_10merge_implIS3_N6thrust23THRUST_200600_302600_NS6detail15normal_iteratorINS9_10device_ptrIKyEEEESF_NSB_INSC_IyEEEEPS5_SI_SI_NS9_4lessIyEEEE10hipError_tPvRmT0_T1_T2_T3_T4_T5_mmT6_P12ihipStream_tbEUlT_E_NS1_11comp_targetILNS1_3genE0ELNS1_11target_archE4294967295ELNS1_3gpuE0ELNS1_3repE0EEENS1_30default_config_static_selectorELNS0_4arch9wavefront6targetE1EEEvSP_
	.p2align	8
	.type	_ZN7rocprim17ROCPRIM_400000_NS6detail17trampoline_kernelINS0_14default_configENS1_21merge_config_selectorIyNS0_10empty_typeEEEZNS1_10merge_implIS3_N6thrust23THRUST_200600_302600_NS6detail15normal_iteratorINS9_10device_ptrIKyEEEESF_NSB_INSC_IyEEEEPS5_SI_SI_NS9_4lessIyEEEE10hipError_tPvRmT0_T1_T2_T3_T4_T5_mmT6_P12ihipStream_tbEUlT_E_NS1_11comp_targetILNS1_3genE0ELNS1_11target_archE4294967295ELNS1_3gpuE0ELNS1_3repE0EEENS1_30default_config_static_selectorELNS0_4arch9wavefront6targetE1EEEvSP_,@function
_ZN7rocprim17ROCPRIM_400000_NS6detail17trampoline_kernelINS0_14default_configENS1_21merge_config_selectorIyNS0_10empty_typeEEEZNS1_10merge_implIS3_N6thrust23THRUST_200600_302600_NS6detail15normal_iteratorINS9_10device_ptrIKyEEEESF_NSB_INSC_IyEEEEPS5_SI_SI_NS9_4lessIyEEEE10hipError_tPvRmT0_T1_T2_T3_T4_T5_mmT6_P12ihipStream_tbEUlT_E_NS1_11comp_targetILNS1_3genE0ELNS1_11target_archE4294967295ELNS1_3gpuE0ELNS1_3repE0EEENS1_30default_config_static_selectorELNS0_4arch9wavefront6targetE1EEEvSP_: ; @_ZN7rocprim17ROCPRIM_400000_NS6detail17trampoline_kernelINS0_14default_configENS1_21merge_config_selectorIyNS0_10empty_typeEEEZNS1_10merge_implIS3_N6thrust23THRUST_200600_302600_NS6detail15normal_iteratorINS9_10device_ptrIKyEEEESF_NSB_INSC_IyEEEEPS5_SI_SI_NS9_4lessIyEEEE10hipError_tPvRmT0_T1_T2_T3_T4_T5_mmT6_P12ihipStream_tbEUlT_E_NS1_11comp_targetILNS1_3genE0ELNS1_11target_archE4294967295ELNS1_3gpuE0ELNS1_3repE0EEENS1_30default_config_static_selectorELNS0_4arch9wavefront6targetE1EEEvSP_
; %bb.0:
	.section	.rodata,"a",@progbits
	.p2align	6, 0x0
	.amdhsa_kernel _ZN7rocprim17ROCPRIM_400000_NS6detail17trampoline_kernelINS0_14default_configENS1_21merge_config_selectorIyNS0_10empty_typeEEEZNS1_10merge_implIS3_N6thrust23THRUST_200600_302600_NS6detail15normal_iteratorINS9_10device_ptrIKyEEEESF_NSB_INSC_IyEEEEPS5_SI_SI_NS9_4lessIyEEEE10hipError_tPvRmT0_T1_T2_T3_T4_T5_mmT6_P12ihipStream_tbEUlT_E_NS1_11comp_targetILNS1_3genE0ELNS1_11target_archE4294967295ELNS1_3gpuE0ELNS1_3repE0EEENS1_30default_config_static_selectorELNS0_4arch9wavefront6targetE1EEEvSP_
		.amdhsa_group_segment_fixed_size 0
		.amdhsa_private_segment_fixed_size 0
		.amdhsa_kernarg_size 48
		.amdhsa_user_sgpr_count 6
		.amdhsa_user_sgpr_private_segment_buffer 1
		.amdhsa_user_sgpr_dispatch_ptr 0
		.amdhsa_user_sgpr_queue_ptr 0
		.amdhsa_user_sgpr_kernarg_segment_ptr 1
		.amdhsa_user_sgpr_dispatch_id 0
		.amdhsa_user_sgpr_flat_scratch_init 0
		.amdhsa_user_sgpr_kernarg_preload_length 0
		.amdhsa_user_sgpr_kernarg_preload_offset 0
		.amdhsa_user_sgpr_private_segment_size 0
		.amdhsa_uses_dynamic_stack 0
		.amdhsa_system_sgpr_private_segment_wavefront_offset 0
		.amdhsa_system_sgpr_workgroup_id_x 1
		.amdhsa_system_sgpr_workgroup_id_y 0
		.amdhsa_system_sgpr_workgroup_id_z 0
		.amdhsa_system_sgpr_workgroup_info 0
		.amdhsa_system_vgpr_workitem_id 0
		.amdhsa_next_free_vgpr 1
		.amdhsa_next_free_sgpr 0
		.amdhsa_accum_offset 4
		.amdhsa_reserve_vcc 0
		.amdhsa_reserve_flat_scratch 0
		.amdhsa_float_round_mode_32 0
		.amdhsa_float_round_mode_16_64 0
		.amdhsa_float_denorm_mode_32 3
		.amdhsa_float_denorm_mode_16_64 3
		.amdhsa_dx10_clamp 1
		.amdhsa_ieee_mode 1
		.amdhsa_fp16_overflow 0
		.amdhsa_tg_split 0
		.amdhsa_exception_fp_ieee_invalid_op 0
		.amdhsa_exception_fp_denorm_src 0
		.amdhsa_exception_fp_ieee_div_zero 0
		.amdhsa_exception_fp_ieee_overflow 0
		.amdhsa_exception_fp_ieee_underflow 0
		.amdhsa_exception_fp_ieee_inexact 0
		.amdhsa_exception_int_div_zero 0
	.end_amdhsa_kernel
	.section	.text._ZN7rocprim17ROCPRIM_400000_NS6detail17trampoline_kernelINS0_14default_configENS1_21merge_config_selectorIyNS0_10empty_typeEEEZNS1_10merge_implIS3_N6thrust23THRUST_200600_302600_NS6detail15normal_iteratorINS9_10device_ptrIKyEEEESF_NSB_INSC_IyEEEEPS5_SI_SI_NS9_4lessIyEEEE10hipError_tPvRmT0_T1_T2_T3_T4_T5_mmT6_P12ihipStream_tbEUlT_E_NS1_11comp_targetILNS1_3genE0ELNS1_11target_archE4294967295ELNS1_3gpuE0ELNS1_3repE0EEENS1_30default_config_static_selectorELNS0_4arch9wavefront6targetE1EEEvSP_,"axG",@progbits,_ZN7rocprim17ROCPRIM_400000_NS6detail17trampoline_kernelINS0_14default_configENS1_21merge_config_selectorIyNS0_10empty_typeEEEZNS1_10merge_implIS3_N6thrust23THRUST_200600_302600_NS6detail15normal_iteratorINS9_10device_ptrIKyEEEESF_NSB_INSC_IyEEEEPS5_SI_SI_NS9_4lessIyEEEE10hipError_tPvRmT0_T1_T2_T3_T4_T5_mmT6_P12ihipStream_tbEUlT_E_NS1_11comp_targetILNS1_3genE0ELNS1_11target_archE4294967295ELNS1_3gpuE0ELNS1_3repE0EEENS1_30default_config_static_selectorELNS0_4arch9wavefront6targetE1EEEvSP_,comdat
.Lfunc_end96:
	.size	_ZN7rocprim17ROCPRIM_400000_NS6detail17trampoline_kernelINS0_14default_configENS1_21merge_config_selectorIyNS0_10empty_typeEEEZNS1_10merge_implIS3_N6thrust23THRUST_200600_302600_NS6detail15normal_iteratorINS9_10device_ptrIKyEEEESF_NSB_INSC_IyEEEEPS5_SI_SI_NS9_4lessIyEEEE10hipError_tPvRmT0_T1_T2_T3_T4_T5_mmT6_P12ihipStream_tbEUlT_E_NS1_11comp_targetILNS1_3genE0ELNS1_11target_archE4294967295ELNS1_3gpuE0ELNS1_3repE0EEENS1_30default_config_static_selectorELNS0_4arch9wavefront6targetE1EEEvSP_, .Lfunc_end96-_ZN7rocprim17ROCPRIM_400000_NS6detail17trampoline_kernelINS0_14default_configENS1_21merge_config_selectorIyNS0_10empty_typeEEEZNS1_10merge_implIS3_N6thrust23THRUST_200600_302600_NS6detail15normal_iteratorINS9_10device_ptrIKyEEEESF_NSB_INSC_IyEEEEPS5_SI_SI_NS9_4lessIyEEEE10hipError_tPvRmT0_T1_T2_T3_T4_T5_mmT6_P12ihipStream_tbEUlT_E_NS1_11comp_targetILNS1_3genE0ELNS1_11target_archE4294967295ELNS1_3gpuE0ELNS1_3repE0EEENS1_30default_config_static_selectorELNS0_4arch9wavefront6targetE1EEEvSP_
                                        ; -- End function
	.section	.AMDGPU.csdata,"",@progbits
; Kernel info:
; codeLenInByte = 0
; NumSgprs: 4
; NumVgprs: 0
; NumAgprs: 0
; TotalNumVgprs: 0
; ScratchSize: 0
; MemoryBound: 0
; FloatMode: 240
; IeeeMode: 1
; LDSByteSize: 0 bytes/workgroup (compile time only)
; SGPRBlocks: 0
; VGPRBlocks: 0
; NumSGPRsForWavesPerEU: 4
; NumVGPRsForWavesPerEU: 1
; AccumOffset: 4
; Occupancy: 8
; WaveLimiterHint : 0
; COMPUTE_PGM_RSRC2:SCRATCH_EN: 0
; COMPUTE_PGM_RSRC2:USER_SGPR: 6
; COMPUTE_PGM_RSRC2:TRAP_HANDLER: 0
; COMPUTE_PGM_RSRC2:TGID_X_EN: 1
; COMPUTE_PGM_RSRC2:TGID_Y_EN: 0
; COMPUTE_PGM_RSRC2:TGID_Z_EN: 0
; COMPUTE_PGM_RSRC2:TIDIG_COMP_CNT: 0
; COMPUTE_PGM_RSRC3_GFX90A:ACCUM_OFFSET: 0
; COMPUTE_PGM_RSRC3_GFX90A:TG_SPLIT: 0
	.section	.text._ZN7rocprim17ROCPRIM_400000_NS6detail17trampoline_kernelINS0_14default_configENS1_21merge_config_selectorIyNS0_10empty_typeEEEZNS1_10merge_implIS3_N6thrust23THRUST_200600_302600_NS6detail15normal_iteratorINS9_10device_ptrIKyEEEESF_NSB_INSC_IyEEEEPS5_SI_SI_NS9_4lessIyEEEE10hipError_tPvRmT0_T1_T2_T3_T4_T5_mmT6_P12ihipStream_tbEUlT_E_NS1_11comp_targetILNS1_3genE5ELNS1_11target_archE942ELNS1_3gpuE9ELNS1_3repE0EEENS1_30default_config_static_selectorELNS0_4arch9wavefront6targetE1EEEvSP_,"axG",@progbits,_ZN7rocprim17ROCPRIM_400000_NS6detail17trampoline_kernelINS0_14default_configENS1_21merge_config_selectorIyNS0_10empty_typeEEEZNS1_10merge_implIS3_N6thrust23THRUST_200600_302600_NS6detail15normal_iteratorINS9_10device_ptrIKyEEEESF_NSB_INSC_IyEEEEPS5_SI_SI_NS9_4lessIyEEEE10hipError_tPvRmT0_T1_T2_T3_T4_T5_mmT6_P12ihipStream_tbEUlT_E_NS1_11comp_targetILNS1_3genE5ELNS1_11target_archE942ELNS1_3gpuE9ELNS1_3repE0EEENS1_30default_config_static_selectorELNS0_4arch9wavefront6targetE1EEEvSP_,comdat
	.protected	_ZN7rocprim17ROCPRIM_400000_NS6detail17trampoline_kernelINS0_14default_configENS1_21merge_config_selectorIyNS0_10empty_typeEEEZNS1_10merge_implIS3_N6thrust23THRUST_200600_302600_NS6detail15normal_iteratorINS9_10device_ptrIKyEEEESF_NSB_INSC_IyEEEEPS5_SI_SI_NS9_4lessIyEEEE10hipError_tPvRmT0_T1_T2_T3_T4_T5_mmT6_P12ihipStream_tbEUlT_E_NS1_11comp_targetILNS1_3genE5ELNS1_11target_archE942ELNS1_3gpuE9ELNS1_3repE0EEENS1_30default_config_static_selectorELNS0_4arch9wavefront6targetE1EEEvSP_ ; -- Begin function _ZN7rocprim17ROCPRIM_400000_NS6detail17trampoline_kernelINS0_14default_configENS1_21merge_config_selectorIyNS0_10empty_typeEEEZNS1_10merge_implIS3_N6thrust23THRUST_200600_302600_NS6detail15normal_iteratorINS9_10device_ptrIKyEEEESF_NSB_INSC_IyEEEEPS5_SI_SI_NS9_4lessIyEEEE10hipError_tPvRmT0_T1_T2_T3_T4_T5_mmT6_P12ihipStream_tbEUlT_E_NS1_11comp_targetILNS1_3genE5ELNS1_11target_archE942ELNS1_3gpuE9ELNS1_3repE0EEENS1_30default_config_static_selectorELNS0_4arch9wavefront6targetE1EEEvSP_
	.globl	_ZN7rocprim17ROCPRIM_400000_NS6detail17trampoline_kernelINS0_14default_configENS1_21merge_config_selectorIyNS0_10empty_typeEEEZNS1_10merge_implIS3_N6thrust23THRUST_200600_302600_NS6detail15normal_iteratorINS9_10device_ptrIKyEEEESF_NSB_INSC_IyEEEEPS5_SI_SI_NS9_4lessIyEEEE10hipError_tPvRmT0_T1_T2_T3_T4_T5_mmT6_P12ihipStream_tbEUlT_E_NS1_11comp_targetILNS1_3genE5ELNS1_11target_archE942ELNS1_3gpuE9ELNS1_3repE0EEENS1_30default_config_static_selectorELNS0_4arch9wavefront6targetE1EEEvSP_
	.p2align	8
	.type	_ZN7rocprim17ROCPRIM_400000_NS6detail17trampoline_kernelINS0_14default_configENS1_21merge_config_selectorIyNS0_10empty_typeEEEZNS1_10merge_implIS3_N6thrust23THRUST_200600_302600_NS6detail15normal_iteratorINS9_10device_ptrIKyEEEESF_NSB_INSC_IyEEEEPS5_SI_SI_NS9_4lessIyEEEE10hipError_tPvRmT0_T1_T2_T3_T4_T5_mmT6_P12ihipStream_tbEUlT_E_NS1_11comp_targetILNS1_3genE5ELNS1_11target_archE942ELNS1_3gpuE9ELNS1_3repE0EEENS1_30default_config_static_selectorELNS0_4arch9wavefront6targetE1EEEvSP_,@function
_ZN7rocprim17ROCPRIM_400000_NS6detail17trampoline_kernelINS0_14default_configENS1_21merge_config_selectorIyNS0_10empty_typeEEEZNS1_10merge_implIS3_N6thrust23THRUST_200600_302600_NS6detail15normal_iteratorINS9_10device_ptrIKyEEEESF_NSB_INSC_IyEEEEPS5_SI_SI_NS9_4lessIyEEEE10hipError_tPvRmT0_T1_T2_T3_T4_T5_mmT6_P12ihipStream_tbEUlT_E_NS1_11comp_targetILNS1_3genE5ELNS1_11target_archE942ELNS1_3gpuE9ELNS1_3repE0EEENS1_30default_config_static_selectorELNS0_4arch9wavefront6targetE1EEEvSP_: ; @_ZN7rocprim17ROCPRIM_400000_NS6detail17trampoline_kernelINS0_14default_configENS1_21merge_config_selectorIyNS0_10empty_typeEEEZNS1_10merge_implIS3_N6thrust23THRUST_200600_302600_NS6detail15normal_iteratorINS9_10device_ptrIKyEEEESF_NSB_INSC_IyEEEEPS5_SI_SI_NS9_4lessIyEEEE10hipError_tPvRmT0_T1_T2_T3_T4_T5_mmT6_P12ihipStream_tbEUlT_E_NS1_11comp_targetILNS1_3genE5ELNS1_11target_archE942ELNS1_3gpuE9ELNS1_3repE0EEENS1_30default_config_static_selectorELNS0_4arch9wavefront6targetE1EEEvSP_
; %bb.0:
	.section	.rodata,"a",@progbits
	.p2align	6, 0x0
	.amdhsa_kernel _ZN7rocprim17ROCPRIM_400000_NS6detail17trampoline_kernelINS0_14default_configENS1_21merge_config_selectorIyNS0_10empty_typeEEEZNS1_10merge_implIS3_N6thrust23THRUST_200600_302600_NS6detail15normal_iteratorINS9_10device_ptrIKyEEEESF_NSB_INSC_IyEEEEPS5_SI_SI_NS9_4lessIyEEEE10hipError_tPvRmT0_T1_T2_T3_T4_T5_mmT6_P12ihipStream_tbEUlT_E_NS1_11comp_targetILNS1_3genE5ELNS1_11target_archE942ELNS1_3gpuE9ELNS1_3repE0EEENS1_30default_config_static_selectorELNS0_4arch9wavefront6targetE1EEEvSP_
		.amdhsa_group_segment_fixed_size 0
		.amdhsa_private_segment_fixed_size 0
		.amdhsa_kernarg_size 48
		.amdhsa_user_sgpr_count 6
		.amdhsa_user_sgpr_private_segment_buffer 1
		.amdhsa_user_sgpr_dispatch_ptr 0
		.amdhsa_user_sgpr_queue_ptr 0
		.amdhsa_user_sgpr_kernarg_segment_ptr 1
		.amdhsa_user_sgpr_dispatch_id 0
		.amdhsa_user_sgpr_flat_scratch_init 0
		.amdhsa_user_sgpr_kernarg_preload_length 0
		.amdhsa_user_sgpr_kernarg_preload_offset 0
		.amdhsa_user_sgpr_private_segment_size 0
		.amdhsa_uses_dynamic_stack 0
		.amdhsa_system_sgpr_private_segment_wavefront_offset 0
		.amdhsa_system_sgpr_workgroup_id_x 1
		.amdhsa_system_sgpr_workgroup_id_y 0
		.amdhsa_system_sgpr_workgroup_id_z 0
		.amdhsa_system_sgpr_workgroup_info 0
		.amdhsa_system_vgpr_workitem_id 0
		.amdhsa_next_free_vgpr 1
		.amdhsa_next_free_sgpr 0
		.amdhsa_accum_offset 4
		.amdhsa_reserve_vcc 0
		.amdhsa_reserve_flat_scratch 0
		.amdhsa_float_round_mode_32 0
		.amdhsa_float_round_mode_16_64 0
		.amdhsa_float_denorm_mode_32 3
		.amdhsa_float_denorm_mode_16_64 3
		.amdhsa_dx10_clamp 1
		.amdhsa_ieee_mode 1
		.amdhsa_fp16_overflow 0
		.amdhsa_tg_split 0
		.amdhsa_exception_fp_ieee_invalid_op 0
		.amdhsa_exception_fp_denorm_src 0
		.amdhsa_exception_fp_ieee_div_zero 0
		.amdhsa_exception_fp_ieee_overflow 0
		.amdhsa_exception_fp_ieee_underflow 0
		.amdhsa_exception_fp_ieee_inexact 0
		.amdhsa_exception_int_div_zero 0
	.end_amdhsa_kernel
	.section	.text._ZN7rocprim17ROCPRIM_400000_NS6detail17trampoline_kernelINS0_14default_configENS1_21merge_config_selectorIyNS0_10empty_typeEEEZNS1_10merge_implIS3_N6thrust23THRUST_200600_302600_NS6detail15normal_iteratorINS9_10device_ptrIKyEEEESF_NSB_INSC_IyEEEEPS5_SI_SI_NS9_4lessIyEEEE10hipError_tPvRmT0_T1_T2_T3_T4_T5_mmT6_P12ihipStream_tbEUlT_E_NS1_11comp_targetILNS1_3genE5ELNS1_11target_archE942ELNS1_3gpuE9ELNS1_3repE0EEENS1_30default_config_static_selectorELNS0_4arch9wavefront6targetE1EEEvSP_,"axG",@progbits,_ZN7rocprim17ROCPRIM_400000_NS6detail17trampoline_kernelINS0_14default_configENS1_21merge_config_selectorIyNS0_10empty_typeEEEZNS1_10merge_implIS3_N6thrust23THRUST_200600_302600_NS6detail15normal_iteratorINS9_10device_ptrIKyEEEESF_NSB_INSC_IyEEEEPS5_SI_SI_NS9_4lessIyEEEE10hipError_tPvRmT0_T1_T2_T3_T4_T5_mmT6_P12ihipStream_tbEUlT_E_NS1_11comp_targetILNS1_3genE5ELNS1_11target_archE942ELNS1_3gpuE9ELNS1_3repE0EEENS1_30default_config_static_selectorELNS0_4arch9wavefront6targetE1EEEvSP_,comdat
.Lfunc_end97:
	.size	_ZN7rocprim17ROCPRIM_400000_NS6detail17trampoline_kernelINS0_14default_configENS1_21merge_config_selectorIyNS0_10empty_typeEEEZNS1_10merge_implIS3_N6thrust23THRUST_200600_302600_NS6detail15normal_iteratorINS9_10device_ptrIKyEEEESF_NSB_INSC_IyEEEEPS5_SI_SI_NS9_4lessIyEEEE10hipError_tPvRmT0_T1_T2_T3_T4_T5_mmT6_P12ihipStream_tbEUlT_E_NS1_11comp_targetILNS1_3genE5ELNS1_11target_archE942ELNS1_3gpuE9ELNS1_3repE0EEENS1_30default_config_static_selectorELNS0_4arch9wavefront6targetE1EEEvSP_, .Lfunc_end97-_ZN7rocprim17ROCPRIM_400000_NS6detail17trampoline_kernelINS0_14default_configENS1_21merge_config_selectorIyNS0_10empty_typeEEEZNS1_10merge_implIS3_N6thrust23THRUST_200600_302600_NS6detail15normal_iteratorINS9_10device_ptrIKyEEEESF_NSB_INSC_IyEEEEPS5_SI_SI_NS9_4lessIyEEEE10hipError_tPvRmT0_T1_T2_T3_T4_T5_mmT6_P12ihipStream_tbEUlT_E_NS1_11comp_targetILNS1_3genE5ELNS1_11target_archE942ELNS1_3gpuE9ELNS1_3repE0EEENS1_30default_config_static_selectorELNS0_4arch9wavefront6targetE1EEEvSP_
                                        ; -- End function
	.section	.AMDGPU.csdata,"",@progbits
; Kernel info:
; codeLenInByte = 0
; NumSgprs: 4
; NumVgprs: 0
; NumAgprs: 0
; TotalNumVgprs: 0
; ScratchSize: 0
; MemoryBound: 0
; FloatMode: 240
; IeeeMode: 1
; LDSByteSize: 0 bytes/workgroup (compile time only)
; SGPRBlocks: 0
; VGPRBlocks: 0
; NumSGPRsForWavesPerEU: 4
; NumVGPRsForWavesPerEU: 1
; AccumOffset: 4
; Occupancy: 8
; WaveLimiterHint : 0
; COMPUTE_PGM_RSRC2:SCRATCH_EN: 0
; COMPUTE_PGM_RSRC2:USER_SGPR: 6
; COMPUTE_PGM_RSRC2:TRAP_HANDLER: 0
; COMPUTE_PGM_RSRC2:TGID_X_EN: 1
; COMPUTE_PGM_RSRC2:TGID_Y_EN: 0
; COMPUTE_PGM_RSRC2:TGID_Z_EN: 0
; COMPUTE_PGM_RSRC2:TIDIG_COMP_CNT: 0
; COMPUTE_PGM_RSRC3_GFX90A:ACCUM_OFFSET: 0
; COMPUTE_PGM_RSRC3_GFX90A:TG_SPLIT: 0
	.section	.text._ZN7rocprim17ROCPRIM_400000_NS6detail17trampoline_kernelINS0_14default_configENS1_21merge_config_selectorIyNS0_10empty_typeEEEZNS1_10merge_implIS3_N6thrust23THRUST_200600_302600_NS6detail15normal_iteratorINS9_10device_ptrIKyEEEESF_NSB_INSC_IyEEEEPS5_SI_SI_NS9_4lessIyEEEE10hipError_tPvRmT0_T1_T2_T3_T4_T5_mmT6_P12ihipStream_tbEUlT_E_NS1_11comp_targetILNS1_3genE4ELNS1_11target_archE910ELNS1_3gpuE8ELNS1_3repE0EEENS1_30default_config_static_selectorELNS0_4arch9wavefront6targetE1EEEvSP_,"axG",@progbits,_ZN7rocprim17ROCPRIM_400000_NS6detail17trampoline_kernelINS0_14default_configENS1_21merge_config_selectorIyNS0_10empty_typeEEEZNS1_10merge_implIS3_N6thrust23THRUST_200600_302600_NS6detail15normal_iteratorINS9_10device_ptrIKyEEEESF_NSB_INSC_IyEEEEPS5_SI_SI_NS9_4lessIyEEEE10hipError_tPvRmT0_T1_T2_T3_T4_T5_mmT6_P12ihipStream_tbEUlT_E_NS1_11comp_targetILNS1_3genE4ELNS1_11target_archE910ELNS1_3gpuE8ELNS1_3repE0EEENS1_30default_config_static_selectorELNS0_4arch9wavefront6targetE1EEEvSP_,comdat
	.protected	_ZN7rocprim17ROCPRIM_400000_NS6detail17trampoline_kernelINS0_14default_configENS1_21merge_config_selectorIyNS0_10empty_typeEEEZNS1_10merge_implIS3_N6thrust23THRUST_200600_302600_NS6detail15normal_iteratorINS9_10device_ptrIKyEEEESF_NSB_INSC_IyEEEEPS5_SI_SI_NS9_4lessIyEEEE10hipError_tPvRmT0_T1_T2_T3_T4_T5_mmT6_P12ihipStream_tbEUlT_E_NS1_11comp_targetILNS1_3genE4ELNS1_11target_archE910ELNS1_3gpuE8ELNS1_3repE0EEENS1_30default_config_static_selectorELNS0_4arch9wavefront6targetE1EEEvSP_ ; -- Begin function _ZN7rocprim17ROCPRIM_400000_NS6detail17trampoline_kernelINS0_14default_configENS1_21merge_config_selectorIyNS0_10empty_typeEEEZNS1_10merge_implIS3_N6thrust23THRUST_200600_302600_NS6detail15normal_iteratorINS9_10device_ptrIKyEEEESF_NSB_INSC_IyEEEEPS5_SI_SI_NS9_4lessIyEEEE10hipError_tPvRmT0_T1_T2_T3_T4_T5_mmT6_P12ihipStream_tbEUlT_E_NS1_11comp_targetILNS1_3genE4ELNS1_11target_archE910ELNS1_3gpuE8ELNS1_3repE0EEENS1_30default_config_static_selectorELNS0_4arch9wavefront6targetE1EEEvSP_
	.globl	_ZN7rocprim17ROCPRIM_400000_NS6detail17trampoline_kernelINS0_14default_configENS1_21merge_config_selectorIyNS0_10empty_typeEEEZNS1_10merge_implIS3_N6thrust23THRUST_200600_302600_NS6detail15normal_iteratorINS9_10device_ptrIKyEEEESF_NSB_INSC_IyEEEEPS5_SI_SI_NS9_4lessIyEEEE10hipError_tPvRmT0_T1_T2_T3_T4_T5_mmT6_P12ihipStream_tbEUlT_E_NS1_11comp_targetILNS1_3genE4ELNS1_11target_archE910ELNS1_3gpuE8ELNS1_3repE0EEENS1_30default_config_static_selectorELNS0_4arch9wavefront6targetE1EEEvSP_
	.p2align	8
	.type	_ZN7rocprim17ROCPRIM_400000_NS6detail17trampoline_kernelINS0_14default_configENS1_21merge_config_selectorIyNS0_10empty_typeEEEZNS1_10merge_implIS3_N6thrust23THRUST_200600_302600_NS6detail15normal_iteratorINS9_10device_ptrIKyEEEESF_NSB_INSC_IyEEEEPS5_SI_SI_NS9_4lessIyEEEE10hipError_tPvRmT0_T1_T2_T3_T4_T5_mmT6_P12ihipStream_tbEUlT_E_NS1_11comp_targetILNS1_3genE4ELNS1_11target_archE910ELNS1_3gpuE8ELNS1_3repE0EEENS1_30default_config_static_selectorELNS0_4arch9wavefront6targetE1EEEvSP_,@function
_ZN7rocprim17ROCPRIM_400000_NS6detail17trampoline_kernelINS0_14default_configENS1_21merge_config_selectorIyNS0_10empty_typeEEEZNS1_10merge_implIS3_N6thrust23THRUST_200600_302600_NS6detail15normal_iteratorINS9_10device_ptrIKyEEEESF_NSB_INSC_IyEEEEPS5_SI_SI_NS9_4lessIyEEEE10hipError_tPvRmT0_T1_T2_T3_T4_T5_mmT6_P12ihipStream_tbEUlT_E_NS1_11comp_targetILNS1_3genE4ELNS1_11target_archE910ELNS1_3gpuE8ELNS1_3repE0EEENS1_30default_config_static_selectorELNS0_4arch9wavefront6targetE1EEEvSP_: ; @_ZN7rocprim17ROCPRIM_400000_NS6detail17trampoline_kernelINS0_14default_configENS1_21merge_config_selectorIyNS0_10empty_typeEEEZNS1_10merge_implIS3_N6thrust23THRUST_200600_302600_NS6detail15normal_iteratorINS9_10device_ptrIKyEEEESF_NSB_INSC_IyEEEEPS5_SI_SI_NS9_4lessIyEEEE10hipError_tPvRmT0_T1_T2_T3_T4_T5_mmT6_P12ihipStream_tbEUlT_E_NS1_11comp_targetILNS1_3genE4ELNS1_11target_archE910ELNS1_3gpuE8ELNS1_3repE0EEENS1_30default_config_static_selectorELNS0_4arch9wavefront6targetE1EEEvSP_
; %bb.0:
	s_load_dword s7, s[4:5], 0x28
	s_load_dword s0, s[4:5], 0x3c
	s_load_dwordx4 s[8:11], s[4:5], 0x18
	s_waitcnt lgkmcnt(0)
	v_cvt_f32_u32_e32 v1, s7
	s_and_b32 s0, s0, 0xffff
	s_add_u32 s12, s10, s8
	s_addc_u32 s13, s11, s9
	v_rcp_iflag_f32_e32 v1, v1
	s_sub_i32 s1, 0, s7
	s_mul_i32 s6, s6, s0
	s_add_i32 s0, s7, s12
	v_mul_f32_e32 v1, 0x4f7ffffe, v1
	v_cvt_u32_f32_e32 v1, v1
	s_add_i32 s0, s0, -1
	v_add_u32_e32 v0, s6, v0
	v_readfirstlane_b32 s2, v1
	s_mul_i32 s1, s1, s2
	s_mul_hi_u32 s1, s2, s1
	s_add_i32 s2, s2, s1
	s_mul_hi_u32 s1, s0, s2
	s_mul_i32 s2, s1, s7
	s_sub_i32 s0, s0, s2
	s_add_i32 s3, s1, 1
	s_sub_i32 s2, s0, s7
	s_cmp_ge_u32 s0, s7
	s_cselect_b32 s1, s3, s1
	s_cselect_b32 s0, s2, s0
	s_add_i32 s2, s1, 1
	s_cmp_ge_u32 s0, s7
	s_cselect_b32 s0, s2, s1
	v_cmp_ge_u32_e32 vcc, s0, v0
	s_and_saveexec_b64 s[0:1], vcc
	s_cbranch_execz .LBB98_6
; %bb.1:
	v_mul_lo_u32 v2, v0, s7
	v_mov_b32_e32 v3, 0
	v_mov_b32_e32 v1, s13
	v_cmp_gt_u64_e32 vcc, s[12:13], v[2:3]
	v_cndmask_b32_e64 v7, v1, 0, vcc
	v_mov_b32_e32 v1, s12
	v_cndmask_b32_e32 v6, v1, v2, vcc
	v_mov_b32_e32 v1, s11
	v_subrev_co_u32_e32 v2, vcc, s10, v6
	v_subb_co_u32_e32 v3, vcc, v7, v1, vcc
	s_load_dwordx4 s[0:3], s[4:5], 0x0
	v_cmp_gt_u64_e32 vcc, v[2:3], v[6:7]
	v_cndmask_b32_e64 v3, v3, 0, vcc
	v_cndmask_b32_e64 v2, v2, 0, vcc
	v_mov_b32_e32 v1, s9
	v_cmp_gt_u64_e32 vcc, s[8:9], v[6:7]
	v_cndmask_b32_e32 v5, v1, v7, vcc
	v_mov_b32_e32 v1, s8
	v_cndmask_b32_e32 v4, v1, v6, vcc
	v_cmp_lt_u64_e32 vcc, v[2:3], v[4:5]
	s_and_saveexec_b64 s[6:7], vcc
	s_cbranch_execz .LBB98_5
; %bb.2:
	s_load_dwordx2 s[4:5], s[4:5], 0x10
	v_lshlrev_b64 v[6:7], 3, v[6:7]
	s_waitcnt lgkmcnt(0)
	v_mov_b32_e32 v8, s5
	v_add_co_u32_e32 v1, vcc, s4, v6
	v_addc_co_u32_e32 v6, vcc, v8, v7, vcc
	s_mov_b64 s[4:5], 0
	v_mov_b32_e32 v7, s3
.LBB98_3:                               ; =>This Inner Loop Header: Depth=1
	v_add_co_u32_e32 v8, vcc, v4, v2
	v_addc_co_u32_e32 v9, vcc, v5, v3, vcc
	v_lshrrev_b64 v[8:9], 1, v[8:9]
	v_lshlrev_b64 v[12:13], 3, v[8:9]
	v_not_b32_e32 v11, v9
	v_not_b32_e32 v10, v8
	v_add_co_u32_e32 v12, vcc, s2, v12
	v_addc_co_u32_e32 v13, vcc, v7, v13, vcc
	v_lshlrev_b64 v[10:11], 3, v[10:11]
	v_add_co_u32_e32 v10, vcc, v1, v10
	v_addc_co_u32_e32 v11, vcc, v6, v11, vcc
	global_load_dwordx2 v[12:13], v[12:13], off
	v_add_co_u32_e32 v14, vcc, 1, v8
	global_load_dwordx2 v[10:11], v[10:11], off
	v_addc_co_u32_e32 v15, vcc, 0, v9, vcc
	s_waitcnt vmcnt(0)
	v_cmp_lt_u64_e32 vcc, v[10:11], v[12:13]
	v_cndmask_b32_e32 v5, v5, v9, vcc
	v_cndmask_b32_e32 v4, v4, v8, vcc
	v_cndmask_b32_e32 v3, v15, v3, vcc
	v_cndmask_b32_e32 v2, v14, v2, vcc
	v_cmp_ge_u64_e32 vcc, v[2:3], v[4:5]
	s_or_b64 s[4:5], vcc, s[4:5]
	s_andn2_b64 exec, exec, s[4:5]
	s_cbranch_execnz .LBB98_3
; %bb.4:
	s_or_b64 exec, exec, s[4:5]
.LBB98_5:
	s_or_b64 exec, exec, s[6:7]
	v_mov_b32_e32 v1, 0
	v_lshlrev_b64 v[0:1], 2, v[0:1]
	s_waitcnt lgkmcnt(0)
	v_mov_b32_e32 v3, s1
	v_add_co_u32_e32 v0, vcc, s0, v0
	v_addc_co_u32_e32 v1, vcc, v3, v1, vcc
	global_store_dword v[0:1], v2, off
.LBB98_6:
	s_endpgm
	.section	.rodata,"a",@progbits
	.p2align	6, 0x0
	.amdhsa_kernel _ZN7rocprim17ROCPRIM_400000_NS6detail17trampoline_kernelINS0_14default_configENS1_21merge_config_selectorIyNS0_10empty_typeEEEZNS1_10merge_implIS3_N6thrust23THRUST_200600_302600_NS6detail15normal_iteratorINS9_10device_ptrIKyEEEESF_NSB_INSC_IyEEEEPS5_SI_SI_NS9_4lessIyEEEE10hipError_tPvRmT0_T1_T2_T3_T4_T5_mmT6_P12ihipStream_tbEUlT_E_NS1_11comp_targetILNS1_3genE4ELNS1_11target_archE910ELNS1_3gpuE8ELNS1_3repE0EEENS1_30default_config_static_selectorELNS0_4arch9wavefront6targetE1EEEvSP_
		.amdhsa_group_segment_fixed_size 0
		.amdhsa_private_segment_fixed_size 0
		.amdhsa_kernarg_size 304
		.amdhsa_user_sgpr_count 6
		.amdhsa_user_sgpr_private_segment_buffer 1
		.amdhsa_user_sgpr_dispatch_ptr 0
		.amdhsa_user_sgpr_queue_ptr 0
		.amdhsa_user_sgpr_kernarg_segment_ptr 1
		.amdhsa_user_sgpr_dispatch_id 0
		.amdhsa_user_sgpr_flat_scratch_init 0
		.amdhsa_user_sgpr_kernarg_preload_length 0
		.amdhsa_user_sgpr_kernarg_preload_offset 0
		.amdhsa_user_sgpr_private_segment_size 0
		.amdhsa_uses_dynamic_stack 0
		.amdhsa_system_sgpr_private_segment_wavefront_offset 0
		.amdhsa_system_sgpr_workgroup_id_x 1
		.amdhsa_system_sgpr_workgroup_id_y 0
		.amdhsa_system_sgpr_workgroup_id_z 0
		.amdhsa_system_sgpr_workgroup_info 0
		.amdhsa_system_vgpr_workitem_id 0
		.amdhsa_next_free_vgpr 16
		.amdhsa_next_free_sgpr 14
		.amdhsa_accum_offset 16
		.amdhsa_reserve_vcc 1
		.amdhsa_reserve_flat_scratch 0
		.amdhsa_float_round_mode_32 0
		.amdhsa_float_round_mode_16_64 0
		.amdhsa_float_denorm_mode_32 3
		.amdhsa_float_denorm_mode_16_64 3
		.amdhsa_dx10_clamp 1
		.amdhsa_ieee_mode 1
		.amdhsa_fp16_overflow 0
		.amdhsa_tg_split 0
		.amdhsa_exception_fp_ieee_invalid_op 0
		.amdhsa_exception_fp_denorm_src 0
		.amdhsa_exception_fp_ieee_div_zero 0
		.amdhsa_exception_fp_ieee_overflow 0
		.amdhsa_exception_fp_ieee_underflow 0
		.amdhsa_exception_fp_ieee_inexact 0
		.amdhsa_exception_int_div_zero 0
	.end_amdhsa_kernel
	.section	.text._ZN7rocprim17ROCPRIM_400000_NS6detail17trampoline_kernelINS0_14default_configENS1_21merge_config_selectorIyNS0_10empty_typeEEEZNS1_10merge_implIS3_N6thrust23THRUST_200600_302600_NS6detail15normal_iteratorINS9_10device_ptrIKyEEEESF_NSB_INSC_IyEEEEPS5_SI_SI_NS9_4lessIyEEEE10hipError_tPvRmT0_T1_T2_T3_T4_T5_mmT6_P12ihipStream_tbEUlT_E_NS1_11comp_targetILNS1_3genE4ELNS1_11target_archE910ELNS1_3gpuE8ELNS1_3repE0EEENS1_30default_config_static_selectorELNS0_4arch9wavefront6targetE1EEEvSP_,"axG",@progbits,_ZN7rocprim17ROCPRIM_400000_NS6detail17trampoline_kernelINS0_14default_configENS1_21merge_config_selectorIyNS0_10empty_typeEEEZNS1_10merge_implIS3_N6thrust23THRUST_200600_302600_NS6detail15normal_iteratorINS9_10device_ptrIKyEEEESF_NSB_INSC_IyEEEEPS5_SI_SI_NS9_4lessIyEEEE10hipError_tPvRmT0_T1_T2_T3_T4_T5_mmT6_P12ihipStream_tbEUlT_E_NS1_11comp_targetILNS1_3genE4ELNS1_11target_archE910ELNS1_3gpuE8ELNS1_3repE0EEENS1_30default_config_static_selectorELNS0_4arch9wavefront6targetE1EEEvSP_,comdat
.Lfunc_end98:
	.size	_ZN7rocprim17ROCPRIM_400000_NS6detail17trampoline_kernelINS0_14default_configENS1_21merge_config_selectorIyNS0_10empty_typeEEEZNS1_10merge_implIS3_N6thrust23THRUST_200600_302600_NS6detail15normal_iteratorINS9_10device_ptrIKyEEEESF_NSB_INSC_IyEEEEPS5_SI_SI_NS9_4lessIyEEEE10hipError_tPvRmT0_T1_T2_T3_T4_T5_mmT6_P12ihipStream_tbEUlT_E_NS1_11comp_targetILNS1_3genE4ELNS1_11target_archE910ELNS1_3gpuE8ELNS1_3repE0EEENS1_30default_config_static_selectorELNS0_4arch9wavefront6targetE1EEEvSP_, .Lfunc_end98-_ZN7rocprim17ROCPRIM_400000_NS6detail17trampoline_kernelINS0_14default_configENS1_21merge_config_selectorIyNS0_10empty_typeEEEZNS1_10merge_implIS3_N6thrust23THRUST_200600_302600_NS6detail15normal_iteratorINS9_10device_ptrIKyEEEESF_NSB_INSC_IyEEEEPS5_SI_SI_NS9_4lessIyEEEE10hipError_tPvRmT0_T1_T2_T3_T4_T5_mmT6_P12ihipStream_tbEUlT_E_NS1_11comp_targetILNS1_3genE4ELNS1_11target_archE910ELNS1_3gpuE8ELNS1_3repE0EEENS1_30default_config_static_selectorELNS0_4arch9wavefront6targetE1EEEvSP_
                                        ; -- End function
	.section	.AMDGPU.csdata,"",@progbits
; Kernel info:
; codeLenInByte = 472
; NumSgprs: 18
; NumVgprs: 16
; NumAgprs: 0
; TotalNumVgprs: 16
; ScratchSize: 0
; MemoryBound: 0
; FloatMode: 240
; IeeeMode: 1
; LDSByteSize: 0 bytes/workgroup (compile time only)
; SGPRBlocks: 2
; VGPRBlocks: 1
; NumSGPRsForWavesPerEU: 18
; NumVGPRsForWavesPerEU: 16
; AccumOffset: 16
; Occupancy: 8
; WaveLimiterHint : 0
; COMPUTE_PGM_RSRC2:SCRATCH_EN: 0
; COMPUTE_PGM_RSRC2:USER_SGPR: 6
; COMPUTE_PGM_RSRC2:TRAP_HANDLER: 0
; COMPUTE_PGM_RSRC2:TGID_X_EN: 1
; COMPUTE_PGM_RSRC2:TGID_Y_EN: 0
; COMPUTE_PGM_RSRC2:TGID_Z_EN: 0
; COMPUTE_PGM_RSRC2:TIDIG_COMP_CNT: 0
; COMPUTE_PGM_RSRC3_GFX90A:ACCUM_OFFSET: 3
; COMPUTE_PGM_RSRC3_GFX90A:TG_SPLIT: 0
	.section	.text._ZN7rocprim17ROCPRIM_400000_NS6detail17trampoline_kernelINS0_14default_configENS1_21merge_config_selectorIyNS0_10empty_typeEEEZNS1_10merge_implIS3_N6thrust23THRUST_200600_302600_NS6detail15normal_iteratorINS9_10device_ptrIKyEEEESF_NSB_INSC_IyEEEEPS5_SI_SI_NS9_4lessIyEEEE10hipError_tPvRmT0_T1_T2_T3_T4_T5_mmT6_P12ihipStream_tbEUlT_E_NS1_11comp_targetILNS1_3genE3ELNS1_11target_archE908ELNS1_3gpuE7ELNS1_3repE0EEENS1_30default_config_static_selectorELNS0_4arch9wavefront6targetE1EEEvSP_,"axG",@progbits,_ZN7rocprim17ROCPRIM_400000_NS6detail17trampoline_kernelINS0_14default_configENS1_21merge_config_selectorIyNS0_10empty_typeEEEZNS1_10merge_implIS3_N6thrust23THRUST_200600_302600_NS6detail15normal_iteratorINS9_10device_ptrIKyEEEESF_NSB_INSC_IyEEEEPS5_SI_SI_NS9_4lessIyEEEE10hipError_tPvRmT0_T1_T2_T3_T4_T5_mmT6_P12ihipStream_tbEUlT_E_NS1_11comp_targetILNS1_3genE3ELNS1_11target_archE908ELNS1_3gpuE7ELNS1_3repE0EEENS1_30default_config_static_selectorELNS0_4arch9wavefront6targetE1EEEvSP_,comdat
	.protected	_ZN7rocprim17ROCPRIM_400000_NS6detail17trampoline_kernelINS0_14default_configENS1_21merge_config_selectorIyNS0_10empty_typeEEEZNS1_10merge_implIS3_N6thrust23THRUST_200600_302600_NS6detail15normal_iteratorINS9_10device_ptrIKyEEEESF_NSB_INSC_IyEEEEPS5_SI_SI_NS9_4lessIyEEEE10hipError_tPvRmT0_T1_T2_T3_T4_T5_mmT6_P12ihipStream_tbEUlT_E_NS1_11comp_targetILNS1_3genE3ELNS1_11target_archE908ELNS1_3gpuE7ELNS1_3repE0EEENS1_30default_config_static_selectorELNS0_4arch9wavefront6targetE1EEEvSP_ ; -- Begin function _ZN7rocprim17ROCPRIM_400000_NS6detail17trampoline_kernelINS0_14default_configENS1_21merge_config_selectorIyNS0_10empty_typeEEEZNS1_10merge_implIS3_N6thrust23THRUST_200600_302600_NS6detail15normal_iteratorINS9_10device_ptrIKyEEEESF_NSB_INSC_IyEEEEPS5_SI_SI_NS9_4lessIyEEEE10hipError_tPvRmT0_T1_T2_T3_T4_T5_mmT6_P12ihipStream_tbEUlT_E_NS1_11comp_targetILNS1_3genE3ELNS1_11target_archE908ELNS1_3gpuE7ELNS1_3repE0EEENS1_30default_config_static_selectorELNS0_4arch9wavefront6targetE1EEEvSP_
	.globl	_ZN7rocprim17ROCPRIM_400000_NS6detail17trampoline_kernelINS0_14default_configENS1_21merge_config_selectorIyNS0_10empty_typeEEEZNS1_10merge_implIS3_N6thrust23THRUST_200600_302600_NS6detail15normal_iteratorINS9_10device_ptrIKyEEEESF_NSB_INSC_IyEEEEPS5_SI_SI_NS9_4lessIyEEEE10hipError_tPvRmT0_T1_T2_T3_T4_T5_mmT6_P12ihipStream_tbEUlT_E_NS1_11comp_targetILNS1_3genE3ELNS1_11target_archE908ELNS1_3gpuE7ELNS1_3repE0EEENS1_30default_config_static_selectorELNS0_4arch9wavefront6targetE1EEEvSP_
	.p2align	8
	.type	_ZN7rocprim17ROCPRIM_400000_NS6detail17trampoline_kernelINS0_14default_configENS1_21merge_config_selectorIyNS0_10empty_typeEEEZNS1_10merge_implIS3_N6thrust23THRUST_200600_302600_NS6detail15normal_iteratorINS9_10device_ptrIKyEEEESF_NSB_INSC_IyEEEEPS5_SI_SI_NS9_4lessIyEEEE10hipError_tPvRmT0_T1_T2_T3_T4_T5_mmT6_P12ihipStream_tbEUlT_E_NS1_11comp_targetILNS1_3genE3ELNS1_11target_archE908ELNS1_3gpuE7ELNS1_3repE0EEENS1_30default_config_static_selectorELNS0_4arch9wavefront6targetE1EEEvSP_,@function
_ZN7rocprim17ROCPRIM_400000_NS6detail17trampoline_kernelINS0_14default_configENS1_21merge_config_selectorIyNS0_10empty_typeEEEZNS1_10merge_implIS3_N6thrust23THRUST_200600_302600_NS6detail15normal_iteratorINS9_10device_ptrIKyEEEESF_NSB_INSC_IyEEEEPS5_SI_SI_NS9_4lessIyEEEE10hipError_tPvRmT0_T1_T2_T3_T4_T5_mmT6_P12ihipStream_tbEUlT_E_NS1_11comp_targetILNS1_3genE3ELNS1_11target_archE908ELNS1_3gpuE7ELNS1_3repE0EEENS1_30default_config_static_selectorELNS0_4arch9wavefront6targetE1EEEvSP_: ; @_ZN7rocprim17ROCPRIM_400000_NS6detail17trampoline_kernelINS0_14default_configENS1_21merge_config_selectorIyNS0_10empty_typeEEEZNS1_10merge_implIS3_N6thrust23THRUST_200600_302600_NS6detail15normal_iteratorINS9_10device_ptrIKyEEEESF_NSB_INSC_IyEEEEPS5_SI_SI_NS9_4lessIyEEEE10hipError_tPvRmT0_T1_T2_T3_T4_T5_mmT6_P12ihipStream_tbEUlT_E_NS1_11comp_targetILNS1_3genE3ELNS1_11target_archE908ELNS1_3gpuE7ELNS1_3repE0EEENS1_30default_config_static_selectorELNS0_4arch9wavefront6targetE1EEEvSP_
; %bb.0:
	.section	.rodata,"a",@progbits
	.p2align	6, 0x0
	.amdhsa_kernel _ZN7rocprim17ROCPRIM_400000_NS6detail17trampoline_kernelINS0_14default_configENS1_21merge_config_selectorIyNS0_10empty_typeEEEZNS1_10merge_implIS3_N6thrust23THRUST_200600_302600_NS6detail15normal_iteratorINS9_10device_ptrIKyEEEESF_NSB_INSC_IyEEEEPS5_SI_SI_NS9_4lessIyEEEE10hipError_tPvRmT0_T1_T2_T3_T4_T5_mmT6_P12ihipStream_tbEUlT_E_NS1_11comp_targetILNS1_3genE3ELNS1_11target_archE908ELNS1_3gpuE7ELNS1_3repE0EEENS1_30default_config_static_selectorELNS0_4arch9wavefront6targetE1EEEvSP_
		.amdhsa_group_segment_fixed_size 0
		.amdhsa_private_segment_fixed_size 0
		.amdhsa_kernarg_size 48
		.amdhsa_user_sgpr_count 6
		.amdhsa_user_sgpr_private_segment_buffer 1
		.amdhsa_user_sgpr_dispatch_ptr 0
		.amdhsa_user_sgpr_queue_ptr 0
		.amdhsa_user_sgpr_kernarg_segment_ptr 1
		.amdhsa_user_sgpr_dispatch_id 0
		.amdhsa_user_sgpr_flat_scratch_init 0
		.amdhsa_user_sgpr_kernarg_preload_length 0
		.amdhsa_user_sgpr_kernarg_preload_offset 0
		.amdhsa_user_sgpr_private_segment_size 0
		.amdhsa_uses_dynamic_stack 0
		.amdhsa_system_sgpr_private_segment_wavefront_offset 0
		.amdhsa_system_sgpr_workgroup_id_x 1
		.amdhsa_system_sgpr_workgroup_id_y 0
		.amdhsa_system_sgpr_workgroup_id_z 0
		.amdhsa_system_sgpr_workgroup_info 0
		.amdhsa_system_vgpr_workitem_id 0
		.amdhsa_next_free_vgpr 1
		.amdhsa_next_free_sgpr 0
		.amdhsa_accum_offset 4
		.amdhsa_reserve_vcc 0
		.amdhsa_reserve_flat_scratch 0
		.amdhsa_float_round_mode_32 0
		.amdhsa_float_round_mode_16_64 0
		.amdhsa_float_denorm_mode_32 3
		.amdhsa_float_denorm_mode_16_64 3
		.amdhsa_dx10_clamp 1
		.amdhsa_ieee_mode 1
		.amdhsa_fp16_overflow 0
		.amdhsa_tg_split 0
		.amdhsa_exception_fp_ieee_invalid_op 0
		.amdhsa_exception_fp_denorm_src 0
		.amdhsa_exception_fp_ieee_div_zero 0
		.amdhsa_exception_fp_ieee_overflow 0
		.amdhsa_exception_fp_ieee_underflow 0
		.amdhsa_exception_fp_ieee_inexact 0
		.amdhsa_exception_int_div_zero 0
	.end_amdhsa_kernel
	.section	.text._ZN7rocprim17ROCPRIM_400000_NS6detail17trampoline_kernelINS0_14default_configENS1_21merge_config_selectorIyNS0_10empty_typeEEEZNS1_10merge_implIS3_N6thrust23THRUST_200600_302600_NS6detail15normal_iteratorINS9_10device_ptrIKyEEEESF_NSB_INSC_IyEEEEPS5_SI_SI_NS9_4lessIyEEEE10hipError_tPvRmT0_T1_T2_T3_T4_T5_mmT6_P12ihipStream_tbEUlT_E_NS1_11comp_targetILNS1_3genE3ELNS1_11target_archE908ELNS1_3gpuE7ELNS1_3repE0EEENS1_30default_config_static_selectorELNS0_4arch9wavefront6targetE1EEEvSP_,"axG",@progbits,_ZN7rocprim17ROCPRIM_400000_NS6detail17trampoline_kernelINS0_14default_configENS1_21merge_config_selectorIyNS0_10empty_typeEEEZNS1_10merge_implIS3_N6thrust23THRUST_200600_302600_NS6detail15normal_iteratorINS9_10device_ptrIKyEEEESF_NSB_INSC_IyEEEEPS5_SI_SI_NS9_4lessIyEEEE10hipError_tPvRmT0_T1_T2_T3_T4_T5_mmT6_P12ihipStream_tbEUlT_E_NS1_11comp_targetILNS1_3genE3ELNS1_11target_archE908ELNS1_3gpuE7ELNS1_3repE0EEENS1_30default_config_static_selectorELNS0_4arch9wavefront6targetE1EEEvSP_,comdat
.Lfunc_end99:
	.size	_ZN7rocprim17ROCPRIM_400000_NS6detail17trampoline_kernelINS0_14default_configENS1_21merge_config_selectorIyNS0_10empty_typeEEEZNS1_10merge_implIS3_N6thrust23THRUST_200600_302600_NS6detail15normal_iteratorINS9_10device_ptrIKyEEEESF_NSB_INSC_IyEEEEPS5_SI_SI_NS9_4lessIyEEEE10hipError_tPvRmT0_T1_T2_T3_T4_T5_mmT6_P12ihipStream_tbEUlT_E_NS1_11comp_targetILNS1_3genE3ELNS1_11target_archE908ELNS1_3gpuE7ELNS1_3repE0EEENS1_30default_config_static_selectorELNS0_4arch9wavefront6targetE1EEEvSP_, .Lfunc_end99-_ZN7rocprim17ROCPRIM_400000_NS6detail17trampoline_kernelINS0_14default_configENS1_21merge_config_selectorIyNS0_10empty_typeEEEZNS1_10merge_implIS3_N6thrust23THRUST_200600_302600_NS6detail15normal_iteratorINS9_10device_ptrIKyEEEESF_NSB_INSC_IyEEEEPS5_SI_SI_NS9_4lessIyEEEE10hipError_tPvRmT0_T1_T2_T3_T4_T5_mmT6_P12ihipStream_tbEUlT_E_NS1_11comp_targetILNS1_3genE3ELNS1_11target_archE908ELNS1_3gpuE7ELNS1_3repE0EEENS1_30default_config_static_selectorELNS0_4arch9wavefront6targetE1EEEvSP_
                                        ; -- End function
	.section	.AMDGPU.csdata,"",@progbits
; Kernel info:
; codeLenInByte = 0
; NumSgprs: 4
; NumVgprs: 0
; NumAgprs: 0
; TotalNumVgprs: 0
; ScratchSize: 0
; MemoryBound: 0
; FloatMode: 240
; IeeeMode: 1
; LDSByteSize: 0 bytes/workgroup (compile time only)
; SGPRBlocks: 0
; VGPRBlocks: 0
; NumSGPRsForWavesPerEU: 4
; NumVGPRsForWavesPerEU: 1
; AccumOffset: 4
; Occupancy: 8
; WaveLimiterHint : 0
; COMPUTE_PGM_RSRC2:SCRATCH_EN: 0
; COMPUTE_PGM_RSRC2:USER_SGPR: 6
; COMPUTE_PGM_RSRC2:TRAP_HANDLER: 0
; COMPUTE_PGM_RSRC2:TGID_X_EN: 1
; COMPUTE_PGM_RSRC2:TGID_Y_EN: 0
; COMPUTE_PGM_RSRC2:TGID_Z_EN: 0
; COMPUTE_PGM_RSRC2:TIDIG_COMP_CNT: 0
; COMPUTE_PGM_RSRC3_GFX90A:ACCUM_OFFSET: 0
; COMPUTE_PGM_RSRC3_GFX90A:TG_SPLIT: 0
	.section	.text._ZN7rocprim17ROCPRIM_400000_NS6detail17trampoline_kernelINS0_14default_configENS1_21merge_config_selectorIyNS0_10empty_typeEEEZNS1_10merge_implIS3_N6thrust23THRUST_200600_302600_NS6detail15normal_iteratorINS9_10device_ptrIKyEEEESF_NSB_INSC_IyEEEEPS5_SI_SI_NS9_4lessIyEEEE10hipError_tPvRmT0_T1_T2_T3_T4_T5_mmT6_P12ihipStream_tbEUlT_E_NS1_11comp_targetILNS1_3genE2ELNS1_11target_archE906ELNS1_3gpuE6ELNS1_3repE0EEENS1_30default_config_static_selectorELNS0_4arch9wavefront6targetE1EEEvSP_,"axG",@progbits,_ZN7rocprim17ROCPRIM_400000_NS6detail17trampoline_kernelINS0_14default_configENS1_21merge_config_selectorIyNS0_10empty_typeEEEZNS1_10merge_implIS3_N6thrust23THRUST_200600_302600_NS6detail15normal_iteratorINS9_10device_ptrIKyEEEESF_NSB_INSC_IyEEEEPS5_SI_SI_NS9_4lessIyEEEE10hipError_tPvRmT0_T1_T2_T3_T4_T5_mmT6_P12ihipStream_tbEUlT_E_NS1_11comp_targetILNS1_3genE2ELNS1_11target_archE906ELNS1_3gpuE6ELNS1_3repE0EEENS1_30default_config_static_selectorELNS0_4arch9wavefront6targetE1EEEvSP_,comdat
	.protected	_ZN7rocprim17ROCPRIM_400000_NS6detail17trampoline_kernelINS0_14default_configENS1_21merge_config_selectorIyNS0_10empty_typeEEEZNS1_10merge_implIS3_N6thrust23THRUST_200600_302600_NS6detail15normal_iteratorINS9_10device_ptrIKyEEEESF_NSB_INSC_IyEEEEPS5_SI_SI_NS9_4lessIyEEEE10hipError_tPvRmT0_T1_T2_T3_T4_T5_mmT6_P12ihipStream_tbEUlT_E_NS1_11comp_targetILNS1_3genE2ELNS1_11target_archE906ELNS1_3gpuE6ELNS1_3repE0EEENS1_30default_config_static_selectorELNS0_4arch9wavefront6targetE1EEEvSP_ ; -- Begin function _ZN7rocprim17ROCPRIM_400000_NS6detail17trampoline_kernelINS0_14default_configENS1_21merge_config_selectorIyNS0_10empty_typeEEEZNS1_10merge_implIS3_N6thrust23THRUST_200600_302600_NS6detail15normal_iteratorINS9_10device_ptrIKyEEEESF_NSB_INSC_IyEEEEPS5_SI_SI_NS9_4lessIyEEEE10hipError_tPvRmT0_T1_T2_T3_T4_T5_mmT6_P12ihipStream_tbEUlT_E_NS1_11comp_targetILNS1_3genE2ELNS1_11target_archE906ELNS1_3gpuE6ELNS1_3repE0EEENS1_30default_config_static_selectorELNS0_4arch9wavefront6targetE1EEEvSP_
	.globl	_ZN7rocprim17ROCPRIM_400000_NS6detail17trampoline_kernelINS0_14default_configENS1_21merge_config_selectorIyNS0_10empty_typeEEEZNS1_10merge_implIS3_N6thrust23THRUST_200600_302600_NS6detail15normal_iteratorINS9_10device_ptrIKyEEEESF_NSB_INSC_IyEEEEPS5_SI_SI_NS9_4lessIyEEEE10hipError_tPvRmT0_T1_T2_T3_T4_T5_mmT6_P12ihipStream_tbEUlT_E_NS1_11comp_targetILNS1_3genE2ELNS1_11target_archE906ELNS1_3gpuE6ELNS1_3repE0EEENS1_30default_config_static_selectorELNS0_4arch9wavefront6targetE1EEEvSP_
	.p2align	8
	.type	_ZN7rocprim17ROCPRIM_400000_NS6detail17trampoline_kernelINS0_14default_configENS1_21merge_config_selectorIyNS0_10empty_typeEEEZNS1_10merge_implIS3_N6thrust23THRUST_200600_302600_NS6detail15normal_iteratorINS9_10device_ptrIKyEEEESF_NSB_INSC_IyEEEEPS5_SI_SI_NS9_4lessIyEEEE10hipError_tPvRmT0_T1_T2_T3_T4_T5_mmT6_P12ihipStream_tbEUlT_E_NS1_11comp_targetILNS1_3genE2ELNS1_11target_archE906ELNS1_3gpuE6ELNS1_3repE0EEENS1_30default_config_static_selectorELNS0_4arch9wavefront6targetE1EEEvSP_,@function
_ZN7rocprim17ROCPRIM_400000_NS6detail17trampoline_kernelINS0_14default_configENS1_21merge_config_selectorIyNS0_10empty_typeEEEZNS1_10merge_implIS3_N6thrust23THRUST_200600_302600_NS6detail15normal_iteratorINS9_10device_ptrIKyEEEESF_NSB_INSC_IyEEEEPS5_SI_SI_NS9_4lessIyEEEE10hipError_tPvRmT0_T1_T2_T3_T4_T5_mmT6_P12ihipStream_tbEUlT_E_NS1_11comp_targetILNS1_3genE2ELNS1_11target_archE906ELNS1_3gpuE6ELNS1_3repE0EEENS1_30default_config_static_selectorELNS0_4arch9wavefront6targetE1EEEvSP_: ; @_ZN7rocprim17ROCPRIM_400000_NS6detail17trampoline_kernelINS0_14default_configENS1_21merge_config_selectorIyNS0_10empty_typeEEEZNS1_10merge_implIS3_N6thrust23THRUST_200600_302600_NS6detail15normal_iteratorINS9_10device_ptrIKyEEEESF_NSB_INSC_IyEEEEPS5_SI_SI_NS9_4lessIyEEEE10hipError_tPvRmT0_T1_T2_T3_T4_T5_mmT6_P12ihipStream_tbEUlT_E_NS1_11comp_targetILNS1_3genE2ELNS1_11target_archE906ELNS1_3gpuE6ELNS1_3repE0EEENS1_30default_config_static_selectorELNS0_4arch9wavefront6targetE1EEEvSP_
; %bb.0:
	.section	.rodata,"a",@progbits
	.p2align	6, 0x0
	.amdhsa_kernel _ZN7rocprim17ROCPRIM_400000_NS6detail17trampoline_kernelINS0_14default_configENS1_21merge_config_selectorIyNS0_10empty_typeEEEZNS1_10merge_implIS3_N6thrust23THRUST_200600_302600_NS6detail15normal_iteratorINS9_10device_ptrIKyEEEESF_NSB_INSC_IyEEEEPS5_SI_SI_NS9_4lessIyEEEE10hipError_tPvRmT0_T1_T2_T3_T4_T5_mmT6_P12ihipStream_tbEUlT_E_NS1_11comp_targetILNS1_3genE2ELNS1_11target_archE906ELNS1_3gpuE6ELNS1_3repE0EEENS1_30default_config_static_selectorELNS0_4arch9wavefront6targetE1EEEvSP_
		.amdhsa_group_segment_fixed_size 0
		.amdhsa_private_segment_fixed_size 0
		.amdhsa_kernarg_size 48
		.amdhsa_user_sgpr_count 6
		.amdhsa_user_sgpr_private_segment_buffer 1
		.amdhsa_user_sgpr_dispatch_ptr 0
		.amdhsa_user_sgpr_queue_ptr 0
		.amdhsa_user_sgpr_kernarg_segment_ptr 1
		.amdhsa_user_sgpr_dispatch_id 0
		.amdhsa_user_sgpr_flat_scratch_init 0
		.amdhsa_user_sgpr_kernarg_preload_length 0
		.amdhsa_user_sgpr_kernarg_preload_offset 0
		.amdhsa_user_sgpr_private_segment_size 0
		.amdhsa_uses_dynamic_stack 0
		.amdhsa_system_sgpr_private_segment_wavefront_offset 0
		.amdhsa_system_sgpr_workgroup_id_x 1
		.amdhsa_system_sgpr_workgroup_id_y 0
		.amdhsa_system_sgpr_workgroup_id_z 0
		.amdhsa_system_sgpr_workgroup_info 0
		.amdhsa_system_vgpr_workitem_id 0
		.amdhsa_next_free_vgpr 1
		.amdhsa_next_free_sgpr 0
		.amdhsa_accum_offset 4
		.amdhsa_reserve_vcc 0
		.amdhsa_reserve_flat_scratch 0
		.amdhsa_float_round_mode_32 0
		.amdhsa_float_round_mode_16_64 0
		.amdhsa_float_denorm_mode_32 3
		.amdhsa_float_denorm_mode_16_64 3
		.amdhsa_dx10_clamp 1
		.amdhsa_ieee_mode 1
		.amdhsa_fp16_overflow 0
		.amdhsa_tg_split 0
		.amdhsa_exception_fp_ieee_invalid_op 0
		.amdhsa_exception_fp_denorm_src 0
		.amdhsa_exception_fp_ieee_div_zero 0
		.amdhsa_exception_fp_ieee_overflow 0
		.amdhsa_exception_fp_ieee_underflow 0
		.amdhsa_exception_fp_ieee_inexact 0
		.amdhsa_exception_int_div_zero 0
	.end_amdhsa_kernel
	.section	.text._ZN7rocprim17ROCPRIM_400000_NS6detail17trampoline_kernelINS0_14default_configENS1_21merge_config_selectorIyNS0_10empty_typeEEEZNS1_10merge_implIS3_N6thrust23THRUST_200600_302600_NS6detail15normal_iteratorINS9_10device_ptrIKyEEEESF_NSB_INSC_IyEEEEPS5_SI_SI_NS9_4lessIyEEEE10hipError_tPvRmT0_T1_T2_T3_T4_T5_mmT6_P12ihipStream_tbEUlT_E_NS1_11comp_targetILNS1_3genE2ELNS1_11target_archE906ELNS1_3gpuE6ELNS1_3repE0EEENS1_30default_config_static_selectorELNS0_4arch9wavefront6targetE1EEEvSP_,"axG",@progbits,_ZN7rocprim17ROCPRIM_400000_NS6detail17trampoline_kernelINS0_14default_configENS1_21merge_config_selectorIyNS0_10empty_typeEEEZNS1_10merge_implIS3_N6thrust23THRUST_200600_302600_NS6detail15normal_iteratorINS9_10device_ptrIKyEEEESF_NSB_INSC_IyEEEEPS5_SI_SI_NS9_4lessIyEEEE10hipError_tPvRmT0_T1_T2_T3_T4_T5_mmT6_P12ihipStream_tbEUlT_E_NS1_11comp_targetILNS1_3genE2ELNS1_11target_archE906ELNS1_3gpuE6ELNS1_3repE0EEENS1_30default_config_static_selectorELNS0_4arch9wavefront6targetE1EEEvSP_,comdat
.Lfunc_end100:
	.size	_ZN7rocprim17ROCPRIM_400000_NS6detail17trampoline_kernelINS0_14default_configENS1_21merge_config_selectorIyNS0_10empty_typeEEEZNS1_10merge_implIS3_N6thrust23THRUST_200600_302600_NS6detail15normal_iteratorINS9_10device_ptrIKyEEEESF_NSB_INSC_IyEEEEPS5_SI_SI_NS9_4lessIyEEEE10hipError_tPvRmT0_T1_T2_T3_T4_T5_mmT6_P12ihipStream_tbEUlT_E_NS1_11comp_targetILNS1_3genE2ELNS1_11target_archE906ELNS1_3gpuE6ELNS1_3repE0EEENS1_30default_config_static_selectorELNS0_4arch9wavefront6targetE1EEEvSP_, .Lfunc_end100-_ZN7rocprim17ROCPRIM_400000_NS6detail17trampoline_kernelINS0_14default_configENS1_21merge_config_selectorIyNS0_10empty_typeEEEZNS1_10merge_implIS3_N6thrust23THRUST_200600_302600_NS6detail15normal_iteratorINS9_10device_ptrIKyEEEESF_NSB_INSC_IyEEEEPS5_SI_SI_NS9_4lessIyEEEE10hipError_tPvRmT0_T1_T2_T3_T4_T5_mmT6_P12ihipStream_tbEUlT_E_NS1_11comp_targetILNS1_3genE2ELNS1_11target_archE906ELNS1_3gpuE6ELNS1_3repE0EEENS1_30default_config_static_selectorELNS0_4arch9wavefront6targetE1EEEvSP_
                                        ; -- End function
	.section	.AMDGPU.csdata,"",@progbits
; Kernel info:
; codeLenInByte = 0
; NumSgprs: 4
; NumVgprs: 0
; NumAgprs: 0
; TotalNumVgprs: 0
; ScratchSize: 0
; MemoryBound: 0
; FloatMode: 240
; IeeeMode: 1
; LDSByteSize: 0 bytes/workgroup (compile time only)
; SGPRBlocks: 0
; VGPRBlocks: 0
; NumSGPRsForWavesPerEU: 4
; NumVGPRsForWavesPerEU: 1
; AccumOffset: 4
; Occupancy: 8
; WaveLimiterHint : 0
; COMPUTE_PGM_RSRC2:SCRATCH_EN: 0
; COMPUTE_PGM_RSRC2:USER_SGPR: 6
; COMPUTE_PGM_RSRC2:TRAP_HANDLER: 0
; COMPUTE_PGM_RSRC2:TGID_X_EN: 1
; COMPUTE_PGM_RSRC2:TGID_Y_EN: 0
; COMPUTE_PGM_RSRC2:TGID_Z_EN: 0
; COMPUTE_PGM_RSRC2:TIDIG_COMP_CNT: 0
; COMPUTE_PGM_RSRC3_GFX90A:ACCUM_OFFSET: 0
; COMPUTE_PGM_RSRC3_GFX90A:TG_SPLIT: 0
	.section	.text._ZN7rocprim17ROCPRIM_400000_NS6detail17trampoline_kernelINS0_14default_configENS1_21merge_config_selectorIyNS0_10empty_typeEEEZNS1_10merge_implIS3_N6thrust23THRUST_200600_302600_NS6detail15normal_iteratorINS9_10device_ptrIKyEEEESF_NSB_INSC_IyEEEEPS5_SI_SI_NS9_4lessIyEEEE10hipError_tPvRmT0_T1_T2_T3_T4_T5_mmT6_P12ihipStream_tbEUlT_E_NS1_11comp_targetILNS1_3genE10ELNS1_11target_archE1201ELNS1_3gpuE5ELNS1_3repE0EEENS1_30default_config_static_selectorELNS0_4arch9wavefront6targetE1EEEvSP_,"axG",@progbits,_ZN7rocprim17ROCPRIM_400000_NS6detail17trampoline_kernelINS0_14default_configENS1_21merge_config_selectorIyNS0_10empty_typeEEEZNS1_10merge_implIS3_N6thrust23THRUST_200600_302600_NS6detail15normal_iteratorINS9_10device_ptrIKyEEEESF_NSB_INSC_IyEEEEPS5_SI_SI_NS9_4lessIyEEEE10hipError_tPvRmT0_T1_T2_T3_T4_T5_mmT6_P12ihipStream_tbEUlT_E_NS1_11comp_targetILNS1_3genE10ELNS1_11target_archE1201ELNS1_3gpuE5ELNS1_3repE0EEENS1_30default_config_static_selectorELNS0_4arch9wavefront6targetE1EEEvSP_,comdat
	.protected	_ZN7rocprim17ROCPRIM_400000_NS6detail17trampoline_kernelINS0_14default_configENS1_21merge_config_selectorIyNS0_10empty_typeEEEZNS1_10merge_implIS3_N6thrust23THRUST_200600_302600_NS6detail15normal_iteratorINS9_10device_ptrIKyEEEESF_NSB_INSC_IyEEEEPS5_SI_SI_NS9_4lessIyEEEE10hipError_tPvRmT0_T1_T2_T3_T4_T5_mmT6_P12ihipStream_tbEUlT_E_NS1_11comp_targetILNS1_3genE10ELNS1_11target_archE1201ELNS1_3gpuE5ELNS1_3repE0EEENS1_30default_config_static_selectorELNS0_4arch9wavefront6targetE1EEEvSP_ ; -- Begin function _ZN7rocprim17ROCPRIM_400000_NS6detail17trampoline_kernelINS0_14default_configENS1_21merge_config_selectorIyNS0_10empty_typeEEEZNS1_10merge_implIS3_N6thrust23THRUST_200600_302600_NS6detail15normal_iteratorINS9_10device_ptrIKyEEEESF_NSB_INSC_IyEEEEPS5_SI_SI_NS9_4lessIyEEEE10hipError_tPvRmT0_T1_T2_T3_T4_T5_mmT6_P12ihipStream_tbEUlT_E_NS1_11comp_targetILNS1_3genE10ELNS1_11target_archE1201ELNS1_3gpuE5ELNS1_3repE0EEENS1_30default_config_static_selectorELNS0_4arch9wavefront6targetE1EEEvSP_
	.globl	_ZN7rocprim17ROCPRIM_400000_NS6detail17trampoline_kernelINS0_14default_configENS1_21merge_config_selectorIyNS0_10empty_typeEEEZNS1_10merge_implIS3_N6thrust23THRUST_200600_302600_NS6detail15normal_iteratorINS9_10device_ptrIKyEEEESF_NSB_INSC_IyEEEEPS5_SI_SI_NS9_4lessIyEEEE10hipError_tPvRmT0_T1_T2_T3_T4_T5_mmT6_P12ihipStream_tbEUlT_E_NS1_11comp_targetILNS1_3genE10ELNS1_11target_archE1201ELNS1_3gpuE5ELNS1_3repE0EEENS1_30default_config_static_selectorELNS0_4arch9wavefront6targetE1EEEvSP_
	.p2align	8
	.type	_ZN7rocprim17ROCPRIM_400000_NS6detail17trampoline_kernelINS0_14default_configENS1_21merge_config_selectorIyNS0_10empty_typeEEEZNS1_10merge_implIS3_N6thrust23THRUST_200600_302600_NS6detail15normal_iteratorINS9_10device_ptrIKyEEEESF_NSB_INSC_IyEEEEPS5_SI_SI_NS9_4lessIyEEEE10hipError_tPvRmT0_T1_T2_T3_T4_T5_mmT6_P12ihipStream_tbEUlT_E_NS1_11comp_targetILNS1_3genE10ELNS1_11target_archE1201ELNS1_3gpuE5ELNS1_3repE0EEENS1_30default_config_static_selectorELNS0_4arch9wavefront6targetE1EEEvSP_,@function
_ZN7rocprim17ROCPRIM_400000_NS6detail17trampoline_kernelINS0_14default_configENS1_21merge_config_selectorIyNS0_10empty_typeEEEZNS1_10merge_implIS3_N6thrust23THRUST_200600_302600_NS6detail15normal_iteratorINS9_10device_ptrIKyEEEESF_NSB_INSC_IyEEEEPS5_SI_SI_NS9_4lessIyEEEE10hipError_tPvRmT0_T1_T2_T3_T4_T5_mmT6_P12ihipStream_tbEUlT_E_NS1_11comp_targetILNS1_3genE10ELNS1_11target_archE1201ELNS1_3gpuE5ELNS1_3repE0EEENS1_30default_config_static_selectorELNS0_4arch9wavefront6targetE1EEEvSP_: ; @_ZN7rocprim17ROCPRIM_400000_NS6detail17trampoline_kernelINS0_14default_configENS1_21merge_config_selectorIyNS0_10empty_typeEEEZNS1_10merge_implIS3_N6thrust23THRUST_200600_302600_NS6detail15normal_iteratorINS9_10device_ptrIKyEEEESF_NSB_INSC_IyEEEEPS5_SI_SI_NS9_4lessIyEEEE10hipError_tPvRmT0_T1_T2_T3_T4_T5_mmT6_P12ihipStream_tbEUlT_E_NS1_11comp_targetILNS1_3genE10ELNS1_11target_archE1201ELNS1_3gpuE5ELNS1_3repE0EEENS1_30default_config_static_selectorELNS0_4arch9wavefront6targetE1EEEvSP_
; %bb.0:
	.section	.rodata,"a",@progbits
	.p2align	6, 0x0
	.amdhsa_kernel _ZN7rocprim17ROCPRIM_400000_NS6detail17trampoline_kernelINS0_14default_configENS1_21merge_config_selectorIyNS0_10empty_typeEEEZNS1_10merge_implIS3_N6thrust23THRUST_200600_302600_NS6detail15normal_iteratorINS9_10device_ptrIKyEEEESF_NSB_INSC_IyEEEEPS5_SI_SI_NS9_4lessIyEEEE10hipError_tPvRmT0_T1_T2_T3_T4_T5_mmT6_P12ihipStream_tbEUlT_E_NS1_11comp_targetILNS1_3genE10ELNS1_11target_archE1201ELNS1_3gpuE5ELNS1_3repE0EEENS1_30default_config_static_selectorELNS0_4arch9wavefront6targetE1EEEvSP_
		.amdhsa_group_segment_fixed_size 0
		.amdhsa_private_segment_fixed_size 0
		.amdhsa_kernarg_size 48
		.amdhsa_user_sgpr_count 6
		.amdhsa_user_sgpr_private_segment_buffer 1
		.amdhsa_user_sgpr_dispatch_ptr 0
		.amdhsa_user_sgpr_queue_ptr 0
		.amdhsa_user_sgpr_kernarg_segment_ptr 1
		.amdhsa_user_sgpr_dispatch_id 0
		.amdhsa_user_sgpr_flat_scratch_init 0
		.amdhsa_user_sgpr_kernarg_preload_length 0
		.amdhsa_user_sgpr_kernarg_preload_offset 0
		.amdhsa_user_sgpr_private_segment_size 0
		.amdhsa_uses_dynamic_stack 0
		.amdhsa_system_sgpr_private_segment_wavefront_offset 0
		.amdhsa_system_sgpr_workgroup_id_x 1
		.amdhsa_system_sgpr_workgroup_id_y 0
		.amdhsa_system_sgpr_workgroup_id_z 0
		.amdhsa_system_sgpr_workgroup_info 0
		.amdhsa_system_vgpr_workitem_id 0
		.amdhsa_next_free_vgpr 1
		.amdhsa_next_free_sgpr 0
		.amdhsa_accum_offset 4
		.amdhsa_reserve_vcc 0
		.amdhsa_reserve_flat_scratch 0
		.amdhsa_float_round_mode_32 0
		.amdhsa_float_round_mode_16_64 0
		.amdhsa_float_denorm_mode_32 3
		.amdhsa_float_denorm_mode_16_64 3
		.amdhsa_dx10_clamp 1
		.amdhsa_ieee_mode 1
		.amdhsa_fp16_overflow 0
		.amdhsa_tg_split 0
		.amdhsa_exception_fp_ieee_invalid_op 0
		.amdhsa_exception_fp_denorm_src 0
		.amdhsa_exception_fp_ieee_div_zero 0
		.amdhsa_exception_fp_ieee_overflow 0
		.amdhsa_exception_fp_ieee_underflow 0
		.amdhsa_exception_fp_ieee_inexact 0
		.amdhsa_exception_int_div_zero 0
	.end_amdhsa_kernel
	.section	.text._ZN7rocprim17ROCPRIM_400000_NS6detail17trampoline_kernelINS0_14default_configENS1_21merge_config_selectorIyNS0_10empty_typeEEEZNS1_10merge_implIS3_N6thrust23THRUST_200600_302600_NS6detail15normal_iteratorINS9_10device_ptrIKyEEEESF_NSB_INSC_IyEEEEPS5_SI_SI_NS9_4lessIyEEEE10hipError_tPvRmT0_T1_T2_T3_T4_T5_mmT6_P12ihipStream_tbEUlT_E_NS1_11comp_targetILNS1_3genE10ELNS1_11target_archE1201ELNS1_3gpuE5ELNS1_3repE0EEENS1_30default_config_static_selectorELNS0_4arch9wavefront6targetE1EEEvSP_,"axG",@progbits,_ZN7rocprim17ROCPRIM_400000_NS6detail17trampoline_kernelINS0_14default_configENS1_21merge_config_selectorIyNS0_10empty_typeEEEZNS1_10merge_implIS3_N6thrust23THRUST_200600_302600_NS6detail15normal_iteratorINS9_10device_ptrIKyEEEESF_NSB_INSC_IyEEEEPS5_SI_SI_NS9_4lessIyEEEE10hipError_tPvRmT0_T1_T2_T3_T4_T5_mmT6_P12ihipStream_tbEUlT_E_NS1_11comp_targetILNS1_3genE10ELNS1_11target_archE1201ELNS1_3gpuE5ELNS1_3repE0EEENS1_30default_config_static_selectorELNS0_4arch9wavefront6targetE1EEEvSP_,comdat
.Lfunc_end101:
	.size	_ZN7rocprim17ROCPRIM_400000_NS6detail17trampoline_kernelINS0_14default_configENS1_21merge_config_selectorIyNS0_10empty_typeEEEZNS1_10merge_implIS3_N6thrust23THRUST_200600_302600_NS6detail15normal_iteratorINS9_10device_ptrIKyEEEESF_NSB_INSC_IyEEEEPS5_SI_SI_NS9_4lessIyEEEE10hipError_tPvRmT0_T1_T2_T3_T4_T5_mmT6_P12ihipStream_tbEUlT_E_NS1_11comp_targetILNS1_3genE10ELNS1_11target_archE1201ELNS1_3gpuE5ELNS1_3repE0EEENS1_30default_config_static_selectorELNS0_4arch9wavefront6targetE1EEEvSP_, .Lfunc_end101-_ZN7rocprim17ROCPRIM_400000_NS6detail17trampoline_kernelINS0_14default_configENS1_21merge_config_selectorIyNS0_10empty_typeEEEZNS1_10merge_implIS3_N6thrust23THRUST_200600_302600_NS6detail15normal_iteratorINS9_10device_ptrIKyEEEESF_NSB_INSC_IyEEEEPS5_SI_SI_NS9_4lessIyEEEE10hipError_tPvRmT0_T1_T2_T3_T4_T5_mmT6_P12ihipStream_tbEUlT_E_NS1_11comp_targetILNS1_3genE10ELNS1_11target_archE1201ELNS1_3gpuE5ELNS1_3repE0EEENS1_30default_config_static_selectorELNS0_4arch9wavefront6targetE1EEEvSP_
                                        ; -- End function
	.section	.AMDGPU.csdata,"",@progbits
; Kernel info:
; codeLenInByte = 0
; NumSgprs: 4
; NumVgprs: 0
; NumAgprs: 0
; TotalNumVgprs: 0
; ScratchSize: 0
; MemoryBound: 0
; FloatMode: 240
; IeeeMode: 1
; LDSByteSize: 0 bytes/workgroup (compile time only)
; SGPRBlocks: 0
; VGPRBlocks: 0
; NumSGPRsForWavesPerEU: 4
; NumVGPRsForWavesPerEU: 1
; AccumOffset: 4
; Occupancy: 8
; WaveLimiterHint : 0
; COMPUTE_PGM_RSRC2:SCRATCH_EN: 0
; COMPUTE_PGM_RSRC2:USER_SGPR: 6
; COMPUTE_PGM_RSRC2:TRAP_HANDLER: 0
; COMPUTE_PGM_RSRC2:TGID_X_EN: 1
; COMPUTE_PGM_RSRC2:TGID_Y_EN: 0
; COMPUTE_PGM_RSRC2:TGID_Z_EN: 0
; COMPUTE_PGM_RSRC2:TIDIG_COMP_CNT: 0
; COMPUTE_PGM_RSRC3_GFX90A:ACCUM_OFFSET: 0
; COMPUTE_PGM_RSRC3_GFX90A:TG_SPLIT: 0
	.section	.text._ZN7rocprim17ROCPRIM_400000_NS6detail17trampoline_kernelINS0_14default_configENS1_21merge_config_selectorIyNS0_10empty_typeEEEZNS1_10merge_implIS3_N6thrust23THRUST_200600_302600_NS6detail15normal_iteratorINS9_10device_ptrIKyEEEESF_NSB_INSC_IyEEEEPS5_SI_SI_NS9_4lessIyEEEE10hipError_tPvRmT0_T1_T2_T3_T4_T5_mmT6_P12ihipStream_tbEUlT_E_NS1_11comp_targetILNS1_3genE10ELNS1_11target_archE1200ELNS1_3gpuE4ELNS1_3repE0EEENS1_30default_config_static_selectorELNS0_4arch9wavefront6targetE1EEEvSP_,"axG",@progbits,_ZN7rocprim17ROCPRIM_400000_NS6detail17trampoline_kernelINS0_14default_configENS1_21merge_config_selectorIyNS0_10empty_typeEEEZNS1_10merge_implIS3_N6thrust23THRUST_200600_302600_NS6detail15normal_iteratorINS9_10device_ptrIKyEEEESF_NSB_INSC_IyEEEEPS5_SI_SI_NS9_4lessIyEEEE10hipError_tPvRmT0_T1_T2_T3_T4_T5_mmT6_P12ihipStream_tbEUlT_E_NS1_11comp_targetILNS1_3genE10ELNS1_11target_archE1200ELNS1_3gpuE4ELNS1_3repE0EEENS1_30default_config_static_selectorELNS0_4arch9wavefront6targetE1EEEvSP_,comdat
	.protected	_ZN7rocprim17ROCPRIM_400000_NS6detail17trampoline_kernelINS0_14default_configENS1_21merge_config_selectorIyNS0_10empty_typeEEEZNS1_10merge_implIS3_N6thrust23THRUST_200600_302600_NS6detail15normal_iteratorINS9_10device_ptrIKyEEEESF_NSB_INSC_IyEEEEPS5_SI_SI_NS9_4lessIyEEEE10hipError_tPvRmT0_T1_T2_T3_T4_T5_mmT6_P12ihipStream_tbEUlT_E_NS1_11comp_targetILNS1_3genE10ELNS1_11target_archE1200ELNS1_3gpuE4ELNS1_3repE0EEENS1_30default_config_static_selectorELNS0_4arch9wavefront6targetE1EEEvSP_ ; -- Begin function _ZN7rocprim17ROCPRIM_400000_NS6detail17trampoline_kernelINS0_14default_configENS1_21merge_config_selectorIyNS0_10empty_typeEEEZNS1_10merge_implIS3_N6thrust23THRUST_200600_302600_NS6detail15normal_iteratorINS9_10device_ptrIKyEEEESF_NSB_INSC_IyEEEEPS5_SI_SI_NS9_4lessIyEEEE10hipError_tPvRmT0_T1_T2_T3_T4_T5_mmT6_P12ihipStream_tbEUlT_E_NS1_11comp_targetILNS1_3genE10ELNS1_11target_archE1200ELNS1_3gpuE4ELNS1_3repE0EEENS1_30default_config_static_selectorELNS0_4arch9wavefront6targetE1EEEvSP_
	.globl	_ZN7rocprim17ROCPRIM_400000_NS6detail17trampoline_kernelINS0_14default_configENS1_21merge_config_selectorIyNS0_10empty_typeEEEZNS1_10merge_implIS3_N6thrust23THRUST_200600_302600_NS6detail15normal_iteratorINS9_10device_ptrIKyEEEESF_NSB_INSC_IyEEEEPS5_SI_SI_NS9_4lessIyEEEE10hipError_tPvRmT0_T1_T2_T3_T4_T5_mmT6_P12ihipStream_tbEUlT_E_NS1_11comp_targetILNS1_3genE10ELNS1_11target_archE1200ELNS1_3gpuE4ELNS1_3repE0EEENS1_30default_config_static_selectorELNS0_4arch9wavefront6targetE1EEEvSP_
	.p2align	8
	.type	_ZN7rocprim17ROCPRIM_400000_NS6detail17trampoline_kernelINS0_14default_configENS1_21merge_config_selectorIyNS0_10empty_typeEEEZNS1_10merge_implIS3_N6thrust23THRUST_200600_302600_NS6detail15normal_iteratorINS9_10device_ptrIKyEEEESF_NSB_INSC_IyEEEEPS5_SI_SI_NS9_4lessIyEEEE10hipError_tPvRmT0_T1_T2_T3_T4_T5_mmT6_P12ihipStream_tbEUlT_E_NS1_11comp_targetILNS1_3genE10ELNS1_11target_archE1200ELNS1_3gpuE4ELNS1_3repE0EEENS1_30default_config_static_selectorELNS0_4arch9wavefront6targetE1EEEvSP_,@function
_ZN7rocprim17ROCPRIM_400000_NS6detail17trampoline_kernelINS0_14default_configENS1_21merge_config_selectorIyNS0_10empty_typeEEEZNS1_10merge_implIS3_N6thrust23THRUST_200600_302600_NS6detail15normal_iteratorINS9_10device_ptrIKyEEEESF_NSB_INSC_IyEEEEPS5_SI_SI_NS9_4lessIyEEEE10hipError_tPvRmT0_T1_T2_T3_T4_T5_mmT6_P12ihipStream_tbEUlT_E_NS1_11comp_targetILNS1_3genE10ELNS1_11target_archE1200ELNS1_3gpuE4ELNS1_3repE0EEENS1_30default_config_static_selectorELNS0_4arch9wavefront6targetE1EEEvSP_: ; @_ZN7rocprim17ROCPRIM_400000_NS6detail17trampoline_kernelINS0_14default_configENS1_21merge_config_selectorIyNS0_10empty_typeEEEZNS1_10merge_implIS3_N6thrust23THRUST_200600_302600_NS6detail15normal_iteratorINS9_10device_ptrIKyEEEESF_NSB_INSC_IyEEEEPS5_SI_SI_NS9_4lessIyEEEE10hipError_tPvRmT0_T1_T2_T3_T4_T5_mmT6_P12ihipStream_tbEUlT_E_NS1_11comp_targetILNS1_3genE10ELNS1_11target_archE1200ELNS1_3gpuE4ELNS1_3repE0EEENS1_30default_config_static_selectorELNS0_4arch9wavefront6targetE1EEEvSP_
; %bb.0:
	.section	.rodata,"a",@progbits
	.p2align	6, 0x0
	.amdhsa_kernel _ZN7rocprim17ROCPRIM_400000_NS6detail17trampoline_kernelINS0_14default_configENS1_21merge_config_selectorIyNS0_10empty_typeEEEZNS1_10merge_implIS3_N6thrust23THRUST_200600_302600_NS6detail15normal_iteratorINS9_10device_ptrIKyEEEESF_NSB_INSC_IyEEEEPS5_SI_SI_NS9_4lessIyEEEE10hipError_tPvRmT0_T1_T2_T3_T4_T5_mmT6_P12ihipStream_tbEUlT_E_NS1_11comp_targetILNS1_3genE10ELNS1_11target_archE1200ELNS1_3gpuE4ELNS1_3repE0EEENS1_30default_config_static_selectorELNS0_4arch9wavefront6targetE1EEEvSP_
		.amdhsa_group_segment_fixed_size 0
		.amdhsa_private_segment_fixed_size 0
		.amdhsa_kernarg_size 48
		.amdhsa_user_sgpr_count 6
		.amdhsa_user_sgpr_private_segment_buffer 1
		.amdhsa_user_sgpr_dispatch_ptr 0
		.amdhsa_user_sgpr_queue_ptr 0
		.amdhsa_user_sgpr_kernarg_segment_ptr 1
		.amdhsa_user_sgpr_dispatch_id 0
		.amdhsa_user_sgpr_flat_scratch_init 0
		.amdhsa_user_sgpr_kernarg_preload_length 0
		.amdhsa_user_sgpr_kernarg_preload_offset 0
		.amdhsa_user_sgpr_private_segment_size 0
		.amdhsa_uses_dynamic_stack 0
		.amdhsa_system_sgpr_private_segment_wavefront_offset 0
		.amdhsa_system_sgpr_workgroup_id_x 1
		.amdhsa_system_sgpr_workgroup_id_y 0
		.amdhsa_system_sgpr_workgroup_id_z 0
		.amdhsa_system_sgpr_workgroup_info 0
		.amdhsa_system_vgpr_workitem_id 0
		.amdhsa_next_free_vgpr 1
		.amdhsa_next_free_sgpr 0
		.amdhsa_accum_offset 4
		.amdhsa_reserve_vcc 0
		.amdhsa_reserve_flat_scratch 0
		.amdhsa_float_round_mode_32 0
		.amdhsa_float_round_mode_16_64 0
		.amdhsa_float_denorm_mode_32 3
		.amdhsa_float_denorm_mode_16_64 3
		.amdhsa_dx10_clamp 1
		.amdhsa_ieee_mode 1
		.amdhsa_fp16_overflow 0
		.amdhsa_tg_split 0
		.amdhsa_exception_fp_ieee_invalid_op 0
		.amdhsa_exception_fp_denorm_src 0
		.amdhsa_exception_fp_ieee_div_zero 0
		.amdhsa_exception_fp_ieee_overflow 0
		.amdhsa_exception_fp_ieee_underflow 0
		.amdhsa_exception_fp_ieee_inexact 0
		.amdhsa_exception_int_div_zero 0
	.end_amdhsa_kernel
	.section	.text._ZN7rocprim17ROCPRIM_400000_NS6detail17trampoline_kernelINS0_14default_configENS1_21merge_config_selectorIyNS0_10empty_typeEEEZNS1_10merge_implIS3_N6thrust23THRUST_200600_302600_NS6detail15normal_iteratorINS9_10device_ptrIKyEEEESF_NSB_INSC_IyEEEEPS5_SI_SI_NS9_4lessIyEEEE10hipError_tPvRmT0_T1_T2_T3_T4_T5_mmT6_P12ihipStream_tbEUlT_E_NS1_11comp_targetILNS1_3genE10ELNS1_11target_archE1200ELNS1_3gpuE4ELNS1_3repE0EEENS1_30default_config_static_selectorELNS0_4arch9wavefront6targetE1EEEvSP_,"axG",@progbits,_ZN7rocprim17ROCPRIM_400000_NS6detail17trampoline_kernelINS0_14default_configENS1_21merge_config_selectorIyNS0_10empty_typeEEEZNS1_10merge_implIS3_N6thrust23THRUST_200600_302600_NS6detail15normal_iteratorINS9_10device_ptrIKyEEEESF_NSB_INSC_IyEEEEPS5_SI_SI_NS9_4lessIyEEEE10hipError_tPvRmT0_T1_T2_T3_T4_T5_mmT6_P12ihipStream_tbEUlT_E_NS1_11comp_targetILNS1_3genE10ELNS1_11target_archE1200ELNS1_3gpuE4ELNS1_3repE0EEENS1_30default_config_static_selectorELNS0_4arch9wavefront6targetE1EEEvSP_,comdat
.Lfunc_end102:
	.size	_ZN7rocprim17ROCPRIM_400000_NS6detail17trampoline_kernelINS0_14default_configENS1_21merge_config_selectorIyNS0_10empty_typeEEEZNS1_10merge_implIS3_N6thrust23THRUST_200600_302600_NS6detail15normal_iteratorINS9_10device_ptrIKyEEEESF_NSB_INSC_IyEEEEPS5_SI_SI_NS9_4lessIyEEEE10hipError_tPvRmT0_T1_T2_T3_T4_T5_mmT6_P12ihipStream_tbEUlT_E_NS1_11comp_targetILNS1_3genE10ELNS1_11target_archE1200ELNS1_3gpuE4ELNS1_3repE0EEENS1_30default_config_static_selectorELNS0_4arch9wavefront6targetE1EEEvSP_, .Lfunc_end102-_ZN7rocprim17ROCPRIM_400000_NS6detail17trampoline_kernelINS0_14default_configENS1_21merge_config_selectorIyNS0_10empty_typeEEEZNS1_10merge_implIS3_N6thrust23THRUST_200600_302600_NS6detail15normal_iteratorINS9_10device_ptrIKyEEEESF_NSB_INSC_IyEEEEPS5_SI_SI_NS9_4lessIyEEEE10hipError_tPvRmT0_T1_T2_T3_T4_T5_mmT6_P12ihipStream_tbEUlT_E_NS1_11comp_targetILNS1_3genE10ELNS1_11target_archE1200ELNS1_3gpuE4ELNS1_3repE0EEENS1_30default_config_static_selectorELNS0_4arch9wavefront6targetE1EEEvSP_
                                        ; -- End function
	.section	.AMDGPU.csdata,"",@progbits
; Kernel info:
; codeLenInByte = 0
; NumSgprs: 4
; NumVgprs: 0
; NumAgprs: 0
; TotalNumVgprs: 0
; ScratchSize: 0
; MemoryBound: 0
; FloatMode: 240
; IeeeMode: 1
; LDSByteSize: 0 bytes/workgroup (compile time only)
; SGPRBlocks: 0
; VGPRBlocks: 0
; NumSGPRsForWavesPerEU: 4
; NumVGPRsForWavesPerEU: 1
; AccumOffset: 4
; Occupancy: 8
; WaveLimiterHint : 0
; COMPUTE_PGM_RSRC2:SCRATCH_EN: 0
; COMPUTE_PGM_RSRC2:USER_SGPR: 6
; COMPUTE_PGM_RSRC2:TRAP_HANDLER: 0
; COMPUTE_PGM_RSRC2:TGID_X_EN: 1
; COMPUTE_PGM_RSRC2:TGID_Y_EN: 0
; COMPUTE_PGM_RSRC2:TGID_Z_EN: 0
; COMPUTE_PGM_RSRC2:TIDIG_COMP_CNT: 0
; COMPUTE_PGM_RSRC3_GFX90A:ACCUM_OFFSET: 0
; COMPUTE_PGM_RSRC3_GFX90A:TG_SPLIT: 0
	.section	.text._ZN7rocprim17ROCPRIM_400000_NS6detail17trampoline_kernelINS0_14default_configENS1_21merge_config_selectorIyNS0_10empty_typeEEEZNS1_10merge_implIS3_N6thrust23THRUST_200600_302600_NS6detail15normal_iteratorINS9_10device_ptrIKyEEEESF_NSB_INSC_IyEEEEPS5_SI_SI_NS9_4lessIyEEEE10hipError_tPvRmT0_T1_T2_T3_T4_T5_mmT6_P12ihipStream_tbEUlT_E_NS1_11comp_targetILNS1_3genE9ELNS1_11target_archE1100ELNS1_3gpuE3ELNS1_3repE0EEENS1_30default_config_static_selectorELNS0_4arch9wavefront6targetE1EEEvSP_,"axG",@progbits,_ZN7rocprim17ROCPRIM_400000_NS6detail17trampoline_kernelINS0_14default_configENS1_21merge_config_selectorIyNS0_10empty_typeEEEZNS1_10merge_implIS3_N6thrust23THRUST_200600_302600_NS6detail15normal_iteratorINS9_10device_ptrIKyEEEESF_NSB_INSC_IyEEEEPS5_SI_SI_NS9_4lessIyEEEE10hipError_tPvRmT0_T1_T2_T3_T4_T5_mmT6_P12ihipStream_tbEUlT_E_NS1_11comp_targetILNS1_3genE9ELNS1_11target_archE1100ELNS1_3gpuE3ELNS1_3repE0EEENS1_30default_config_static_selectorELNS0_4arch9wavefront6targetE1EEEvSP_,comdat
	.protected	_ZN7rocprim17ROCPRIM_400000_NS6detail17trampoline_kernelINS0_14default_configENS1_21merge_config_selectorIyNS0_10empty_typeEEEZNS1_10merge_implIS3_N6thrust23THRUST_200600_302600_NS6detail15normal_iteratorINS9_10device_ptrIKyEEEESF_NSB_INSC_IyEEEEPS5_SI_SI_NS9_4lessIyEEEE10hipError_tPvRmT0_T1_T2_T3_T4_T5_mmT6_P12ihipStream_tbEUlT_E_NS1_11comp_targetILNS1_3genE9ELNS1_11target_archE1100ELNS1_3gpuE3ELNS1_3repE0EEENS1_30default_config_static_selectorELNS0_4arch9wavefront6targetE1EEEvSP_ ; -- Begin function _ZN7rocprim17ROCPRIM_400000_NS6detail17trampoline_kernelINS0_14default_configENS1_21merge_config_selectorIyNS0_10empty_typeEEEZNS1_10merge_implIS3_N6thrust23THRUST_200600_302600_NS6detail15normal_iteratorINS9_10device_ptrIKyEEEESF_NSB_INSC_IyEEEEPS5_SI_SI_NS9_4lessIyEEEE10hipError_tPvRmT0_T1_T2_T3_T4_T5_mmT6_P12ihipStream_tbEUlT_E_NS1_11comp_targetILNS1_3genE9ELNS1_11target_archE1100ELNS1_3gpuE3ELNS1_3repE0EEENS1_30default_config_static_selectorELNS0_4arch9wavefront6targetE1EEEvSP_
	.globl	_ZN7rocprim17ROCPRIM_400000_NS6detail17trampoline_kernelINS0_14default_configENS1_21merge_config_selectorIyNS0_10empty_typeEEEZNS1_10merge_implIS3_N6thrust23THRUST_200600_302600_NS6detail15normal_iteratorINS9_10device_ptrIKyEEEESF_NSB_INSC_IyEEEEPS5_SI_SI_NS9_4lessIyEEEE10hipError_tPvRmT0_T1_T2_T3_T4_T5_mmT6_P12ihipStream_tbEUlT_E_NS1_11comp_targetILNS1_3genE9ELNS1_11target_archE1100ELNS1_3gpuE3ELNS1_3repE0EEENS1_30default_config_static_selectorELNS0_4arch9wavefront6targetE1EEEvSP_
	.p2align	8
	.type	_ZN7rocprim17ROCPRIM_400000_NS6detail17trampoline_kernelINS0_14default_configENS1_21merge_config_selectorIyNS0_10empty_typeEEEZNS1_10merge_implIS3_N6thrust23THRUST_200600_302600_NS6detail15normal_iteratorINS9_10device_ptrIKyEEEESF_NSB_INSC_IyEEEEPS5_SI_SI_NS9_4lessIyEEEE10hipError_tPvRmT0_T1_T2_T3_T4_T5_mmT6_P12ihipStream_tbEUlT_E_NS1_11comp_targetILNS1_3genE9ELNS1_11target_archE1100ELNS1_3gpuE3ELNS1_3repE0EEENS1_30default_config_static_selectorELNS0_4arch9wavefront6targetE1EEEvSP_,@function
_ZN7rocprim17ROCPRIM_400000_NS6detail17trampoline_kernelINS0_14default_configENS1_21merge_config_selectorIyNS0_10empty_typeEEEZNS1_10merge_implIS3_N6thrust23THRUST_200600_302600_NS6detail15normal_iteratorINS9_10device_ptrIKyEEEESF_NSB_INSC_IyEEEEPS5_SI_SI_NS9_4lessIyEEEE10hipError_tPvRmT0_T1_T2_T3_T4_T5_mmT6_P12ihipStream_tbEUlT_E_NS1_11comp_targetILNS1_3genE9ELNS1_11target_archE1100ELNS1_3gpuE3ELNS1_3repE0EEENS1_30default_config_static_selectorELNS0_4arch9wavefront6targetE1EEEvSP_: ; @_ZN7rocprim17ROCPRIM_400000_NS6detail17trampoline_kernelINS0_14default_configENS1_21merge_config_selectorIyNS0_10empty_typeEEEZNS1_10merge_implIS3_N6thrust23THRUST_200600_302600_NS6detail15normal_iteratorINS9_10device_ptrIKyEEEESF_NSB_INSC_IyEEEEPS5_SI_SI_NS9_4lessIyEEEE10hipError_tPvRmT0_T1_T2_T3_T4_T5_mmT6_P12ihipStream_tbEUlT_E_NS1_11comp_targetILNS1_3genE9ELNS1_11target_archE1100ELNS1_3gpuE3ELNS1_3repE0EEENS1_30default_config_static_selectorELNS0_4arch9wavefront6targetE1EEEvSP_
; %bb.0:
	.section	.rodata,"a",@progbits
	.p2align	6, 0x0
	.amdhsa_kernel _ZN7rocprim17ROCPRIM_400000_NS6detail17trampoline_kernelINS0_14default_configENS1_21merge_config_selectorIyNS0_10empty_typeEEEZNS1_10merge_implIS3_N6thrust23THRUST_200600_302600_NS6detail15normal_iteratorINS9_10device_ptrIKyEEEESF_NSB_INSC_IyEEEEPS5_SI_SI_NS9_4lessIyEEEE10hipError_tPvRmT0_T1_T2_T3_T4_T5_mmT6_P12ihipStream_tbEUlT_E_NS1_11comp_targetILNS1_3genE9ELNS1_11target_archE1100ELNS1_3gpuE3ELNS1_3repE0EEENS1_30default_config_static_selectorELNS0_4arch9wavefront6targetE1EEEvSP_
		.amdhsa_group_segment_fixed_size 0
		.amdhsa_private_segment_fixed_size 0
		.amdhsa_kernarg_size 48
		.amdhsa_user_sgpr_count 6
		.amdhsa_user_sgpr_private_segment_buffer 1
		.amdhsa_user_sgpr_dispatch_ptr 0
		.amdhsa_user_sgpr_queue_ptr 0
		.amdhsa_user_sgpr_kernarg_segment_ptr 1
		.amdhsa_user_sgpr_dispatch_id 0
		.amdhsa_user_sgpr_flat_scratch_init 0
		.amdhsa_user_sgpr_kernarg_preload_length 0
		.amdhsa_user_sgpr_kernarg_preload_offset 0
		.amdhsa_user_sgpr_private_segment_size 0
		.amdhsa_uses_dynamic_stack 0
		.amdhsa_system_sgpr_private_segment_wavefront_offset 0
		.amdhsa_system_sgpr_workgroup_id_x 1
		.amdhsa_system_sgpr_workgroup_id_y 0
		.amdhsa_system_sgpr_workgroup_id_z 0
		.amdhsa_system_sgpr_workgroup_info 0
		.amdhsa_system_vgpr_workitem_id 0
		.amdhsa_next_free_vgpr 1
		.amdhsa_next_free_sgpr 0
		.amdhsa_accum_offset 4
		.amdhsa_reserve_vcc 0
		.amdhsa_reserve_flat_scratch 0
		.amdhsa_float_round_mode_32 0
		.amdhsa_float_round_mode_16_64 0
		.amdhsa_float_denorm_mode_32 3
		.amdhsa_float_denorm_mode_16_64 3
		.amdhsa_dx10_clamp 1
		.amdhsa_ieee_mode 1
		.amdhsa_fp16_overflow 0
		.amdhsa_tg_split 0
		.amdhsa_exception_fp_ieee_invalid_op 0
		.amdhsa_exception_fp_denorm_src 0
		.amdhsa_exception_fp_ieee_div_zero 0
		.amdhsa_exception_fp_ieee_overflow 0
		.amdhsa_exception_fp_ieee_underflow 0
		.amdhsa_exception_fp_ieee_inexact 0
		.amdhsa_exception_int_div_zero 0
	.end_amdhsa_kernel
	.section	.text._ZN7rocprim17ROCPRIM_400000_NS6detail17trampoline_kernelINS0_14default_configENS1_21merge_config_selectorIyNS0_10empty_typeEEEZNS1_10merge_implIS3_N6thrust23THRUST_200600_302600_NS6detail15normal_iteratorINS9_10device_ptrIKyEEEESF_NSB_INSC_IyEEEEPS5_SI_SI_NS9_4lessIyEEEE10hipError_tPvRmT0_T1_T2_T3_T4_T5_mmT6_P12ihipStream_tbEUlT_E_NS1_11comp_targetILNS1_3genE9ELNS1_11target_archE1100ELNS1_3gpuE3ELNS1_3repE0EEENS1_30default_config_static_selectorELNS0_4arch9wavefront6targetE1EEEvSP_,"axG",@progbits,_ZN7rocprim17ROCPRIM_400000_NS6detail17trampoline_kernelINS0_14default_configENS1_21merge_config_selectorIyNS0_10empty_typeEEEZNS1_10merge_implIS3_N6thrust23THRUST_200600_302600_NS6detail15normal_iteratorINS9_10device_ptrIKyEEEESF_NSB_INSC_IyEEEEPS5_SI_SI_NS9_4lessIyEEEE10hipError_tPvRmT0_T1_T2_T3_T4_T5_mmT6_P12ihipStream_tbEUlT_E_NS1_11comp_targetILNS1_3genE9ELNS1_11target_archE1100ELNS1_3gpuE3ELNS1_3repE0EEENS1_30default_config_static_selectorELNS0_4arch9wavefront6targetE1EEEvSP_,comdat
.Lfunc_end103:
	.size	_ZN7rocprim17ROCPRIM_400000_NS6detail17trampoline_kernelINS0_14default_configENS1_21merge_config_selectorIyNS0_10empty_typeEEEZNS1_10merge_implIS3_N6thrust23THRUST_200600_302600_NS6detail15normal_iteratorINS9_10device_ptrIKyEEEESF_NSB_INSC_IyEEEEPS5_SI_SI_NS9_4lessIyEEEE10hipError_tPvRmT0_T1_T2_T3_T4_T5_mmT6_P12ihipStream_tbEUlT_E_NS1_11comp_targetILNS1_3genE9ELNS1_11target_archE1100ELNS1_3gpuE3ELNS1_3repE0EEENS1_30default_config_static_selectorELNS0_4arch9wavefront6targetE1EEEvSP_, .Lfunc_end103-_ZN7rocprim17ROCPRIM_400000_NS6detail17trampoline_kernelINS0_14default_configENS1_21merge_config_selectorIyNS0_10empty_typeEEEZNS1_10merge_implIS3_N6thrust23THRUST_200600_302600_NS6detail15normal_iteratorINS9_10device_ptrIKyEEEESF_NSB_INSC_IyEEEEPS5_SI_SI_NS9_4lessIyEEEE10hipError_tPvRmT0_T1_T2_T3_T4_T5_mmT6_P12ihipStream_tbEUlT_E_NS1_11comp_targetILNS1_3genE9ELNS1_11target_archE1100ELNS1_3gpuE3ELNS1_3repE0EEENS1_30default_config_static_selectorELNS0_4arch9wavefront6targetE1EEEvSP_
                                        ; -- End function
	.section	.AMDGPU.csdata,"",@progbits
; Kernel info:
; codeLenInByte = 0
; NumSgprs: 4
; NumVgprs: 0
; NumAgprs: 0
; TotalNumVgprs: 0
; ScratchSize: 0
; MemoryBound: 0
; FloatMode: 240
; IeeeMode: 1
; LDSByteSize: 0 bytes/workgroup (compile time only)
; SGPRBlocks: 0
; VGPRBlocks: 0
; NumSGPRsForWavesPerEU: 4
; NumVGPRsForWavesPerEU: 1
; AccumOffset: 4
; Occupancy: 8
; WaveLimiterHint : 0
; COMPUTE_PGM_RSRC2:SCRATCH_EN: 0
; COMPUTE_PGM_RSRC2:USER_SGPR: 6
; COMPUTE_PGM_RSRC2:TRAP_HANDLER: 0
; COMPUTE_PGM_RSRC2:TGID_X_EN: 1
; COMPUTE_PGM_RSRC2:TGID_Y_EN: 0
; COMPUTE_PGM_RSRC2:TGID_Z_EN: 0
; COMPUTE_PGM_RSRC2:TIDIG_COMP_CNT: 0
; COMPUTE_PGM_RSRC3_GFX90A:ACCUM_OFFSET: 0
; COMPUTE_PGM_RSRC3_GFX90A:TG_SPLIT: 0
	.section	.text._ZN7rocprim17ROCPRIM_400000_NS6detail17trampoline_kernelINS0_14default_configENS1_21merge_config_selectorIyNS0_10empty_typeEEEZNS1_10merge_implIS3_N6thrust23THRUST_200600_302600_NS6detail15normal_iteratorINS9_10device_ptrIKyEEEESF_NSB_INSC_IyEEEEPS5_SI_SI_NS9_4lessIyEEEE10hipError_tPvRmT0_T1_T2_T3_T4_T5_mmT6_P12ihipStream_tbEUlT_E_NS1_11comp_targetILNS1_3genE8ELNS1_11target_archE1030ELNS1_3gpuE2ELNS1_3repE0EEENS1_30default_config_static_selectorELNS0_4arch9wavefront6targetE1EEEvSP_,"axG",@progbits,_ZN7rocprim17ROCPRIM_400000_NS6detail17trampoline_kernelINS0_14default_configENS1_21merge_config_selectorIyNS0_10empty_typeEEEZNS1_10merge_implIS3_N6thrust23THRUST_200600_302600_NS6detail15normal_iteratorINS9_10device_ptrIKyEEEESF_NSB_INSC_IyEEEEPS5_SI_SI_NS9_4lessIyEEEE10hipError_tPvRmT0_T1_T2_T3_T4_T5_mmT6_P12ihipStream_tbEUlT_E_NS1_11comp_targetILNS1_3genE8ELNS1_11target_archE1030ELNS1_3gpuE2ELNS1_3repE0EEENS1_30default_config_static_selectorELNS0_4arch9wavefront6targetE1EEEvSP_,comdat
	.protected	_ZN7rocprim17ROCPRIM_400000_NS6detail17trampoline_kernelINS0_14default_configENS1_21merge_config_selectorIyNS0_10empty_typeEEEZNS1_10merge_implIS3_N6thrust23THRUST_200600_302600_NS6detail15normal_iteratorINS9_10device_ptrIKyEEEESF_NSB_INSC_IyEEEEPS5_SI_SI_NS9_4lessIyEEEE10hipError_tPvRmT0_T1_T2_T3_T4_T5_mmT6_P12ihipStream_tbEUlT_E_NS1_11comp_targetILNS1_3genE8ELNS1_11target_archE1030ELNS1_3gpuE2ELNS1_3repE0EEENS1_30default_config_static_selectorELNS0_4arch9wavefront6targetE1EEEvSP_ ; -- Begin function _ZN7rocprim17ROCPRIM_400000_NS6detail17trampoline_kernelINS0_14default_configENS1_21merge_config_selectorIyNS0_10empty_typeEEEZNS1_10merge_implIS3_N6thrust23THRUST_200600_302600_NS6detail15normal_iteratorINS9_10device_ptrIKyEEEESF_NSB_INSC_IyEEEEPS5_SI_SI_NS9_4lessIyEEEE10hipError_tPvRmT0_T1_T2_T3_T4_T5_mmT6_P12ihipStream_tbEUlT_E_NS1_11comp_targetILNS1_3genE8ELNS1_11target_archE1030ELNS1_3gpuE2ELNS1_3repE0EEENS1_30default_config_static_selectorELNS0_4arch9wavefront6targetE1EEEvSP_
	.globl	_ZN7rocprim17ROCPRIM_400000_NS6detail17trampoline_kernelINS0_14default_configENS1_21merge_config_selectorIyNS0_10empty_typeEEEZNS1_10merge_implIS3_N6thrust23THRUST_200600_302600_NS6detail15normal_iteratorINS9_10device_ptrIKyEEEESF_NSB_INSC_IyEEEEPS5_SI_SI_NS9_4lessIyEEEE10hipError_tPvRmT0_T1_T2_T3_T4_T5_mmT6_P12ihipStream_tbEUlT_E_NS1_11comp_targetILNS1_3genE8ELNS1_11target_archE1030ELNS1_3gpuE2ELNS1_3repE0EEENS1_30default_config_static_selectorELNS0_4arch9wavefront6targetE1EEEvSP_
	.p2align	8
	.type	_ZN7rocprim17ROCPRIM_400000_NS6detail17trampoline_kernelINS0_14default_configENS1_21merge_config_selectorIyNS0_10empty_typeEEEZNS1_10merge_implIS3_N6thrust23THRUST_200600_302600_NS6detail15normal_iteratorINS9_10device_ptrIKyEEEESF_NSB_INSC_IyEEEEPS5_SI_SI_NS9_4lessIyEEEE10hipError_tPvRmT0_T1_T2_T3_T4_T5_mmT6_P12ihipStream_tbEUlT_E_NS1_11comp_targetILNS1_3genE8ELNS1_11target_archE1030ELNS1_3gpuE2ELNS1_3repE0EEENS1_30default_config_static_selectorELNS0_4arch9wavefront6targetE1EEEvSP_,@function
_ZN7rocprim17ROCPRIM_400000_NS6detail17trampoline_kernelINS0_14default_configENS1_21merge_config_selectorIyNS0_10empty_typeEEEZNS1_10merge_implIS3_N6thrust23THRUST_200600_302600_NS6detail15normal_iteratorINS9_10device_ptrIKyEEEESF_NSB_INSC_IyEEEEPS5_SI_SI_NS9_4lessIyEEEE10hipError_tPvRmT0_T1_T2_T3_T4_T5_mmT6_P12ihipStream_tbEUlT_E_NS1_11comp_targetILNS1_3genE8ELNS1_11target_archE1030ELNS1_3gpuE2ELNS1_3repE0EEENS1_30default_config_static_selectorELNS0_4arch9wavefront6targetE1EEEvSP_: ; @_ZN7rocprim17ROCPRIM_400000_NS6detail17trampoline_kernelINS0_14default_configENS1_21merge_config_selectorIyNS0_10empty_typeEEEZNS1_10merge_implIS3_N6thrust23THRUST_200600_302600_NS6detail15normal_iteratorINS9_10device_ptrIKyEEEESF_NSB_INSC_IyEEEEPS5_SI_SI_NS9_4lessIyEEEE10hipError_tPvRmT0_T1_T2_T3_T4_T5_mmT6_P12ihipStream_tbEUlT_E_NS1_11comp_targetILNS1_3genE8ELNS1_11target_archE1030ELNS1_3gpuE2ELNS1_3repE0EEENS1_30default_config_static_selectorELNS0_4arch9wavefront6targetE1EEEvSP_
; %bb.0:
	.section	.rodata,"a",@progbits
	.p2align	6, 0x0
	.amdhsa_kernel _ZN7rocprim17ROCPRIM_400000_NS6detail17trampoline_kernelINS0_14default_configENS1_21merge_config_selectorIyNS0_10empty_typeEEEZNS1_10merge_implIS3_N6thrust23THRUST_200600_302600_NS6detail15normal_iteratorINS9_10device_ptrIKyEEEESF_NSB_INSC_IyEEEEPS5_SI_SI_NS9_4lessIyEEEE10hipError_tPvRmT0_T1_T2_T3_T4_T5_mmT6_P12ihipStream_tbEUlT_E_NS1_11comp_targetILNS1_3genE8ELNS1_11target_archE1030ELNS1_3gpuE2ELNS1_3repE0EEENS1_30default_config_static_selectorELNS0_4arch9wavefront6targetE1EEEvSP_
		.amdhsa_group_segment_fixed_size 0
		.amdhsa_private_segment_fixed_size 0
		.amdhsa_kernarg_size 48
		.amdhsa_user_sgpr_count 6
		.amdhsa_user_sgpr_private_segment_buffer 1
		.amdhsa_user_sgpr_dispatch_ptr 0
		.amdhsa_user_sgpr_queue_ptr 0
		.amdhsa_user_sgpr_kernarg_segment_ptr 1
		.amdhsa_user_sgpr_dispatch_id 0
		.amdhsa_user_sgpr_flat_scratch_init 0
		.amdhsa_user_sgpr_kernarg_preload_length 0
		.amdhsa_user_sgpr_kernarg_preload_offset 0
		.amdhsa_user_sgpr_private_segment_size 0
		.amdhsa_uses_dynamic_stack 0
		.amdhsa_system_sgpr_private_segment_wavefront_offset 0
		.amdhsa_system_sgpr_workgroup_id_x 1
		.amdhsa_system_sgpr_workgroup_id_y 0
		.amdhsa_system_sgpr_workgroup_id_z 0
		.amdhsa_system_sgpr_workgroup_info 0
		.amdhsa_system_vgpr_workitem_id 0
		.amdhsa_next_free_vgpr 1
		.amdhsa_next_free_sgpr 0
		.amdhsa_accum_offset 4
		.amdhsa_reserve_vcc 0
		.amdhsa_reserve_flat_scratch 0
		.amdhsa_float_round_mode_32 0
		.amdhsa_float_round_mode_16_64 0
		.amdhsa_float_denorm_mode_32 3
		.amdhsa_float_denorm_mode_16_64 3
		.amdhsa_dx10_clamp 1
		.amdhsa_ieee_mode 1
		.amdhsa_fp16_overflow 0
		.amdhsa_tg_split 0
		.amdhsa_exception_fp_ieee_invalid_op 0
		.amdhsa_exception_fp_denorm_src 0
		.amdhsa_exception_fp_ieee_div_zero 0
		.amdhsa_exception_fp_ieee_overflow 0
		.amdhsa_exception_fp_ieee_underflow 0
		.amdhsa_exception_fp_ieee_inexact 0
		.amdhsa_exception_int_div_zero 0
	.end_amdhsa_kernel
	.section	.text._ZN7rocprim17ROCPRIM_400000_NS6detail17trampoline_kernelINS0_14default_configENS1_21merge_config_selectorIyNS0_10empty_typeEEEZNS1_10merge_implIS3_N6thrust23THRUST_200600_302600_NS6detail15normal_iteratorINS9_10device_ptrIKyEEEESF_NSB_INSC_IyEEEEPS5_SI_SI_NS9_4lessIyEEEE10hipError_tPvRmT0_T1_T2_T3_T4_T5_mmT6_P12ihipStream_tbEUlT_E_NS1_11comp_targetILNS1_3genE8ELNS1_11target_archE1030ELNS1_3gpuE2ELNS1_3repE0EEENS1_30default_config_static_selectorELNS0_4arch9wavefront6targetE1EEEvSP_,"axG",@progbits,_ZN7rocprim17ROCPRIM_400000_NS6detail17trampoline_kernelINS0_14default_configENS1_21merge_config_selectorIyNS0_10empty_typeEEEZNS1_10merge_implIS3_N6thrust23THRUST_200600_302600_NS6detail15normal_iteratorINS9_10device_ptrIKyEEEESF_NSB_INSC_IyEEEEPS5_SI_SI_NS9_4lessIyEEEE10hipError_tPvRmT0_T1_T2_T3_T4_T5_mmT6_P12ihipStream_tbEUlT_E_NS1_11comp_targetILNS1_3genE8ELNS1_11target_archE1030ELNS1_3gpuE2ELNS1_3repE0EEENS1_30default_config_static_selectorELNS0_4arch9wavefront6targetE1EEEvSP_,comdat
.Lfunc_end104:
	.size	_ZN7rocprim17ROCPRIM_400000_NS6detail17trampoline_kernelINS0_14default_configENS1_21merge_config_selectorIyNS0_10empty_typeEEEZNS1_10merge_implIS3_N6thrust23THRUST_200600_302600_NS6detail15normal_iteratorINS9_10device_ptrIKyEEEESF_NSB_INSC_IyEEEEPS5_SI_SI_NS9_4lessIyEEEE10hipError_tPvRmT0_T1_T2_T3_T4_T5_mmT6_P12ihipStream_tbEUlT_E_NS1_11comp_targetILNS1_3genE8ELNS1_11target_archE1030ELNS1_3gpuE2ELNS1_3repE0EEENS1_30default_config_static_selectorELNS0_4arch9wavefront6targetE1EEEvSP_, .Lfunc_end104-_ZN7rocprim17ROCPRIM_400000_NS6detail17trampoline_kernelINS0_14default_configENS1_21merge_config_selectorIyNS0_10empty_typeEEEZNS1_10merge_implIS3_N6thrust23THRUST_200600_302600_NS6detail15normal_iteratorINS9_10device_ptrIKyEEEESF_NSB_INSC_IyEEEEPS5_SI_SI_NS9_4lessIyEEEE10hipError_tPvRmT0_T1_T2_T3_T4_T5_mmT6_P12ihipStream_tbEUlT_E_NS1_11comp_targetILNS1_3genE8ELNS1_11target_archE1030ELNS1_3gpuE2ELNS1_3repE0EEENS1_30default_config_static_selectorELNS0_4arch9wavefront6targetE1EEEvSP_
                                        ; -- End function
	.section	.AMDGPU.csdata,"",@progbits
; Kernel info:
; codeLenInByte = 0
; NumSgprs: 4
; NumVgprs: 0
; NumAgprs: 0
; TotalNumVgprs: 0
; ScratchSize: 0
; MemoryBound: 0
; FloatMode: 240
; IeeeMode: 1
; LDSByteSize: 0 bytes/workgroup (compile time only)
; SGPRBlocks: 0
; VGPRBlocks: 0
; NumSGPRsForWavesPerEU: 4
; NumVGPRsForWavesPerEU: 1
; AccumOffset: 4
; Occupancy: 8
; WaveLimiterHint : 0
; COMPUTE_PGM_RSRC2:SCRATCH_EN: 0
; COMPUTE_PGM_RSRC2:USER_SGPR: 6
; COMPUTE_PGM_RSRC2:TRAP_HANDLER: 0
; COMPUTE_PGM_RSRC2:TGID_X_EN: 1
; COMPUTE_PGM_RSRC2:TGID_Y_EN: 0
; COMPUTE_PGM_RSRC2:TGID_Z_EN: 0
; COMPUTE_PGM_RSRC2:TIDIG_COMP_CNT: 0
; COMPUTE_PGM_RSRC3_GFX90A:ACCUM_OFFSET: 0
; COMPUTE_PGM_RSRC3_GFX90A:TG_SPLIT: 0
	.section	.text._ZN7rocprim17ROCPRIM_400000_NS6detail17trampoline_kernelINS0_14default_configENS1_21merge_config_selectorIyNS0_10empty_typeEEEZNS1_10merge_implIS3_N6thrust23THRUST_200600_302600_NS6detail15normal_iteratorINS9_10device_ptrIKyEEEESF_NSB_INSC_IyEEEEPS5_SI_SI_NS9_4lessIyEEEE10hipError_tPvRmT0_T1_T2_T3_T4_T5_mmT6_P12ihipStream_tbEUlT_E0_NS1_11comp_targetILNS1_3genE0ELNS1_11target_archE4294967295ELNS1_3gpuE0ELNS1_3repE0EEENS1_30default_config_static_selectorELNS0_4arch9wavefront6targetE1EEEvSP_,"axG",@progbits,_ZN7rocprim17ROCPRIM_400000_NS6detail17trampoline_kernelINS0_14default_configENS1_21merge_config_selectorIyNS0_10empty_typeEEEZNS1_10merge_implIS3_N6thrust23THRUST_200600_302600_NS6detail15normal_iteratorINS9_10device_ptrIKyEEEESF_NSB_INSC_IyEEEEPS5_SI_SI_NS9_4lessIyEEEE10hipError_tPvRmT0_T1_T2_T3_T4_T5_mmT6_P12ihipStream_tbEUlT_E0_NS1_11comp_targetILNS1_3genE0ELNS1_11target_archE4294967295ELNS1_3gpuE0ELNS1_3repE0EEENS1_30default_config_static_selectorELNS0_4arch9wavefront6targetE1EEEvSP_,comdat
	.protected	_ZN7rocprim17ROCPRIM_400000_NS6detail17trampoline_kernelINS0_14default_configENS1_21merge_config_selectorIyNS0_10empty_typeEEEZNS1_10merge_implIS3_N6thrust23THRUST_200600_302600_NS6detail15normal_iteratorINS9_10device_ptrIKyEEEESF_NSB_INSC_IyEEEEPS5_SI_SI_NS9_4lessIyEEEE10hipError_tPvRmT0_T1_T2_T3_T4_T5_mmT6_P12ihipStream_tbEUlT_E0_NS1_11comp_targetILNS1_3genE0ELNS1_11target_archE4294967295ELNS1_3gpuE0ELNS1_3repE0EEENS1_30default_config_static_selectorELNS0_4arch9wavefront6targetE1EEEvSP_ ; -- Begin function _ZN7rocprim17ROCPRIM_400000_NS6detail17trampoline_kernelINS0_14default_configENS1_21merge_config_selectorIyNS0_10empty_typeEEEZNS1_10merge_implIS3_N6thrust23THRUST_200600_302600_NS6detail15normal_iteratorINS9_10device_ptrIKyEEEESF_NSB_INSC_IyEEEEPS5_SI_SI_NS9_4lessIyEEEE10hipError_tPvRmT0_T1_T2_T3_T4_T5_mmT6_P12ihipStream_tbEUlT_E0_NS1_11comp_targetILNS1_3genE0ELNS1_11target_archE4294967295ELNS1_3gpuE0ELNS1_3repE0EEENS1_30default_config_static_selectorELNS0_4arch9wavefront6targetE1EEEvSP_
	.globl	_ZN7rocprim17ROCPRIM_400000_NS6detail17trampoline_kernelINS0_14default_configENS1_21merge_config_selectorIyNS0_10empty_typeEEEZNS1_10merge_implIS3_N6thrust23THRUST_200600_302600_NS6detail15normal_iteratorINS9_10device_ptrIKyEEEESF_NSB_INSC_IyEEEEPS5_SI_SI_NS9_4lessIyEEEE10hipError_tPvRmT0_T1_T2_T3_T4_T5_mmT6_P12ihipStream_tbEUlT_E0_NS1_11comp_targetILNS1_3genE0ELNS1_11target_archE4294967295ELNS1_3gpuE0ELNS1_3repE0EEENS1_30default_config_static_selectorELNS0_4arch9wavefront6targetE1EEEvSP_
	.p2align	8
	.type	_ZN7rocprim17ROCPRIM_400000_NS6detail17trampoline_kernelINS0_14default_configENS1_21merge_config_selectorIyNS0_10empty_typeEEEZNS1_10merge_implIS3_N6thrust23THRUST_200600_302600_NS6detail15normal_iteratorINS9_10device_ptrIKyEEEESF_NSB_INSC_IyEEEEPS5_SI_SI_NS9_4lessIyEEEE10hipError_tPvRmT0_T1_T2_T3_T4_T5_mmT6_P12ihipStream_tbEUlT_E0_NS1_11comp_targetILNS1_3genE0ELNS1_11target_archE4294967295ELNS1_3gpuE0ELNS1_3repE0EEENS1_30default_config_static_selectorELNS0_4arch9wavefront6targetE1EEEvSP_,@function
_ZN7rocprim17ROCPRIM_400000_NS6detail17trampoline_kernelINS0_14default_configENS1_21merge_config_selectorIyNS0_10empty_typeEEEZNS1_10merge_implIS3_N6thrust23THRUST_200600_302600_NS6detail15normal_iteratorINS9_10device_ptrIKyEEEESF_NSB_INSC_IyEEEEPS5_SI_SI_NS9_4lessIyEEEE10hipError_tPvRmT0_T1_T2_T3_T4_T5_mmT6_P12ihipStream_tbEUlT_E0_NS1_11comp_targetILNS1_3genE0ELNS1_11target_archE4294967295ELNS1_3gpuE0ELNS1_3repE0EEENS1_30default_config_static_selectorELNS0_4arch9wavefront6targetE1EEEvSP_: ; @_ZN7rocprim17ROCPRIM_400000_NS6detail17trampoline_kernelINS0_14default_configENS1_21merge_config_selectorIyNS0_10empty_typeEEEZNS1_10merge_implIS3_N6thrust23THRUST_200600_302600_NS6detail15normal_iteratorINS9_10device_ptrIKyEEEESF_NSB_INSC_IyEEEEPS5_SI_SI_NS9_4lessIyEEEE10hipError_tPvRmT0_T1_T2_T3_T4_T5_mmT6_P12ihipStream_tbEUlT_E0_NS1_11comp_targetILNS1_3genE0ELNS1_11target_archE4294967295ELNS1_3gpuE0ELNS1_3repE0EEENS1_30default_config_static_selectorELNS0_4arch9wavefront6targetE1EEEvSP_
; %bb.0:
	.section	.rodata,"a",@progbits
	.p2align	6, 0x0
	.amdhsa_kernel _ZN7rocprim17ROCPRIM_400000_NS6detail17trampoline_kernelINS0_14default_configENS1_21merge_config_selectorIyNS0_10empty_typeEEEZNS1_10merge_implIS3_N6thrust23THRUST_200600_302600_NS6detail15normal_iteratorINS9_10device_ptrIKyEEEESF_NSB_INSC_IyEEEEPS5_SI_SI_NS9_4lessIyEEEE10hipError_tPvRmT0_T1_T2_T3_T4_T5_mmT6_P12ihipStream_tbEUlT_E0_NS1_11comp_targetILNS1_3genE0ELNS1_11target_archE4294967295ELNS1_3gpuE0ELNS1_3repE0EEENS1_30default_config_static_selectorELNS0_4arch9wavefront6targetE1EEEvSP_
		.amdhsa_group_segment_fixed_size 0
		.amdhsa_private_segment_fixed_size 0
		.amdhsa_kernarg_size 88
		.amdhsa_user_sgpr_count 6
		.amdhsa_user_sgpr_private_segment_buffer 1
		.amdhsa_user_sgpr_dispatch_ptr 0
		.amdhsa_user_sgpr_queue_ptr 0
		.amdhsa_user_sgpr_kernarg_segment_ptr 1
		.amdhsa_user_sgpr_dispatch_id 0
		.amdhsa_user_sgpr_flat_scratch_init 0
		.amdhsa_user_sgpr_kernarg_preload_length 0
		.amdhsa_user_sgpr_kernarg_preload_offset 0
		.amdhsa_user_sgpr_private_segment_size 0
		.amdhsa_uses_dynamic_stack 0
		.amdhsa_system_sgpr_private_segment_wavefront_offset 0
		.amdhsa_system_sgpr_workgroup_id_x 1
		.amdhsa_system_sgpr_workgroup_id_y 0
		.amdhsa_system_sgpr_workgroup_id_z 0
		.amdhsa_system_sgpr_workgroup_info 0
		.amdhsa_system_vgpr_workitem_id 0
		.amdhsa_next_free_vgpr 1
		.amdhsa_next_free_sgpr 0
		.amdhsa_accum_offset 4
		.amdhsa_reserve_vcc 0
		.amdhsa_reserve_flat_scratch 0
		.amdhsa_float_round_mode_32 0
		.amdhsa_float_round_mode_16_64 0
		.amdhsa_float_denorm_mode_32 3
		.amdhsa_float_denorm_mode_16_64 3
		.amdhsa_dx10_clamp 1
		.amdhsa_ieee_mode 1
		.amdhsa_fp16_overflow 0
		.amdhsa_tg_split 0
		.amdhsa_exception_fp_ieee_invalid_op 0
		.amdhsa_exception_fp_denorm_src 0
		.amdhsa_exception_fp_ieee_div_zero 0
		.amdhsa_exception_fp_ieee_overflow 0
		.amdhsa_exception_fp_ieee_underflow 0
		.amdhsa_exception_fp_ieee_inexact 0
		.amdhsa_exception_int_div_zero 0
	.end_amdhsa_kernel
	.section	.text._ZN7rocprim17ROCPRIM_400000_NS6detail17trampoline_kernelINS0_14default_configENS1_21merge_config_selectorIyNS0_10empty_typeEEEZNS1_10merge_implIS3_N6thrust23THRUST_200600_302600_NS6detail15normal_iteratorINS9_10device_ptrIKyEEEESF_NSB_INSC_IyEEEEPS5_SI_SI_NS9_4lessIyEEEE10hipError_tPvRmT0_T1_T2_T3_T4_T5_mmT6_P12ihipStream_tbEUlT_E0_NS1_11comp_targetILNS1_3genE0ELNS1_11target_archE4294967295ELNS1_3gpuE0ELNS1_3repE0EEENS1_30default_config_static_selectorELNS0_4arch9wavefront6targetE1EEEvSP_,"axG",@progbits,_ZN7rocprim17ROCPRIM_400000_NS6detail17trampoline_kernelINS0_14default_configENS1_21merge_config_selectorIyNS0_10empty_typeEEEZNS1_10merge_implIS3_N6thrust23THRUST_200600_302600_NS6detail15normal_iteratorINS9_10device_ptrIKyEEEESF_NSB_INSC_IyEEEEPS5_SI_SI_NS9_4lessIyEEEE10hipError_tPvRmT0_T1_T2_T3_T4_T5_mmT6_P12ihipStream_tbEUlT_E0_NS1_11comp_targetILNS1_3genE0ELNS1_11target_archE4294967295ELNS1_3gpuE0ELNS1_3repE0EEENS1_30default_config_static_selectorELNS0_4arch9wavefront6targetE1EEEvSP_,comdat
.Lfunc_end105:
	.size	_ZN7rocprim17ROCPRIM_400000_NS6detail17trampoline_kernelINS0_14default_configENS1_21merge_config_selectorIyNS0_10empty_typeEEEZNS1_10merge_implIS3_N6thrust23THRUST_200600_302600_NS6detail15normal_iteratorINS9_10device_ptrIKyEEEESF_NSB_INSC_IyEEEEPS5_SI_SI_NS9_4lessIyEEEE10hipError_tPvRmT0_T1_T2_T3_T4_T5_mmT6_P12ihipStream_tbEUlT_E0_NS1_11comp_targetILNS1_3genE0ELNS1_11target_archE4294967295ELNS1_3gpuE0ELNS1_3repE0EEENS1_30default_config_static_selectorELNS0_4arch9wavefront6targetE1EEEvSP_, .Lfunc_end105-_ZN7rocprim17ROCPRIM_400000_NS6detail17trampoline_kernelINS0_14default_configENS1_21merge_config_selectorIyNS0_10empty_typeEEEZNS1_10merge_implIS3_N6thrust23THRUST_200600_302600_NS6detail15normal_iteratorINS9_10device_ptrIKyEEEESF_NSB_INSC_IyEEEEPS5_SI_SI_NS9_4lessIyEEEE10hipError_tPvRmT0_T1_T2_T3_T4_T5_mmT6_P12ihipStream_tbEUlT_E0_NS1_11comp_targetILNS1_3genE0ELNS1_11target_archE4294967295ELNS1_3gpuE0ELNS1_3repE0EEENS1_30default_config_static_selectorELNS0_4arch9wavefront6targetE1EEEvSP_
                                        ; -- End function
	.section	.AMDGPU.csdata,"",@progbits
; Kernel info:
; codeLenInByte = 0
; NumSgprs: 4
; NumVgprs: 0
; NumAgprs: 0
; TotalNumVgprs: 0
; ScratchSize: 0
; MemoryBound: 0
; FloatMode: 240
; IeeeMode: 1
; LDSByteSize: 0 bytes/workgroup (compile time only)
; SGPRBlocks: 0
; VGPRBlocks: 0
; NumSGPRsForWavesPerEU: 4
; NumVGPRsForWavesPerEU: 1
; AccumOffset: 4
; Occupancy: 8
; WaveLimiterHint : 0
; COMPUTE_PGM_RSRC2:SCRATCH_EN: 0
; COMPUTE_PGM_RSRC2:USER_SGPR: 6
; COMPUTE_PGM_RSRC2:TRAP_HANDLER: 0
; COMPUTE_PGM_RSRC2:TGID_X_EN: 1
; COMPUTE_PGM_RSRC2:TGID_Y_EN: 0
; COMPUTE_PGM_RSRC2:TGID_Z_EN: 0
; COMPUTE_PGM_RSRC2:TIDIG_COMP_CNT: 0
; COMPUTE_PGM_RSRC3_GFX90A:ACCUM_OFFSET: 0
; COMPUTE_PGM_RSRC3_GFX90A:TG_SPLIT: 0
	.section	.text._ZN7rocprim17ROCPRIM_400000_NS6detail17trampoline_kernelINS0_14default_configENS1_21merge_config_selectorIyNS0_10empty_typeEEEZNS1_10merge_implIS3_N6thrust23THRUST_200600_302600_NS6detail15normal_iteratorINS9_10device_ptrIKyEEEESF_NSB_INSC_IyEEEEPS5_SI_SI_NS9_4lessIyEEEE10hipError_tPvRmT0_T1_T2_T3_T4_T5_mmT6_P12ihipStream_tbEUlT_E0_NS1_11comp_targetILNS1_3genE5ELNS1_11target_archE942ELNS1_3gpuE9ELNS1_3repE0EEENS1_30default_config_static_selectorELNS0_4arch9wavefront6targetE1EEEvSP_,"axG",@progbits,_ZN7rocprim17ROCPRIM_400000_NS6detail17trampoline_kernelINS0_14default_configENS1_21merge_config_selectorIyNS0_10empty_typeEEEZNS1_10merge_implIS3_N6thrust23THRUST_200600_302600_NS6detail15normal_iteratorINS9_10device_ptrIKyEEEESF_NSB_INSC_IyEEEEPS5_SI_SI_NS9_4lessIyEEEE10hipError_tPvRmT0_T1_T2_T3_T4_T5_mmT6_P12ihipStream_tbEUlT_E0_NS1_11comp_targetILNS1_3genE5ELNS1_11target_archE942ELNS1_3gpuE9ELNS1_3repE0EEENS1_30default_config_static_selectorELNS0_4arch9wavefront6targetE1EEEvSP_,comdat
	.protected	_ZN7rocprim17ROCPRIM_400000_NS6detail17trampoline_kernelINS0_14default_configENS1_21merge_config_selectorIyNS0_10empty_typeEEEZNS1_10merge_implIS3_N6thrust23THRUST_200600_302600_NS6detail15normal_iteratorINS9_10device_ptrIKyEEEESF_NSB_INSC_IyEEEEPS5_SI_SI_NS9_4lessIyEEEE10hipError_tPvRmT0_T1_T2_T3_T4_T5_mmT6_P12ihipStream_tbEUlT_E0_NS1_11comp_targetILNS1_3genE5ELNS1_11target_archE942ELNS1_3gpuE9ELNS1_3repE0EEENS1_30default_config_static_selectorELNS0_4arch9wavefront6targetE1EEEvSP_ ; -- Begin function _ZN7rocprim17ROCPRIM_400000_NS6detail17trampoline_kernelINS0_14default_configENS1_21merge_config_selectorIyNS0_10empty_typeEEEZNS1_10merge_implIS3_N6thrust23THRUST_200600_302600_NS6detail15normal_iteratorINS9_10device_ptrIKyEEEESF_NSB_INSC_IyEEEEPS5_SI_SI_NS9_4lessIyEEEE10hipError_tPvRmT0_T1_T2_T3_T4_T5_mmT6_P12ihipStream_tbEUlT_E0_NS1_11comp_targetILNS1_3genE5ELNS1_11target_archE942ELNS1_3gpuE9ELNS1_3repE0EEENS1_30default_config_static_selectorELNS0_4arch9wavefront6targetE1EEEvSP_
	.globl	_ZN7rocprim17ROCPRIM_400000_NS6detail17trampoline_kernelINS0_14default_configENS1_21merge_config_selectorIyNS0_10empty_typeEEEZNS1_10merge_implIS3_N6thrust23THRUST_200600_302600_NS6detail15normal_iteratorINS9_10device_ptrIKyEEEESF_NSB_INSC_IyEEEEPS5_SI_SI_NS9_4lessIyEEEE10hipError_tPvRmT0_T1_T2_T3_T4_T5_mmT6_P12ihipStream_tbEUlT_E0_NS1_11comp_targetILNS1_3genE5ELNS1_11target_archE942ELNS1_3gpuE9ELNS1_3repE0EEENS1_30default_config_static_selectorELNS0_4arch9wavefront6targetE1EEEvSP_
	.p2align	8
	.type	_ZN7rocprim17ROCPRIM_400000_NS6detail17trampoline_kernelINS0_14default_configENS1_21merge_config_selectorIyNS0_10empty_typeEEEZNS1_10merge_implIS3_N6thrust23THRUST_200600_302600_NS6detail15normal_iteratorINS9_10device_ptrIKyEEEESF_NSB_INSC_IyEEEEPS5_SI_SI_NS9_4lessIyEEEE10hipError_tPvRmT0_T1_T2_T3_T4_T5_mmT6_P12ihipStream_tbEUlT_E0_NS1_11comp_targetILNS1_3genE5ELNS1_11target_archE942ELNS1_3gpuE9ELNS1_3repE0EEENS1_30default_config_static_selectorELNS0_4arch9wavefront6targetE1EEEvSP_,@function
_ZN7rocprim17ROCPRIM_400000_NS6detail17trampoline_kernelINS0_14default_configENS1_21merge_config_selectorIyNS0_10empty_typeEEEZNS1_10merge_implIS3_N6thrust23THRUST_200600_302600_NS6detail15normal_iteratorINS9_10device_ptrIKyEEEESF_NSB_INSC_IyEEEEPS5_SI_SI_NS9_4lessIyEEEE10hipError_tPvRmT0_T1_T2_T3_T4_T5_mmT6_P12ihipStream_tbEUlT_E0_NS1_11comp_targetILNS1_3genE5ELNS1_11target_archE942ELNS1_3gpuE9ELNS1_3repE0EEENS1_30default_config_static_selectorELNS0_4arch9wavefront6targetE1EEEvSP_: ; @_ZN7rocprim17ROCPRIM_400000_NS6detail17trampoline_kernelINS0_14default_configENS1_21merge_config_selectorIyNS0_10empty_typeEEEZNS1_10merge_implIS3_N6thrust23THRUST_200600_302600_NS6detail15normal_iteratorINS9_10device_ptrIKyEEEESF_NSB_INSC_IyEEEEPS5_SI_SI_NS9_4lessIyEEEE10hipError_tPvRmT0_T1_T2_T3_T4_T5_mmT6_P12ihipStream_tbEUlT_E0_NS1_11comp_targetILNS1_3genE5ELNS1_11target_archE942ELNS1_3gpuE9ELNS1_3repE0EEENS1_30default_config_static_selectorELNS0_4arch9wavefront6targetE1EEEvSP_
; %bb.0:
	.section	.rodata,"a",@progbits
	.p2align	6, 0x0
	.amdhsa_kernel _ZN7rocprim17ROCPRIM_400000_NS6detail17trampoline_kernelINS0_14default_configENS1_21merge_config_selectorIyNS0_10empty_typeEEEZNS1_10merge_implIS3_N6thrust23THRUST_200600_302600_NS6detail15normal_iteratorINS9_10device_ptrIKyEEEESF_NSB_INSC_IyEEEEPS5_SI_SI_NS9_4lessIyEEEE10hipError_tPvRmT0_T1_T2_T3_T4_T5_mmT6_P12ihipStream_tbEUlT_E0_NS1_11comp_targetILNS1_3genE5ELNS1_11target_archE942ELNS1_3gpuE9ELNS1_3repE0EEENS1_30default_config_static_selectorELNS0_4arch9wavefront6targetE1EEEvSP_
		.amdhsa_group_segment_fixed_size 0
		.amdhsa_private_segment_fixed_size 0
		.amdhsa_kernarg_size 88
		.amdhsa_user_sgpr_count 6
		.amdhsa_user_sgpr_private_segment_buffer 1
		.amdhsa_user_sgpr_dispatch_ptr 0
		.amdhsa_user_sgpr_queue_ptr 0
		.amdhsa_user_sgpr_kernarg_segment_ptr 1
		.amdhsa_user_sgpr_dispatch_id 0
		.amdhsa_user_sgpr_flat_scratch_init 0
		.amdhsa_user_sgpr_kernarg_preload_length 0
		.amdhsa_user_sgpr_kernarg_preload_offset 0
		.amdhsa_user_sgpr_private_segment_size 0
		.amdhsa_uses_dynamic_stack 0
		.amdhsa_system_sgpr_private_segment_wavefront_offset 0
		.amdhsa_system_sgpr_workgroup_id_x 1
		.amdhsa_system_sgpr_workgroup_id_y 0
		.amdhsa_system_sgpr_workgroup_id_z 0
		.amdhsa_system_sgpr_workgroup_info 0
		.amdhsa_system_vgpr_workitem_id 0
		.amdhsa_next_free_vgpr 1
		.amdhsa_next_free_sgpr 0
		.amdhsa_accum_offset 4
		.amdhsa_reserve_vcc 0
		.amdhsa_reserve_flat_scratch 0
		.amdhsa_float_round_mode_32 0
		.amdhsa_float_round_mode_16_64 0
		.amdhsa_float_denorm_mode_32 3
		.amdhsa_float_denorm_mode_16_64 3
		.amdhsa_dx10_clamp 1
		.amdhsa_ieee_mode 1
		.amdhsa_fp16_overflow 0
		.amdhsa_tg_split 0
		.amdhsa_exception_fp_ieee_invalid_op 0
		.amdhsa_exception_fp_denorm_src 0
		.amdhsa_exception_fp_ieee_div_zero 0
		.amdhsa_exception_fp_ieee_overflow 0
		.amdhsa_exception_fp_ieee_underflow 0
		.amdhsa_exception_fp_ieee_inexact 0
		.amdhsa_exception_int_div_zero 0
	.end_amdhsa_kernel
	.section	.text._ZN7rocprim17ROCPRIM_400000_NS6detail17trampoline_kernelINS0_14default_configENS1_21merge_config_selectorIyNS0_10empty_typeEEEZNS1_10merge_implIS3_N6thrust23THRUST_200600_302600_NS6detail15normal_iteratorINS9_10device_ptrIKyEEEESF_NSB_INSC_IyEEEEPS5_SI_SI_NS9_4lessIyEEEE10hipError_tPvRmT0_T1_T2_T3_T4_T5_mmT6_P12ihipStream_tbEUlT_E0_NS1_11comp_targetILNS1_3genE5ELNS1_11target_archE942ELNS1_3gpuE9ELNS1_3repE0EEENS1_30default_config_static_selectorELNS0_4arch9wavefront6targetE1EEEvSP_,"axG",@progbits,_ZN7rocprim17ROCPRIM_400000_NS6detail17trampoline_kernelINS0_14default_configENS1_21merge_config_selectorIyNS0_10empty_typeEEEZNS1_10merge_implIS3_N6thrust23THRUST_200600_302600_NS6detail15normal_iteratorINS9_10device_ptrIKyEEEESF_NSB_INSC_IyEEEEPS5_SI_SI_NS9_4lessIyEEEE10hipError_tPvRmT0_T1_T2_T3_T4_T5_mmT6_P12ihipStream_tbEUlT_E0_NS1_11comp_targetILNS1_3genE5ELNS1_11target_archE942ELNS1_3gpuE9ELNS1_3repE0EEENS1_30default_config_static_selectorELNS0_4arch9wavefront6targetE1EEEvSP_,comdat
.Lfunc_end106:
	.size	_ZN7rocprim17ROCPRIM_400000_NS6detail17trampoline_kernelINS0_14default_configENS1_21merge_config_selectorIyNS0_10empty_typeEEEZNS1_10merge_implIS3_N6thrust23THRUST_200600_302600_NS6detail15normal_iteratorINS9_10device_ptrIKyEEEESF_NSB_INSC_IyEEEEPS5_SI_SI_NS9_4lessIyEEEE10hipError_tPvRmT0_T1_T2_T3_T4_T5_mmT6_P12ihipStream_tbEUlT_E0_NS1_11comp_targetILNS1_3genE5ELNS1_11target_archE942ELNS1_3gpuE9ELNS1_3repE0EEENS1_30default_config_static_selectorELNS0_4arch9wavefront6targetE1EEEvSP_, .Lfunc_end106-_ZN7rocprim17ROCPRIM_400000_NS6detail17trampoline_kernelINS0_14default_configENS1_21merge_config_selectorIyNS0_10empty_typeEEEZNS1_10merge_implIS3_N6thrust23THRUST_200600_302600_NS6detail15normal_iteratorINS9_10device_ptrIKyEEEESF_NSB_INSC_IyEEEEPS5_SI_SI_NS9_4lessIyEEEE10hipError_tPvRmT0_T1_T2_T3_T4_T5_mmT6_P12ihipStream_tbEUlT_E0_NS1_11comp_targetILNS1_3genE5ELNS1_11target_archE942ELNS1_3gpuE9ELNS1_3repE0EEENS1_30default_config_static_selectorELNS0_4arch9wavefront6targetE1EEEvSP_
                                        ; -- End function
	.section	.AMDGPU.csdata,"",@progbits
; Kernel info:
; codeLenInByte = 0
; NumSgprs: 4
; NumVgprs: 0
; NumAgprs: 0
; TotalNumVgprs: 0
; ScratchSize: 0
; MemoryBound: 0
; FloatMode: 240
; IeeeMode: 1
; LDSByteSize: 0 bytes/workgroup (compile time only)
; SGPRBlocks: 0
; VGPRBlocks: 0
; NumSGPRsForWavesPerEU: 4
; NumVGPRsForWavesPerEU: 1
; AccumOffset: 4
; Occupancy: 8
; WaveLimiterHint : 0
; COMPUTE_PGM_RSRC2:SCRATCH_EN: 0
; COMPUTE_PGM_RSRC2:USER_SGPR: 6
; COMPUTE_PGM_RSRC2:TRAP_HANDLER: 0
; COMPUTE_PGM_RSRC2:TGID_X_EN: 1
; COMPUTE_PGM_RSRC2:TGID_Y_EN: 0
; COMPUTE_PGM_RSRC2:TGID_Z_EN: 0
; COMPUTE_PGM_RSRC2:TIDIG_COMP_CNT: 0
; COMPUTE_PGM_RSRC3_GFX90A:ACCUM_OFFSET: 0
; COMPUTE_PGM_RSRC3_GFX90A:TG_SPLIT: 0
	.section	.text._ZN7rocprim17ROCPRIM_400000_NS6detail17trampoline_kernelINS0_14default_configENS1_21merge_config_selectorIyNS0_10empty_typeEEEZNS1_10merge_implIS3_N6thrust23THRUST_200600_302600_NS6detail15normal_iteratorINS9_10device_ptrIKyEEEESF_NSB_INSC_IyEEEEPS5_SI_SI_NS9_4lessIyEEEE10hipError_tPvRmT0_T1_T2_T3_T4_T5_mmT6_P12ihipStream_tbEUlT_E0_NS1_11comp_targetILNS1_3genE4ELNS1_11target_archE910ELNS1_3gpuE8ELNS1_3repE0EEENS1_30default_config_static_selectorELNS0_4arch9wavefront6targetE1EEEvSP_,"axG",@progbits,_ZN7rocprim17ROCPRIM_400000_NS6detail17trampoline_kernelINS0_14default_configENS1_21merge_config_selectorIyNS0_10empty_typeEEEZNS1_10merge_implIS3_N6thrust23THRUST_200600_302600_NS6detail15normal_iteratorINS9_10device_ptrIKyEEEESF_NSB_INSC_IyEEEEPS5_SI_SI_NS9_4lessIyEEEE10hipError_tPvRmT0_T1_T2_T3_T4_T5_mmT6_P12ihipStream_tbEUlT_E0_NS1_11comp_targetILNS1_3genE4ELNS1_11target_archE910ELNS1_3gpuE8ELNS1_3repE0EEENS1_30default_config_static_selectorELNS0_4arch9wavefront6targetE1EEEvSP_,comdat
	.protected	_ZN7rocprim17ROCPRIM_400000_NS6detail17trampoline_kernelINS0_14default_configENS1_21merge_config_selectorIyNS0_10empty_typeEEEZNS1_10merge_implIS3_N6thrust23THRUST_200600_302600_NS6detail15normal_iteratorINS9_10device_ptrIKyEEEESF_NSB_INSC_IyEEEEPS5_SI_SI_NS9_4lessIyEEEE10hipError_tPvRmT0_T1_T2_T3_T4_T5_mmT6_P12ihipStream_tbEUlT_E0_NS1_11comp_targetILNS1_3genE4ELNS1_11target_archE910ELNS1_3gpuE8ELNS1_3repE0EEENS1_30default_config_static_selectorELNS0_4arch9wavefront6targetE1EEEvSP_ ; -- Begin function _ZN7rocprim17ROCPRIM_400000_NS6detail17trampoline_kernelINS0_14default_configENS1_21merge_config_selectorIyNS0_10empty_typeEEEZNS1_10merge_implIS3_N6thrust23THRUST_200600_302600_NS6detail15normal_iteratorINS9_10device_ptrIKyEEEESF_NSB_INSC_IyEEEEPS5_SI_SI_NS9_4lessIyEEEE10hipError_tPvRmT0_T1_T2_T3_T4_T5_mmT6_P12ihipStream_tbEUlT_E0_NS1_11comp_targetILNS1_3genE4ELNS1_11target_archE910ELNS1_3gpuE8ELNS1_3repE0EEENS1_30default_config_static_selectorELNS0_4arch9wavefront6targetE1EEEvSP_
	.globl	_ZN7rocprim17ROCPRIM_400000_NS6detail17trampoline_kernelINS0_14default_configENS1_21merge_config_selectorIyNS0_10empty_typeEEEZNS1_10merge_implIS3_N6thrust23THRUST_200600_302600_NS6detail15normal_iteratorINS9_10device_ptrIKyEEEESF_NSB_INSC_IyEEEEPS5_SI_SI_NS9_4lessIyEEEE10hipError_tPvRmT0_T1_T2_T3_T4_T5_mmT6_P12ihipStream_tbEUlT_E0_NS1_11comp_targetILNS1_3genE4ELNS1_11target_archE910ELNS1_3gpuE8ELNS1_3repE0EEENS1_30default_config_static_selectorELNS0_4arch9wavefront6targetE1EEEvSP_
	.p2align	8
	.type	_ZN7rocprim17ROCPRIM_400000_NS6detail17trampoline_kernelINS0_14default_configENS1_21merge_config_selectorIyNS0_10empty_typeEEEZNS1_10merge_implIS3_N6thrust23THRUST_200600_302600_NS6detail15normal_iteratorINS9_10device_ptrIKyEEEESF_NSB_INSC_IyEEEEPS5_SI_SI_NS9_4lessIyEEEE10hipError_tPvRmT0_T1_T2_T3_T4_T5_mmT6_P12ihipStream_tbEUlT_E0_NS1_11comp_targetILNS1_3genE4ELNS1_11target_archE910ELNS1_3gpuE8ELNS1_3repE0EEENS1_30default_config_static_selectorELNS0_4arch9wavefront6targetE1EEEvSP_,@function
_ZN7rocprim17ROCPRIM_400000_NS6detail17trampoline_kernelINS0_14default_configENS1_21merge_config_selectorIyNS0_10empty_typeEEEZNS1_10merge_implIS3_N6thrust23THRUST_200600_302600_NS6detail15normal_iteratorINS9_10device_ptrIKyEEEESF_NSB_INSC_IyEEEEPS5_SI_SI_NS9_4lessIyEEEE10hipError_tPvRmT0_T1_T2_T3_T4_T5_mmT6_P12ihipStream_tbEUlT_E0_NS1_11comp_targetILNS1_3genE4ELNS1_11target_archE910ELNS1_3gpuE8ELNS1_3repE0EEENS1_30default_config_static_selectorELNS0_4arch9wavefront6targetE1EEEvSP_: ; @_ZN7rocprim17ROCPRIM_400000_NS6detail17trampoline_kernelINS0_14default_configENS1_21merge_config_selectorIyNS0_10empty_typeEEEZNS1_10merge_implIS3_N6thrust23THRUST_200600_302600_NS6detail15normal_iteratorINS9_10device_ptrIKyEEEESF_NSB_INSC_IyEEEEPS5_SI_SI_NS9_4lessIyEEEE10hipError_tPvRmT0_T1_T2_T3_T4_T5_mmT6_P12ihipStream_tbEUlT_E0_NS1_11comp_targetILNS1_3genE4ELNS1_11target_archE910ELNS1_3gpuE8ELNS1_3repE0EEENS1_30default_config_static_selectorELNS0_4arch9wavefront6targetE1EEEvSP_
; %bb.0:
	s_load_dwordx4 s[0:3], s[4:5], 0x40
	s_load_dwordx8 s[8:15], s[4:5], 0x8
	s_lshl_b32 s16, s6, 10
	s_mov_b32 s7, 0
	s_waitcnt lgkmcnt(0)
	s_mov_b32 s3, s7
	s_add_i32 s17, s2, s0
	s_add_i32 s0, s17, 0x3ff
	s_lshr_b32 s0, s0, 10
	s_min_u32 s1, s6, s0
	s_lshl_b32 s1, s1, 2
	s_add_i32 s6, s6, 1
	s_min_u32 s0, s6, s0
	s_load_dword s6, s[8:9], s1 offset:0x0
	s_lshl_b32 s0, s0, 2
	s_load_dword s8, s[8:9], s0 offset:0x0
	s_add_i32 s0, s16, 0x400
	s_min_u32 s9, s17, s0
	s_waitcnt lgkmcnt(0)
	s_sub_i32 s2, s16, s6
	s_lshl_b64 s[0:1], s[6:7], 3
	s_add_u32 s0, s10, s0
	s_addc_u32 s1, s11, s1
	s_lshl_b64 s[4:5], s[2:3], 3
	s_add_u32 s11, s12, s4
	s_addc_u32 s12, s13, s5
	s_add_i32 s2, s2, s8
	s_sub_i32 s6, s8, s6
	s_sub_i32 s10, s9, s2
	s_add_u32 s2, s10, s6
	s_addc_u32 s3, 0, 0
	v_mov_b32_e32 v1, 0
	v_cmp_le_u32_e32 vcc, s6, v0
	s_and_saveexec_b64 s[4:5], vcc
	s_xor_b64 s[4:5], exec, s[4:5]
	s_cbranch_execz .LBB107_4
; %bb.1:
	v_cmp_gt_u64_e32 vcc, s[2:3], v[0:1]
	s_and_saveexec_b64 s[8:9], vcc
	s_cbranch_execz .LBB107_3
; %bb.2:
	v_mov_b32_e32 v1, s7
	v_subrev_co_u32_e32 v2, vcc, s6, v0
	v_subb_co_u32_e32 v3, vcc, 0, v1, vcc
	v_lshlrev_b64 v[2:3], 3, v[2:3]
	v_mov_b32_e32 v1, s12
	v_add_co_u32_e32 v2, vcc, s11, v2
	v_addc_co_u32_e32 v3, vcc, v1, v3, vcc
	global_load_dwordx2 v[2:3], v[2:3], off
	v_lshlrev_b32_e32 v1, 3, v0
	s_waitcnt vmcnt(0)
	ds_write_b64 v1, v[2:3]
.LBB107_3:
	s_or_b64 exec, exec, s[8:9]
.LBB107_4:
	s_or_saveexec_b64 s[4:5], s[4:5]
	v_lshlrev_b32_e32 v1, 3, v0
	s_xor_b64 exec, exec, s[4:5]
	s_cbranch_execz .LBB107_6
; %bb.5:
	global_load_dwordx2 v[2:3], v1, s[0:1]
	s_waitcnt vmcnt(0)
	ds_write_b64 v1, v[2:3]
.LBB107_6:
	s_or_b64 exec, exec, s[4:5]
	v_or_b32_e32 v10, 0x100, v0
	v_mov_b32_e32 v11, 0
	v_cmp_le_u32_e32 vcc, s6, v10
	s_and_saveexec_b64 s[4:5], vcc
	s_xor_b64 s[4:5], exec, s[4:5]
	s_cbranch_execz .LBB107_10
; %bb.7:
	v_cmp_gt_u64_e32 vcc, s[2:3], v[10:11]
	s_and_saveexec_b64 s[8:9], vcc
	s_cbranch_execz .LBB107_9
; %bb.8:
	v_mov_b32_e32 v3, s7
	v_subrev_co_u32_e32 v2, vcc, s6, v0
	v_subb_co_u32_e32 v3, vcc, 0, v3, vcc
	v_lshlrev_b64 v[2:3], 3, v[2:3]
	v_mov_b32_e32 v4, s12
	v_add_co_u32_e32 v2, vcc, s11, v2
	v_addc_co_u32_e32 v3, vcc, v4, v3, vcc
	global_load_dwordx2 v[2:3], v[2:3], off offset:2048
	s_waitcnt vmcnt(0)
	ds_write_b64 v1, v[2:3] offset:2048
.LBB107_9:
	s_or_b64 exec, exec, s[8:9]
.LBB107_10:
	s_andn2_saveexec_b64 s[4:5], s[4:5]
	s_cbranch_execz .LBB107_12
; %bb.11:
	global_load_dwordx2 v[2:3], v1, s[0:1] offset:2048
	s_waitcnt vmcnt(0)
	ds_write_b64 v1, v[2:3] offset:2048
.LBB107_12:
	s_or_b64 exec, exec, s[4:5]
	v_or_b32_e32 v12, 0x200, v0
	v_mov_b32_e32 v13, 0
	v_cmp_le_u32_e32 vcc, s6, v12
	s_and_saveexec_b64 s[4:5], vcc
	s_xor_b64 s[4:5], exec, s[4:5]
	s_cbranch_execz .LBB107_16
; %bb.13:
	v_cmp_gt_u64_e32 vcc, s[2:3], v[12:13]
	s_and_saveexec_b64 s[8:9], vcc
	s_cbranch_execz .LBB107_15
; %bb.14:
	v_mov_b32_e32 v3, s7
	v_subrev_co_u32_e32 v2, vcc, s6, v12
	v_subb_co_u32_e32 v3, vcc, 0, v3, vcc
	v_lshlrev_b64 v[2:3], 3, v[2:3]
	v_mov_b32_e32 v4, s12
	v_add_co_u32_e32 v2, vcc, s11, v2
	v_addc_co_u32_e32 v3, vcc, v4, v3, vcc
	global_load_dwordx2 v[2:3], v[2:3], off
	s_waitcnt vmcnt(0)
	ds_write_b64 v1, v[2:3] offset:4096
.LBB107_15:
	s_or_b64 exec, exec, s[8:9]
.LBB107_16:
	s_andn2_saveexec_b64 s[4:5], s[4:5]
	s_cbranch_execz .LBB107_18
; %bb.17:
	v_lshlrev_b32_e32 v2, 3, v12
	global_load_dwordx2 v[2:3], v2, s[0:1]
	s_waitcnt vmcnt(0)
	ds_write_b64 v1, v[2:3] offset:4096
.LBB107_18:
	s_or_b64 exec, exec, s[4:5]
	v_or_b32_e32 v14, 0x300, v0
	v_mov_b32_e32 v15, 0
	v_cmp_le_u32_e32 vcc, s6, v14
	s_and_saveexec_b64 s[4:5], vcc
	s_xor_b64 s[4:5], exec, s[4:5]
	s_cbranch_execz .LBB107_22
; %bb.19:
	v_cmp_gt_u64_e32 vcc, s[2:3], v[14:15]
	s_and_saveexec_b64 s[2:3], vcc
	s_cbranch_execz .LBB107_21
; %bb.20:
	v_mov_b32_e32 v3, s7
	v_subrev_co_u32_e32 v2, vcc, s6, v14
	v_subb_co_u32_e32 v3, vcc, 0, v3, vcc
	v_lshlrev_b64 v[2:3], 3, v[2:3]
	v_mov_b32_e32 v4, s12
	v_add_co_u32_e32 v2, vcc, s11, v2
	v_addc_co_u32_e32 v3, vcc, v4, v3, vcc
	global_load_dwordx2 v[2:3], v[2:3], off
	s_waitcnt vmcnt(0)
	ds_write_b64 v1, v[2:3] offset:6144
.LBB107_21:
	s_or_b64 exec, exec, s[2:3]
.LBB107_22:
	s_andn2_saveexec_b64 s[2:3], s[4:5]
	s_cbranch_execz .LBB107_24
; %bb.23:
	v_lshlrev_b32_e32 v2, 3, v14
	global_load_dwordx2 v[2:3], v2, s[0:1]
	s_waitcnt vmcnt(0)
	ds_write_b64 v1, v[2:3] offset:6144
.LBB107_24:
	s_or_b64 exec, exec, s[2:3]
	v_lshlrev_b32_e32 v11, 2, v0
	v_sub_u32_e64 v13, v11, s10 clamp
	v_min_u32_e32 v2, s6, v11
	v_cmp_lt_u32_e32 vcc, v13, v2
	s_waitcnt lgkmcnt(0)
	s_barrier
	s_and_saveexec_b64 s[0:1], vcc
	s_cbranch_execz .LBB107_28
; %bb.25:
	v_lshlrev_b32_e32 v3, 3, v11
	v_lshl_add_u32 v3, s6, 3, v3
	s_mov_b64 s[2:3], 0
.LBB107_26:                             ; =>This Inner Loop Header: Depth=1
	v_add_u32_e32 v4, v2, v13
	v_lshrrev_b32_e32 v8, 1, v4
	v_not_b32_e32 v4, v8
	v_lshlrev_b32_e32 v5, 3, v8
	v_lshl_add_u32 v6, v4, 3, v3
	ds_read_b64 v[4:5], v5
	ds_read_b64 v[6:7], v6
	v_add_u32_e32 v9, 1, v8
	s_waitcnt lgkmcnt(0)
	v_cmp_lt_u64_e32 vcc, v[6:7], v[4:5]
	v_cndmask_b32_e32 v2, v2, v8, vcc
	v_cndmask_b32_e32 v13, v9, v13, vcc
	v_cmp_ge_u32_e32 vcc, v13, v2
	s_or_b64 s[2:3], vcc, s[2:3]
	s_andn2_b64 exec, exec, s[2:3]
	s_cbranch_execnz .LBB107_26
; %bb.27:
	s_or_b64 exec, exec, s[2:3]
.LBB107_28:
	s_or_b64 exec, exec, s[0:1]
	v_add_u32_e32 v2, s6, v11
	s_add_i32 s7, s10, s6
	v_sub_u32_e32 v15, v2, v13
	v_cmp_ge_u32_e32 vcc, s6, v13
	v_cmp_ge_u32_e64 s[0:1], s7, v15
	s_or_b64 s[0:1], vcc, s[0:1]
                                        ; implicit-def: $vgpr18_vgpr19
                                        ; implicit-def: $vgpr16_vgpr17
	s_and_saveexec_b64 s[8:9], s[0:1]
                                        ; implicit-def: $vgpr6_vgpr7_vgpr8_vgpr9
                                        ; implicit-def: $vgpr2_vgpr3_vgpr4_vgpr5
	s_cbranch_execz .LBB107_34
; %bb.29:
	v_cmp_gt_u32_e32 vcc, s6, v13
                                        ; implicit-def: $vgpr2_vgpr3
	s_and_saveexec_b64 s[0:1], vcc
	s_cbranch_execz .LBB107_31
; %bb.30:
	v_lshlrev_b32_e32 v2, 3, v13
	ds_read_b64 v[2:3], v2
.LBB107_31:
	s_or_b64 exec, exec, s[0:1]
	v_cmp_le_u32_e64 s[0:1], s7, v15
	v_cmp_gt_u32_e64 s[2:3], s7, v15
                                        ; implicit-def: $vgpr4_vgpr5
	s_and_saveexec_b64 s[4:5], s[2:3]
	s_cbranch_execz .LBB107_33
; %bb.32:
	v_lshlrev_b32_e32 v4, 3, v15
	ds_read_b64 v[4:5], v4
.LBB107_33:
	s_or_b64 exec, exec, s[4:5]
	s_waitcnt lgkmcnt(0)
	v_cmp_ge_u64_e64 s[2:3], v[4:5], v[2:3]
	s_and_b64 s[2:3], vcc, s[2:3]
	s_or_b64 vcc, s[0:1], s[2:3]
	v_mov_b32_e32 v20, s7
	v_mov_b32_e32 v21, s6
	v_cndmask_b32_e32 v6, v15, v13, vcc
	v_cndmask_b32_e32 v7, v20, v21, vcc
	v_add_u32_e32 v16, 1, v6
	v_add_u32_e32 v6, -1, v7
	v_min_u32_e32 v6, v16, v6
	v_lshlrev_b32_e32 v6, 3, v6
	ds_read_b64 v[6:7], v6
	v_cndmask_b32_e32 v13, v13, v16, vcc
	v_cndmask_b32_e32 v15, v16, v15, vcc
	v_cmp_gt_u32_e64 s[2:3], s6, v13
	v_cmp_le_u32_e64 s[0:1], s7, v15
	s_waitcnt lgkmcnt(0)
	v_cndmask_b32_e32 v9, v7, v5, vcc
	v_cndmask_b32_e32 v8, v6, v4, vcc
	;; [unrolled: 1-line block ×4, first 2 shown]
	v_cmp_ge_u64_e64 s[4:5], v[8:9], v[6:7]
	s_and_b64 s[2:3], s[2:3], s[4:5]
	s_or_b64 s[0:1], s[0:1], s[2:3]
	v_cndmask_b32_e64 v16, v15, v13, s[0:1]
	v_cndmask_b32_e64 v17, v20, v21, s[0:1]
	v_add_u32_e32 v22, 1, v16
	v_add_u32_e32 v16, -1, v17
	v_min_u32_e32 v16, v22, v16
	v_lshlrev_b32_e32 v16, 3, v16
	ds_read_b64 v[16:17], v16
	v_cndmask_b32_e32 v3, v5, v3, vcc
	v_cndmask_b32_e32 v2, v4, v2, vcc
	v_cndmask_b32_e64 v13, v13, v22, s[0:1]
	v_cndmask_b32_e64 v15, v22, v15, s[0:1]
	s_waitcnt lgkmcnt(0)
	v_cndmask_b32_e64 v5, v17, v9, s[0:1]
	v_cndmask_b32_e64 v4, v16, v8, s[0:1]
	;; [unrolled: 1-line block ×4, first 2 shown]
	v_cmp_gt_u32_e64 s[2:3], s6, v13
	v_cmp_ge_u64_e64 s[4:5], v[4:5], v[18:19]
	v_cmp_le_u32_e32 vcc, s7, v15
	s_and_b64 s[2:3], s[2:3], s[4:5]
	s_or_b64 vcc, vcc, s[2:3]
	v_cndmask_b32_e32 v16, v15, v13, vcc
	v_cndmask_b32_e32 v17, v20, v21, vcc
	v_add_u32_e32 v22, 1, v16
	v_add_u32_e32 v16, -1, v17
	v_min_u32_e32 v16, v22, v16
	v_lshlrev_b32_e32 v16, 3, v16
	ds_read_b64 v[20:21], v16
	v_cndmask_b32_e64 v17, v9, v7, s[0:1]
	v_cndmask_b32_e64 v16, v8, v6, s[0:1]
	v_cndmask_b32_e32 v7, v5, v19, vcc
	v_cndmask_b32_e32 v6, v4, v18, vcc
	s_waitcnt lgkmcnt(0)
	v_cndmask_b32_e32 v5, v21, v5, vcc
	v_cndmask_b32_e32 v4, v20, v4, vcc
	;; [unrolled: 1-line block ×6, first 2 shown]
	v_cmp_gt_u32_e64 s[0:1], s6, v13
	v_cmp_ge_u64_e64 s[2:3], v[4:5], v[8:9]
	v_cmp_le_u32_e32 vcc, s7, v15
	s_and_b64 s[0:1], s[0:1], s[2:3]
	s_or_b64 vcc, vcc, s[0:1]
	v_cndmask_b32_e32 v19, v5, v9, vcc
	v_cndmask_b32_e32 v18, v4, v8, vcc
.LBB107_34:
	s_or_b64 exec, exec, s[8:9]
	s_sub_i32 s6, s17, s16
	s_mov_b32 s17, 0
	s_lshl_b64 s[0:1], s[16:17], 3
	s_add_u32 s0, s14, s0
	v_and_b32_e32 v4, 0xf8, v0
	s_addc_u32 s1, s15, s1
	v_lshl_add_u32 v4, v11, 3, v4
	s_cmpk_gt_u32 s6, 0x3ff
	s_barrier
	ds_write2_b64 v4, v[2:3], v[16:17] offset1:1
	ds_write2_b64 v4, v[6:7], v[18:19] offset0:2 offset1:3
	v_lshrrev_b32_e32 v6, 5, v10
	v_lshrrev_b32_e32 v5, 5, v12
	;; [unrolled: 1-line block ×3, first 2 shown]
	s_waitcnt lgkmcnt(0)
	s_cbranch_scc0 .LBB107_36
; %bb.35:
	v_lshrrev_b32_e32 v2, 5, v0
	v_add_lshl_u32 v2, v2, v0, 3
	v_add_lshl_u32 v3, v6, v0, 3
	s_barrier
	v_add_lshl_u32 v7, v5, v0, 3
	v_add_lshl_u32 v11, v4, v0, 3
	ds_read_b64 v[8:9], v2
	ds_read_b64 v[16:17], v3 offset:2048
	ds_read_b64 v[18:19], v7 offset:4096
	;; [unrolled: 1-line block ×3, first 2 shown]
	v_mov_b32_e32 v7, s1
	v_add_co_u32_e32 v11, vcc, s0, v1
	v_addc_co_u32_e32 v7, vcc, 0, v7, vcc
	s_waitcnt lgkmcnt(3)
	global_store_dwordx2 v1, v[8:9], s[0:1]
	s_waitcnt lgkmcnt(2)
	global_store_dwordx2 v1, v[16:17], s[0:1] offset:2048
	v_add_co_u32_e32 v8, vcc, 0x1000, v11
	v_addc_co_u32_e32 v9, vcc, 0, v7, vcc
	s_waitcnt lgkmcnt(1)
	global_store_dwordx2 v[8:9], v[18:19], off
	s_mov_b64 s[2:3], -1
	s_cbranch_execz .LBB107_37
	s_branch .LBB107_42
.LBB107_36:
	s_mov_b64 s[2:3], 0
                                        ; implicit-def: $vgpr2_vgpr3
.LBB107_37:
	s_waitcnt lgkmcnt(0)
	v_add_lshl_u32 v2, v6, v0, 3
	v_add_lshl_u32 v3, v5, v0, 3
	s_barrier
	v_add_lshl_u32 v6, v4, v0, 3
	ds_read_b64 v[8:9], v2 offset:2048
	ds_read_b64 v[4:5], v3 offset:4096
	;; [unrolled: 1-line block ×3, first 2 shown]
	v_mov_b32_e32 v7, s1
	v_add_co_u32_e32 v6, vcc, s0, v1
	v_addc_co_u32_e32 v7, vcc, 0, v7, vcc
	v_cmp_gt_u32_e32 vcc, s6, v0
	s_and_saveexec_b64 s[2:3], vcc
	s_cbranch_execnz .LBB107_45
; %bb.38:
	s_or_b64 exec, exec, s[2:3]
	v_cmp_gt_u32_e32 vcc, s6, v10
	s_and_saveexec_b64 s[2:3], vcc
	s_cbranch_execnz .LBB107_46
.LBB107_39:
	s_or_b64 exec, exec, s[2:3]
	v_cmp_gt_u32_e32 vcc, s6, v12
	s_and_saveexec_b64 s[2:3], vcc
	s_cbranch_execz .LBB107_41
.LBB107_40:
	v_add_co_u32_e32 v6, vcc, 0x1000, v6
	v_addc_co_u32_e32 v7, vcc, 0, v7, vcc
	s_waitcnt lgkmcnt(1)
	global_store_dwordx2 v[6:7], v[4:5], off
.LBB107_41:
	s_or_b64 exec, exec, s[2:3]
	v_cmp_gt_u32_e64 s[2:3], s6, v14
.LBB107_42:
	s_and_saveexec_b64 s[4:5], s[2:3]
	s_cbranch_execnz .LBB107_44
; %bb.43:
	s_endpgm
.LBB107_44:
	v_mov_b32_e32 v0, s1
	v_add_co_u32_e32 v1, vcc, s0, v1
	s_waitcnt lgkmcnt(1)
	v_addc_co_u32_e32 v4, vcc, 0, v0, vcc
	v_add_co_u32_e32 v0, vcc, 0x1000, v1
	v_addc_co_u32_e32 v1, vcc, 0, v4, vcc
	s_waitcnt lgkmcnt(0)
	global_store_dwordx2 v[0:1], v[2:3], off offset:2048
	s_endpgm
.LBB107_45:
	v_lshrrev_b32_e32 v11, 5, v0
	v_add_lshl_u32 v0, v11, v0, 3
	ds_read_b64 v[16:17], v0
	s_waitcnt lgkmcnt(0)
	global_store_dwordx2 v[6:7], v[16:17], off
	s_or_b64 exec, exec, s[2:3]
	v_cmp_gt_u32_e32 vcc, s6, v10
	s_and_saveexec_b64 s[2:3], vcc
	s_cbranch_execz .LBB107_39
.LBB107_46:
	s_waitcnt lgkmcnt(2)
	global_store_dwordx2 v[6:7], v[8:9], off offset:2048
	s_or_b64 exec, exec, s[2:3]
	v_cmp_gt_u32_e32 vcc, s6, v12
	s_and_saveexec_b64 s[2:3], vcc
	s_cbranch_execnz .LBB107_40
	s_branch .LBB107_41
	.section	.rodata,"a",@progbits
	.p2align	6, 0x0
	.amdhsa_kernel _ZN7rocprim17ROCPRIM_400000_NS6detail17trampoline_kernelINS0_14default_configENS1_21merge_config_selectorIyNS0_10empty_typeEEEZNS1_10merge_implIS3_N6thrust23THRUST_200600_302600_NS6detail15normal_iteratorINS9_10device_ptrIKyEEEESF_NSB_INSC_IyEEEEPS5_SI_SI_NS9_4lessIyEEEE10hipError_tPvRmT0_T1_T2_T3_T4_T5_mmT6_P12ihipStream_tbEUlT_E0_NS1_11comp_targetILNS1_3genE4ELNS1_11target_archE910ELNS1_3gpuE8ELNS1_3repE0EEENS1_30default_config_static_selectorELNS0_4arch9wavefront6targetE1EEEvSP_
		.amdhsa_group_segment_fixed_size 8448
		.amdhsa_private_segment_fixed_size 0
		.amdhsa_kernarg_size 88
		.amdhsa_user_sgpr_count 6
		.amdhsa_user_sgpr_private_segment_buffer 1
		.amdhsa_user_sgpr_dispatch_ptr 0
		.amdhsa_user_sgpr_queue_ptr 0
		.amdhsa_user_sgpr_kernarg_segment_ptr 1
		.amdhsa_user_sgpr_dispatch_id 0
		.amdhsa_user_sgpr_flat_scratch_init 0
		.amdhsa_user_sgpr_kernarg_preload_length 0
		.amdhsa_user_sgpr_kernarg_preload_offset 0
		.amdhsa_user_sgpr_private_segment_size 0
		.amdhsa_uses_dynamic_stack 0
		.amdhsa_system_sgpr_private_segment_wavefront_offset 0
		.amdhsa_system_sgpr_workgroup_id_x 1
		.amdhsa_system_sgpr_workgroup_id_y 0
		.amdhsa_system_sgpr_workgroup_id_z 0
		.amdhsa_system_sgpr_workgroup_info 0
		.amdhsa_system_vgpr_workitem_id 0
		.amdhsa_next_free_vgpr 23
		.amdhsa_next_free_sgpr 18
		.amdhsa_accum_offset 24
		.amdhsa_reserve_vcc 1
		.amdhsa_reserve_flat_scratch 0
		.amdhsa_float_round_mode_32 0
		.amdhsa_float_round_mode_16_64 0
		.amdhsa_float_denorm_mode_32 3
		.amdhsa_float_denorm_mode_16_64 3
		.amdhsa_dx10_clamp 1
		.amdhsa_ieee_mode 1
		.amdhsa_fp16_overflow 0
		.amdhsa_tg_split 0
		.amdhsa_exception_fp_ieee_invalid_op 0
		.amdhsa_exception_fp_denorm_src 0
		.amdhsa_exception_fp_ieee_div_zero 0
		.amdhsa_exception_fp_ieee_overflow 0
		.amdhsa_exception_fp_ieee_underflow 0
		.amdhsa_exception_fp_ieee_inexact 0
		.amdhsa_exception_int_div_zero 0
	.end_amdhsa_kernel
	.section	.text._ZN7rocprim17ROCPRIM_400000_NS6detail17trampoline_kernelINS0_14default_configENS1_21merge_config_selectorIyNS0_10empty_typeEEEZNS1_10merge_implIS3_N6thrust23THRUST_200600_302600_NS6detail15normal_iteratorINS9_10device_ptrIKyEEEESF_NSB_INSC_IyEEEEPS5_SI_SI_NS9_4lessIyEEEE10hipError_tPvRmT0_T1_T2_T3_T4_T5_mmT6_P12ihipStream_tbEUlT_E0_NS1_11comp_targetILNS1_3genE4ELNS1_11target_archE910ELNS1_3gpuE8ELNS1_3repE0EEENS1_30default_config_static_selectorELNS0_4arch9wavefront6targetE1EEEvSP_,"axG",@progbits,_ZN7rocprim17ROCPRIM_400000_NS6detail17trampoline_kernelINS0_14default_configENS1_21merge_config_selectorIyNS0_10empty_typeEEEZNS1_10merge_implIS3_N6thrust23THRUST_200600_302600_NS6detail15normal_iteratorINS9_10device_ptrIKyEEEESF_NSB_INSC_IyEEEEPS5_SI_SI_NS9_4lessIyEEEE10hipError_tPvRmT0_T1_T2_T3_T4_T5_mmT6_P12ihipStream_tbEUlT_E0_NS1_11comp_targetILNS1_3genE4ELNS1_11target_archE910ELNS1_3gpuE8ELNS1_3repE0EEENS1_30default_config_static_selectorELNS0_4arch9wavefront6targetE1EEEvSP_,comdat
.Lfunc_end107:
	.size	_ZN7rocprim17ROCPRIM_400000_NS6detail17trampoline_kernelINS0_14default_configENS1_21merge_config_selectorIyNS0_10empty_typeEEEZNS1_10merge_implIS3_N6thrust23THRUST_200600_302600_NS6detail15normal_iteratorINS9_10device_ptrIKyEEEESF_NSB_INSC_IyEEEEPS5_SI_SI_NS9_4lessIyEEEE10hipError_tPvRmT0_T1_T2_T3_T4_T5_mmT6_P12ihipStream_tbEUlT_E0_NS1_11comp_targetILNS1_3genE4ELNS1_11target_archE910ELNS1_3gpuE8ELNS1_3repE0EEENS1_30default_config_static_selectorELNS0_4arch9wavefront6targetE1EEEvSP_, .Lfunc_end107-_ZN7rocprim17ROCPRIM_400000_NS6detail17trampoline_kernelINS0_14default_configENS1_21merge_config_selectorIyNS0_10empty_typeEEEZNS1_10merge_implIS3_N6thrust23THRUST_200600_302600_NS6detail15normal_iteratorINS9_10device_ptrIKyEEEESF_NSB_INSC_IyEEEEPS5_SI_SI_NS9_4lessIyEEEE10hipError_tPvRmT0_T1_T2_T3_T4_T5_mmT6_P12ihipStream_tbEUlT_E0_NS1_11comp_targetILNS1_3genE4ELNS1_11target_archE910ELNS1_3gpuE8ELNS1_3repE0EEENS1_30default_config_static_selectorELNS0_4arch9wavefront6targetE1EEEvSP_
                                        ; -- End function
	.section	.AMDGPU.csdata,"",@progbits
; Kernel info:
; codeLenInByte = 1796
; NumSgprs: 22
; NumVgprs: 23
; NumAgprs: 0
; TotalNumVgprs: 23
; ScratchSize: 0
; MemoryBound: 0
; FloatMode: 240
; IeeeMode: 1
; LDSByteSize: 8448 bytes/workgroup (compile time only)
; SGPRBlocks: 2
; VGPRBlocks: 2
; NumSGPRsForWavesPerEU: 22
; NumVGPRsForWavesPerEU: 23
; AccumOffset: 24
; Occupancy: 7
; WaveLimiterHint : 1
; COMPUTE_PGM_RSRC2:SCRATCH_EN: 0
; COMPUTE_PGM_RSRC2:USER_SGPR: 6
; COMPUTE_PGM_RSRC2:TRAP_HANDLER: 0
; COMPUTE_PGM_RSRC2:TGID_X_EN: 1
; COMPUTE_PGM_RSRC2:TGID_Y_EN: 0
; COMPUTE_PGM_RSRC2:TGID_Z_EN: 0
; COMPUTE_PGM_RSRC2:TIDIG_COMP_CNT: 0
; COMPUTE_PGM_RSRC3_GFX90A:ACCUM_OFFSET: 5
; COMPUTE_PGM_RSRC3_GFX90A:TG_SPLIT: 0
	.section	.text._ZN7rocprim17ROCPRIM_400000_NS6detail17trampoline_kernelINS0_14default_configENS1_21merge_config_selectorIyNS0_10empty_typeEEEZNS1_10merge_implIS3_N6thrust23THRUST_200600_302600_NS6detail15normal_iteratorINS9_10device_ptrIKyEEEESF_NSB_INSC_IyEEEEPS5_SI_SI_NS9_4lessIyEEEE10hipError_tPvRmT0_T1_T2_T3_T4_T5_mmT6_P12ihipStream_tbEUlT_E0_NS1_11comp_targetILNS1_3genE3ELNS1_11target_archE908ELNS1_3gpuE7ELNS1_3repE0EEENS1_30default_config_static_selectorELNS0_4arch9wavefront6targetE1EEEvSP_,"axG",@progbits,_ZN7rocprim17ROCPRIM_400000_NS6detail17trampoline_kernelINS0_14default_configENS1_21merge_config_selectorIyNS0_10empty_typeEEEZNS1_10merge_implIS3_N6thrust23THRUST_200600_302600_NS6detail15normal_iteratorINS9_10device_ptrIKyEEEESF_NSB_INSC_IyEEEEPS5_SI_SI_NS9_4lessIyEEEE10hipError_tPvRmT0_T1_T2_T3_T4_T5_mmT6_P12ihipStream_tbEUlT_E0_NS1_11comp_targetILNS1_3genE3ELNS1_11target_archE908ELNS1_3gpuE7ELNS1_3repE0EEENS1_30default_config_static_selectorELNS0_4arch9wavefront6targetE1EEEvSP_,comdat
	.protected	_ZN7rocprim17ROCPRIM_400000_NS6detail17trampoline_kernelINS0_14default_configENS1_21merge_config_selectorIyNS0_10empty_typeEEEZNS1_10merge_implIS3_N6thrust23THRUST_200600_302600_NS6detail15normal_iteratorINS9_10device_ptrIKyEEEESF_NSB_INSC_IyEEEEPS5_SI_SI_NS9_4lessIyEEEE10hipError_tPvRmT0_T1_T2_T3_T4_T5_mmT6_P12ihipStream_tbEUlT_E0_NS1_11comp_targetILNS1_3genE3ELNS1_11target_archE908ELNS1_3gpuE7ELNS1_3repE0EEENS1_30default_config_static_selectorELNS0_4arch9wavefront6targetE1EEEvSP_ ; -- Begin function _ZN7rocprim17ROCPRIM_400000_NS6detail17trampoline_kernelINS0_14default_configENS1_21merge_config_selectorIyNS0_10empty_typeEEEZNS1_10merge_implIS3_N6thrust23THRUST_200600_302600_NS6detail15normal_iteratorINS9_10device_ptrIKyEEEESF_NSB_INSC_IyEEEEPS5_SI_SI_NS9_4lessIyEEEE10hipError_tPvRmT0_T1_T2_T3_T4_T5_mmT6_P12ihipStream_tbEUlT_E0_NS1_11comp_targetILNS1_3genE3ELNS1_11target_archE908ELNS1_3gpuE7ELNS1_3repE0EEENS1_30default_config_static_selectorELNS0_4arch9wavefront6targetE1EEEvSP_
	.globl	_ZN7rocprim17ROCPRIM_400000_NS6detail17trampoline_kernelINS0_14default_configENS1_21merge_config_selectorIyNS0_10empty_typeEEEZNS1_10merge_implIS3_N6thrust23THRUST_200600_302600_NS6detail15normal_iteratorINS9_10device_ptrIKyEEEESF_NSB_INSC_IyEEEEPS5_SI_SI_NS9_4lessIyEEEE10hipError_tPvRmT0_T1_T2_T3_T4_T5_mmT6_P12ihipStream_tbEUlT_E0_NS1_11comp_targetILNS1_3genE3ELNS1_11target_archE908ELNS1_3gpuE7ELNS1_3repE0EEENS1_30default_config_static_selectorELNS0_4arch9wavefront6targetE1EEEvSP_
	.p2align	8
	.type	_ZN7rocprim17ROCPRIM_400000_NS6detail17trampoline_kernelINS0_14default_configENS1_21merge_config_selectorIyNS0_10empty_typeEEEZNS1_10merge_implIS3_N6thrust23THRUST_200600_302600_NS6detail15normal_iteratorINS9_10device_ptrIKyEEEESF_NSB_INSC_IyEEEEPS5_SI_SI_NS9_4lessIyEEEE10hipError_tPvRmT0_T1_T2_T3_T4_T5_mmT6_P12ihipStream_tbEUlT_E0_NS1_11comp_targetILNS1_3genE3ELNS1_11target_archE908ELNS1_3gpuE7ELNS1_3repE0EEENS1_30default_config_static_selectorELNS0_4arch9wavefront6targetE1EEEvSP_,@function
_ZN7rocprim17ROCPRIM_400000_NS6detail17trampoline_kernelINS0_14default_configENS1_21merge_config_selectorIyNS0_10empty_typeEEEZNS1_10merge_implIS3_N6thrust23THRUST_200600_302600_NS6detail15normal_iteratorINS9_10device_ptrIKyEEEESF_NSB_INSC_IyEEEEPS5_SI_SI_NS9_4lessIyEEEE10hipError_tPvRmT0_T1_T2_T3_T4_T5_mmT6_P12ihipStream_tbEUlT_E0_NS1_11comp_targetILNS1_3genE3ELNS1_11target_archE908ELNS1_3gpuE7ELNS1_3repE0EEENS1_30default_config_static_selectorELNS0_4arch9wavefront6targetE1EEEvSP_: ; @_ZN7rocprim17ROCPRIM_400000_NS6detail17trampoline_kernelINS0_14default_configENS1_21merge_config_selectorIyNS0_10empty_typeEEEZNS1_10merge_implIS3_N6thrust23THRUST_200600_302600_NS6detail15normal_iteratorINS9_10device_ptrIKyEEEESF_NSB_INSC_IyEEEEPS5_SI_SI_NS9_4lessIyEEEE10hipError_tPvRmT0_T1_T2_T3_T4_T5_mmT6_P12ihipStream_tbEUlT_E0_NS1_11comp_targetILNS1_3genE3ELNS1_11target_archE908ELNS1_3gpuE7ELNS1_3repE0EEENS1_30default_config_static_selectorELNS0_4arch9wavefront6targetE1EEEvSP_
; %bb.0:
	.section	.rodata,"a",@progbits
	.p2align	6, 0x0
	.amdhsa_kernel _ZN7rocprim17ROCPRIM_400000_NS6detail17trampoline_kernelINS0_14default_configENS1_21merge_config_selectorIyNS0_10empty_typeEEEZNS1_10merge_implIS3_N6thrust23THRUST_200600_302600_NS6detail15normal_iteratorINS9_10device_ptrIKyEEEESF_NSB_INSC_IyEEEEPS5_SI_SI_NS9_4lessIyEEEE10hipError_tPvRmT0_T1_T2_T3_T4_T5_mmT6_P12ihipStream_tbEUlT_E0_NS1_11comp_targetILNS1_3genE3ELNS1_11target_archE908ELNS1_3gpuE7ELNS1_3repE0EEENS1_30default_config_static_selectorELNS0_4arch9wavefront6targetE1EEEvSP_
		.amdhsa_group_segment_fixed_size 0
		.amdhsa_private_segment_fixed_size 0
		.amdhsa_kernarg_size 88
		.amdhsa_user_sgpr_count 6
		.amdhsa_user_sgpr_private_segment_buffer 1
		.amdhsa_user_sgpr_dispatch_ptr 0
		.amdhsa_user_sgpr_queue_ptr 0
		.amdhsa_user_sgpr_kernarg_segment_ptr 1
		.amdhsa_user_sgpr_dispatch_id 0
		.amdhsa_user_sgpr_flat_scratch_init 0
		.amdhsa_user_sgpr_kernarg_preload_length 0
		.amdhsa_user_sgpr_kernarg_preload_offset 0
		.amdhsa_user_sgpr_private_segment_size 0
		.amdhsa_uses_dynamic_stack 0
		.amdhsa_system_sgpr_private_segment_wavefront_offset 0
		.amdhsa_system_sgpr_workgroup_id_x 1
		.amdhsa_system_sgpr_workgroup_id_y 0
		.amdhsa_system_sgpr_workgroup_id_z 0
		.amdhsa_system_sgpr_workgroup_info 0
		.amdhsa_system_vgpr_workitem_id 0
		.amdhsa_next_free_vgpr 1
		.amdhsa_next_free_sgpr 0
		.amdhsa_accum_offset 4
		.amdhsa_reserve_vcc 0
		.amdhsa_reserve_flat_scratch 0
		.amdhsa_float_round_mode_32 0
		.amdhsa_float_round_mode_16_64 0
		.amdhsa_float_denorm_mode_32 3
		.amdhsa_float_denorm_mode_16_64 3
		.amdhsa_dx10_clamp 1
		.amdhsa_ieee_mode 1
		.amdhsa_fp16_overflow 0
		.amdhsa_tg_split 0
		.amdhsa_exception_fp_ieee_invalid_op 0
		.amdhsa_exception_fp_denorm_src 0
		.amdhsa_exception_fp_ieee_div_zero 0
		.amdhsa_exception_fp_ieee_overflow 0
		.amdhsa_exception_fp_ieee_underflow 0
		.amdhsa_exception_fp_ieee_inexact 0
		.amdhsa_exception_int_div_zero 0
	.end_amdhsa_kernel
	.section	.text._ZN7rocprim17ROCPRIM_400000_NS6detail17trampoline_kernelINS0_14default_configENS1_21merge_config_selectorIyNS0_10empty_typeEEEZNS1_10merge_implIS3_N6thrust23THRUST_200600_302600_NS6detail15normal_iteratorINS9_10device_ptrIKyEEEESF_NSB_INSC_IyEEEEPS5_SI_SI_NS9_4lessIyEEEE10hipError_tPvRmT0_T1_T2_T3_T4_T5_mmT6_P12ihipStream_tbEUlT_E0_NS1_11comp_targetILNS1_3genE3ELNS1_11target_archE908ELNS1_3gpuE7ELNS1_3repE0EEENS1_30default_config_static_selectorELNS0_4arch9wavefront6targetE1EEEvSP_,"axG",@progbits,_ZN7rocprim17ROCPRIM_400000_NS6detail17trampoline_kernelINS0_14default_configENS1_21merge_config_selectorIyNS0_10empty_typeEEEZNS1_10merge_implIS3_N6thrust23THRUST_200600_302600_NS6detail15normal_iteratorINS9_10device_ptrIKyEEEESF_NSB_INSC_IyEEEEPS5_SI_SI_NS9_4lessIyEEEE10hipError_tPvRmT0_T1_T2_T3_T4_T5_mmT6_P12ihipStream_tbEUlT_E0_NS1_11comp_targetILNS1_3genE3ELNS1_11target_archE908ELNS1_3gpuE7ELNS1_3repE0EEENS1_30default_config_static_selectorELNS0_4arch9wavefront6targetE1EEEvSP_,comdat
.Lfunc_end108:
	.size	_ZN7rocprim17ROCPRIM_400000_NS6detail17trampoline_kernelINS0_14default_configENS1_21merge_config_selectorIyNS0_10empty_typeEEEZNS1_10merge_implIS3_N6thrust23THRUST_200600_302600_NS6detail15normal_iteratorINS9_10device_ptrIKyEEEESF_NSB_INSC_IyEEEEPS5_SI_SI_NS9_4lessIyEEEE10hipError_tPvRmT0_T1_T2_T3_T4_T5_mmT6_P12ihipStream_tbEUlT_E0_NS1_11comp_targetILNS1_3genE3ELNS1_11target_archE908ELNS1_3gpuE7ELNS1_3repE0EEENS1_30default_config_static_selectorELNS0_4arch9wavefront6targetE1EEEvSP_, .Lfunc_end108-_ZN7rocprim17ROCPRIM_400000_NS6detail17trampoline_kernelINS0_14default_configENS1_21merge_config_selectorIyNS0_10empty_typeEEEZNS1_10merge_implIS3_N6thrust23THRUST_200600_302600_NS6detail15normal_iteratorINS9_10device_ptrIKyEEEESF_NSB_INSC_IyEEEEPS5_SI_SI_NS9_4lessIyEEEE10hipError_tPvRmT0_T1_T2_T3_T4_T5_mmT6_P12ihipStream_tbEUlT_E0_NS1_11comp_targetILNS1_3genE3ELNS1_11target_archE908ELNS1_3gpuE7ELNS1_3repE0EEENS1_30default_config_static_selectorELNS0_4arch9wavefront6targetE1EEEvSP_
                                        ; -- End function
	.section	.AMDGPU.csdata,"",@progbits
; Kernel info:
; codeLenInByte = 0
; NumSgprs: 4
; NumVgprs: 0
; NumAgprs: 0
; TotalNumVgprs: 0
; ScratchSize: 0
; MemoryBound: 0
; FloatMode: 240
; IeeeMode: 1
; LDSByteSize: 0 bytes/workgroup (compile time only)
; SGPRBlocks: 0
; VGPRBlocks: 0
; NumSGPRsForWavesPerEU: 4
; NumVGPRsForWavesPerEU: 1
; AccumOffset: 4
; Occupancy: 8
; WaveLimiterHint : 0
; COMPUTE_PGM_RSRC2:SCRATCH_EN: 0
; COMPUTE_PGM_RSRC2:USER_SGPR: 6
; COMPUTE_PGM_RSRC2:TRAP_HANDLER: 0
; COMPUTE_PGM_RSRC2:TGID_X_EN: 1
; COMPUTE_PGM_RSRC2:TGID_Y_EN: 0
; COMPUTE_PGM_RSRC2:TGID_Z_EN: 0
; COMPUTE_PGM_RSRC2:TIDIG_COMP_CNT: 0
; COMPUTE_PGM_RSRC3_GFX90A:ACCUM_OFFSET: 0
; COMPUTE_PGM_RSRC3_GFX90A:TG_SPLIT: 0
	.section	.text._ZN7rocprim17ROCPRIM_400000_NS6detail17trampoline_kernelINS0_14default_configENS1_21merge_config_selectorIyNS0_10empty_typeEEEZNS1_10merge_implIS3_N6thrust23THRUST_200600_302600_NS6detail15normal_iteratorINS9_10device_ptrIKyEEEESF_NSB_INSC_IyEEEEPS5_SI_SI_NS9_4lessIyEEEE10hipError_tPvRmT0_T1_T2_T3_T4_T5_mmT6_P12ihipStream_tbEUlT_E0_NS1_11comp_targetILNS1_3genE2ELNS1_11target_archE906ELNS1_3gpuE6ELNS1_3repE0EEENS1_30default_config_static_selectorELNS0_4arch9wavefront6targetE1EEEvSP_,"axG",@progbits,_ZN7rocprim17ROCPRIM_400000_NS6detail17trampoline_kernelINS0_14default_configENS1_21merge_config_selectorIyNS0_10empty_typeEEEZNS1_10merge_implIS3_N6thrust23THRUST_200600_302600_NS6detail15normal_iteratorINS9_10device_ptrIKyEEEESF_NSB_INSC_IyEEEEPS5_SI_SI_NS9_4lessIyEEEE10hipError_tPvRmT0_T1_T2_T3_T4_T5_mmT6_P12ihipStream_tbEUlT_E0_NS1_11comp_targetILNS1_3genE2ELNS1_11target_archE906ELNS1_3gpuE6ELNS1_3repE0EEENS1_30default_config_static_selectorELNS0_4arch9wavefront6targetE1EEEvSP_,comdat
	.protected	_ZN7rocprim17ROCPRIM_400000_NS6detail17trampoline_kernelINS0_14default_configENS1_21merge_config_selectorIyNS0_10empty_typeEEEZNS1_10merge_implIS3_N6thrust23THRUST_200600_302600_NS6detail15normal_iteratorINS9_10device_ptrIKyEEEESF_NSB_INSC_IyEEEEPS5_SI_SI_NS9_4lessIyEEEE10hipError_tPvRmT0_T1_T2_T3_T4_T5_mmT6_P12ihipStream_tbEUlT_E0_NS1_11comp_targetILNS1_3genE2ELNS1_11target_archE906ELNS1_3gpuE6ELNS1_3repE0EEENS1_30default_config_static_selectorELNS0_4arch9wavefront6targetE1EEEvSP_ ; -- Begin function _ZN7rocprim17ROCPRIM_400000_NS6detail17trampoline_kernelINS0_14default_configENS1_21merge_config_selectorIyNS0_10empty_typeEEEZNS1_10merge_implIS3_N6thrust23THRUST_200600_302600_NS6detail15normal_iteratorINS9_10device_ptrIKyEEEESF_NSB_INSC_IyEEEEPS5_SI_SI_NS9_4lessIyEEEE10hipError_tPvRmT0_T1_T2_T3_T4_T5_mmT6_P12ihipStream_tbEUlT_E0_NS1_11comp_targetILNS1_3genE2ELNS1_11target_archE906ELNS1_3gpuE6ELNS1_3repE0EEENS1_30default_config_static_selectorELNS0_4arch9wavefront6targetE1EEEvSP_
	.globl	_ZN7rocprim17ROCPRIM_400000_NS6detail17trampoline_kernelINS0_14default_configENS1_21merge_config_selectorIyNS0_10empty_typeEEEZNS1_10merge_implIS3_N6thrust23THRUST_200600_302600_NS6detail15normal_iteratorINS9_10device_ptrIKyEEEESF_NSB_INSC_IyEEEEPS5_SI_SI_NS9_4lessIyEEEE10hipError_tPvRmT0_T1_T2_T3_T4_T5_mmT6_P12ihipStream_tbEUlT_E0_NS1_11comp_targetILNS1_3genE2ELNS1_11target_archE906ELNS1_3gpuE6ELNS1_3repE0EEENS1_30default_config_static_selectorELNS0_4arch9wavefront6targetE1EEEvSP_
	.p2align	8
	.type	_ZN7rocprim17ROCPRIM_400000_NS6detail17trampoline_kernelINS0_14default_configENS1_21merge_config_selectorIyNS0_10empty_typeEEEZNS1_10merge_implIS3_N6thrust23THRUST_200600_302600_NS6detail15normal_iteratorINS9_10device_ptrIKyEEEESF_NSB_INSC_IyEEEEPS5_SI_SI_NS9_4lessIyEEEE10hipError_tPvRmT0_T1_T2_T3_T4_T5_mmT6_P12ihipStream_tbEUlT_E0_NS1_11comp_targetILNS1_3genE2ELNS1_11target_archE906ELNS1_3gpuE6ELNS1_3repE0EEENS1_30default_config_static_selectorELNS0_4arch9wavefront6targetE1EEEvSP_,@function
_ZN7rocprim17ROCPRIM_400000_NS6detail17trampoline_kernelINS0_14default_configENS1_21merge_config_selectorIyNS0_10empty_typeEEEZNS1_10merge_implIS3_N6thrust23THRUST_200600_302600_NS6detail15normal_iteratorINS9_10device_ptrIKyEEEESF_NSB_INSC_IyEEEEPS5_SI_SI_NS9_4lessIyEEEE10hipError_tPvRmT0_T1_T2_T3_T4_T5_mmT6_P12ihipStream_tbEUlT_E0_NS1_11comp_targetILNS1_3genE2ELNS1_11target_archE906ELNS1_3gpuE6ELNS1_3repE0EEENS1_30default_config_static_selectorELNS0_4arch9wavefront6targetE1EEEvSP_: ; @_ZN7rocprim17ROCPRIM_400000_NS6detail17trampoline_kernelINS0_14default_configENS1_21merge_config_selectorIyNS0_10empty_typeEEEZNS1_10merge_implIS3_N6thrust23THRUST_200600_302600_NS6detail15normal_iteratorINS9_10device_ptrIKyEEEESF_NSB_INSC_IyEEEEPS5_SI_SI_NS9_4lessIyEEEE10hipError_tPvRmT0_T1_T2_T3_T4_T5_mmT6_P12ihipStream_tbEUlT_E0_NS1_11comp_targetILNS1_3genE2ELNS1_11target_archE906ELNS1_3gpuE6ELNS1_3repE0EEENS1_30default_config_static_selectorELNS0_4arch9wavefront6targetE1EEEvSP_
; %bb.0:
	.section	.rodata,"a",@progbits
	.p2align	6, 0x0
	.amdhsa_kernel _ZN7rocprim17ROCPRIM_400000_NS6detail17trampoline_kernelINS0_14default_configENS1_21merge_config_selectorIyNS0_10empty_typeEEEZNS1_10merge_implIS3_N6thrust23THRUST_200600_302600_NS6detail15normal_iteratorINS9_10device_ptrIKyEEEESF_NSB_INSC_IyEEEEPS5_SI_SI_NS9_4lessIyEEEE10hipError_tPvRmT0_T1_T2_T3_T4_T5_mmT6_P12ihipStream_tbEUlT_E0_NS1_11comp_targetILNS1_3genE2ELNS1_11target_archE906ELNS1_3gpuE6ELNS1_3repE0EEENS1_30default_config_static_selectorELNS0_4arch9wavefront6targetE1EEEvSP_
		.amdhsa_group_segment_fixed_size 0
		.amdhsa_private_segment_fixed_size 0
		.amdhsa_kernarg_size 88
		.amdhsa_user_sgpr_count 6
		.amdhsa_user_sgpr_private_segment_buffer 1
		.amdhsa_user_sgpr_dispatch_ptr 0
		.amdhsa_user_sgpr_queue_ptr 0
		.amdhsa_user_sgpr_kernarg_segment_ptr 1
		.amdhsa_user_sgpr_dispatch_id 0
		.amdhsa_user_sgpr_flat_scratch_init 0
		.amdhsa_user_sgpr_kernarg_preload_length 0
		.amdhsa_user_sgpr_kernarg_preload_offset 0
		.amdhsa_user_sgpr_private_segment_size 0
		.amdhsa_uses_dynamic_stack 0
		.amdhsa_system_sgpr_private_segment_wavefront_offset 0
		.amdhsa_system_sgpr_workgroup_id_x 1
		.amdhsa_system_sgpr_workgroup_id_y 0
		.amdhsa_system_sgpr_workgroup_id_z 0
		.amdhsa_system_sgpr_workgroup_info 0
		.amdhsa_system_vgpr_workitem_id 0
		.amdhsa_next_free_vgpr 1
		.amdhsa_next_free_sgpr 0
		.amdhsa_accum_offset 4
		.amdhsa_reserve_vcc 0
		.amdhsa_reserve_flat_scratch 0
		.amdhsa_float_round_mode_32 0
		.amdhsa_float_round_mode_16_64 0
		.amdhsa_float_denorm_mode_32 3
		.amdhsa_float_denorm_mode_16_64 3
		.amdhsa_dx10_clamp 1
		.amdhsa_ieee_mode 1
		.amdhsa_fp16_overflow 0
		.amdhsa_tg_split 0
		.amdhsa_exception_fp_ieee_invalid_op 0
		.amdhsa_exception_fp_denorm_src 0
		.amdhsa_exception_fp_ieee_div_zero 0
		.amdhsa_exception_fp_ieee_overflow 0
		.amdhsa_exception_fp_ieee_underflow 0
		.amdhsa_exception_fp_ieee_inexact 0
		.amdhsa_exception_int_div_zero 0
	.end_amdhsa_kernel
	.section	.text._ZN7rocprim17ROCPRIM_400000_NS6detail17trampoline_kernelINS0_14default_configENS1_21merge_config_selectorIyNS0_10empty_typeEEEZNS1_10merge_implIS3_N6thrust23THRUST_200600_302600_NS6detail15normal_iteratorINS9_10device_ptrIKyEEEESF_NSB_INSC_IyEEEEPS5_SI_SI_NS9_4lessIyEEEE10hipError_tPvRmT0_T1_T2_T3_T4_T5_mmT6_P12ihipStream_tbEUlT_E0_NS1_11comp_targetILNS1_3genE2ELNS1_11target_archE906ELNS1_3gpuE6ELNS1_3repE0EEENS1_30default_config_static_selectorELNS0_4arch9wavefront6targetE1EEEvSP_,"axG",@progbits,_ZN7rocprim17ROCPRIM_400000_NS6detail17trampoline_kernelINS0_14default_configENS1_21merge_config_selectorIyNS0_10empty_typeEEEZNS1_10merge_implIS3_N6thrust23THRUST_200600_302600_NS6detail15normal_iteratorINS9_10device_ptrIKyEEEESF_NSB_INSC_IyEEEEPS5_SI_SI_NS9_4lessIyEEEE10hipError_tPvRmT0_T1_T2_T3_T4_T5_mmT6_P12ihipStream_tbEUlT_E0_NS1_11comp_targetILNS1_3genE2ELNS1_11target_archE906ELNS1_3gpuE6ELNS1_3repE0EEENS1_30default_config_static_selectorELNS0_4arch9wavefront6targetE1EEEvSP_,comdat
.Lfunc_end109:
	.size	_ZN7rocprim17ROCPRIM_400000_NS6detail17trampoline_kernelINS0_14default_configENS1_21merge_config_selectorIyNS0_10empty_typeEEEZNS1_10merge_implIS3_N6thrust23THRUST_200600_302600_NS6detail15normal_iteratorINS9_10device_ptrIKyEEEESF_NSB_INSC_IyEEEEPS5_SI_SI_NS9_4lessIyEEEE10hipError_tPvRmT0_T1_T2_T3_T4_T5_mmT6_P12ihipStream_tbEUlT_E0_NS1_11comp_targetILNS1_3genE2ELNS1_11target_archE906ELNS1_3gpuE6ELNS1_3repE0EEENS1_30default_config_static_selectorELNS0_4arch9wavefront6targetE1EEEvSP_, .Lfunc_end109-_ZN7rocprim17ROCPRIM_400000_NS6detail17trampoline_kernelINS0_14default_configENS1_21merge_config_selectorIyNS0_10empty_typeEEEZNS1_10merge_implIS3_N6thrust23THRUST_200600_302600_NS6detail15normal_iteratorINS9_10device_ptrIKyEEEESF_NSB_INSC_IyEEEEPS5_SI_SI_NS9_4lessIyEEEE10hipError_tPvRmT0_T1_T2_T3_T4_T5_mmT6_P12ihipStream_tbEUlT_E0_NS1_11comp_targetILNS1_3genE2ELNS1_11target_archE906ELNS1_3gpuE6ELNS1_3repE0EEENS1_30default_config_static_selectorELNS0_4arch9wavefront6targetE1EEEvSP_
                                        ; -- End function
	.section	.AMDGPU.csdata,"",@progbits
; Kernel info:
; codeLenInByte = 0
; NumSgprs: 4
; NumVgprs: 0
; NumAgprs: 0
; TotalNumVgprs: 0
; ScratchSize: 0
; MemoryBound: 0
; FloatMode: 240
; IeeeMode: 1
; LDSByteSize: 0 bytes/workgroup (compile time only)
; SGPRBlocks: 0
; VGPRBlocks: 0
; NumSGPRsForWavesPerEU: 4
; NumVGPRsForWavesPerEU: 1
; AccumOffset: 4
; Occupancy: 8
; WaveLimiterHint : 0
; COMPUTE_PGM_RSRC2:SCRATCH_EN: 0
; COMPUTE_PGM_RSRC2:USER_SGPR: 6
; COMPUTE_PGM_RSRC2:TRAP_HANDLER: 0
; COMPUTE_PGM_RSRC2:TGID_X_EN: 1
; COMPUTE_PGM_RSRC2:TGID_Y_EN: 0
; COMPUTE_PGM_RSRC2:TGID_Z_EN: 0
; COMPUTE_PGM_RSRC2:TIDIG_COMP_CNT: 0
; COMPUTE_PGM_RSRC3_GFX90A:ACCUM_OFFSET: 0
; COMPUTE_PGM_RSRC3_GFX90A:TG_SPLIT: 0
	.section	.text._ZN7rocprim17ROCPRIM_400000_NS6detail17trampoline_kernelINS0_14default_configENS1_21merge_config_selectorIyNS0_10empty_typeEEEZNS1_10merge_implIS3_N6thrust23THRUST_200600_302600_NS6detail15normal_iteratorINS9_10device_ptrIKyEEEESF_NSB_INSC_IyEEEEPS5_SI_SI_NS9_4lessIyEEEE10hipError_tPvRmT0_T1_T2_T3_T4_T5_mmT6_P12ihipStream_tbEUlT_E0_NS1_11comp_targetILNS1_3genE10ELNS1_11target_archE1201ELNS1_3gpuE5ELNS1_3repE0EEENS1_30default_config_static_selectorELNS0_4arch9wavefront6targetE1EEEvSP_,"axG",@progbits,_ZN7rocprim17ROCPRIM_400000_NS6detail17trampoline_kernelINS0_14default_configENS1_21merge_config_selectorIyNS0_10empty_typeEEEZNS1_10merge_implIS3_N6thrust23THRUST_200600_302600_NS6detail15normal_iteratorINS9_10device_ptrIKyEEEESF_NSB_INSC_IyEEEEPS5_SI_SI_NS9_4lessIyEEEE10hipError_tPvRmT0_T1_T2_T3_T4_T5_mmT6_P12ihipStream_tbEUlT_E0_NS1_11comp_targetILNS1_3genE10ELNS1_11target_archE1201ELNS1_3gpuE5ELNS1_3repE0EEENS1_30default_config_static_selectorELNS0_4arch9wavefront6targetE1EEEvSP_,comdat
	.protected	_ZN7rocprim17ROCPRIM_400000_NS6detail17trampoline_kernelINS0_14default_configENS1_21merge_config_selectorIyNS0_10empty_typeEEEZNS1_10merge_implIS3_N6thrust23THRUST_200600_302600_NS6detail15normal_iteratorINS9_10device_ptrIKyEEEESF_NSB_INSC_IyEEEEPS5_SI_SI_NS9_4lessIyEEEE10hipError_tPvRmT0_T1_T2_T3_T4_T5_mmT6_P12ihipStream_tbEUlT_E0_NS1_11comp_targetILNS1_3genE10ELNS1_11target_archE1201ELNS1_3gpuE5ELNS1_3repE0EEENS1_30default_config_static_selectorELNS0_4arch9wavefront6targetE1EEEvSP_ ; -- Begin function _ZN7rocprim17ROCPRIM_400000_NS6detail17trampoline_kernelINS0_14default_configENS1_21merge_config_selectorIyNS0_10empty_typeEEEZNS1_10merge_implIS3_N6thrust23THRUST_200600_302600_NS6detail15normal_iteratorINS9_10device_ptrIKyEEEESF_NSB_INSC_IyEEEEPS5_SI_SI_NS9_4lessIyEEEE10hipError_tPvRmT0_T1_T2_T3_T4_T5_mmT6_P12ihipStream_tbEUlT_E0_NS1_11comp_targetILNS1_3genE10ELNS1_11target_archE1201ELNS1_3gpuE5ELNS1_3repE0EEENS1_30default_config_static_selectorELNS0_4arch9wavefront6targetE1EEEvSP_
	.globl	_ZN7rocprim17ROCPRIM_400000_NS6detail17trampoline_kernelINS0_14default_configENS1_21merge_config_selectorIyNS0_10empty_typeEEEZNS1_10merge_implIS3_N6thrust23THRUST_200600_302600_NS6detail15normal_iteratorINS9_10device_ptrIKyEEEESF_NSB_INSC_IyEEEEPS5_SI_SI_NS9_4lessIyEEEE10hipError_tPvRmT0_T1_T2_T3_T4_T5_mmT6_P12ihipStream_tbEUlT_E0_NS1_11comp_targetILNS1_3genE10ELNS1_11target_archE1201ELNS1_3gpuE5ELNS1_3repE0EEENS1_30default_config_static_selectorELNS0_4arch9wavefront6targetE1EEEvSP_
	.p2align	8
	.type	_ZN7rocprim17ROCPRIM_400000_NS6detail17trampoline_kernelINS0_14default_configENS1_21merge_config_selectorIyNS0_10empty_typeEEEZNS1_10merge_implIS3_N6thrust23THRUST_200600_302600_NS6detail15normal_iteratorINS9_10device_ptrIKyEEEESF_NSB_INSC_IyEEEEPS5_SI_SI_NS9_4lessIyEEEE10hipError_tPvRmT0_T1_T2_T3_T4_T5_mmT6_P12ihipStream_tbEUlT_E0_NS1_11comp_targetILNS1_3genE10ELNS1_11target_archE1201ELNS1_3gpuE5ELNS1_3repE0EEENS1_30default_config_static_selectorELNS0_4arch9wavefront6targetE1EEEvSP_,@function
_ZN7rocprim17ROCPRIM_400000_NS6detail17trampoline_kernelINS0_14default_configENS1_21merge_config_selectorIyNS0_10empty_typeEEEZNS1_10merge_implIS3_N6thrust23THRUST_200600_302600_NS6detail15normal_iteratorINS9_10device_ptrIKyEEEESF_NSB_INSC_IyEEEEPS5_SI_SI_NS9_4lessIyEEEE10hipError_tPvRmT0_T1_T2_T3_T4_T5_mmT6_P12ihipStream_tbEUlT_E0_NS1_11comp_targetILNS1_3genE10ELNS1_11target_archE1201ELNS1_3gpuE5ELNS1_3repE0EEENS1_30default_config_static_selectorELNS0_4arch9wavefront6targetE1EEEvSP_: ; @_ZN7rocprim17ROCPRIM_400000_NS6detail17trampoline_kernelINS0_14default_configENS1_21merge_config_selectorIyNS0_10empty_typeEEEZNS1_10merge_implIS3_N6thrust23THRUST_200600_302600_NS6detail15normal_iteratorINS9_10device_ptrIKyEEEESF_NSB_INSC_IyEEEEPS5_SI_SI_NS9_4lessIyEEEE10hipError_tPvRmT0_T1_T2_T3_T4_T5_mmT6_P12ihipStream_tbEUlT_E0_NS1_11comp_targetILNS1_3genE10ELNS1_11target_archE1201ELNS1_3gpuE5ELNS1_3repE0EEENS1_30default_config_static_selectorELNS0_4arch9wavefront6targetE1EEEvSP_
; %bb.0:
	.section	.rodata,"a",@progbits
	.p2align	6, 0x0
	.amdhsa_kernel _ZN7rocprim17ROCPRIM_400000_NS6detail17trampoline_kernelINS0_14default_configENS1_21merge_config_selectorIyNS0_10empty_typeEEEZNS1_10merge_implIS3_N6thrust23THRUST_200600_302600_NS6detail15normal_iteratorINS9_10device_ptrIKyEEEESF_NSB_INSC_IyEEEEPS5_SI_SI_NS9_4lessIyEEEE10hipError_tPvRmT0_T1_T2_T3_T4_T5_mmT6_P12ihipStream_tbEUlT_E0_NS1_11comp_targetILNS1_3genE10ELNS1_11target_archE1201ELNS1_3gpuE5ELNS1_3repE0EEENS1_30default_config_static_selectorELNS0_4arch9wavefront6targetE1EEEvSP_
		.amdhsa_group_segment_fixed_size 0
		.amdhsa_private_segment_fixed_size 0
		.amdhsa_kernarg_size 88
		.amdhsa_user_sgpr_count 6
		.amdhsa_user_sgpr_private_segment_buffer 1
		.amdhsa_user_sgpr_dispatch_ptr 0
		.amdhsa_user_sgpr_queue_ptr 0
		.amdhsa_user_sgpr_kernarg_segment_ptr 1
		.amdhsa_user_sgpr_dispatch_id 0
		.amdhsa_user_sgpr_flat_scratch_init 0
		.amdhsa_user_sgpr_kernarg_preload_length 0
		.amdhsa_user_sgpr_kernarg_preload_offset 0
		.amdhsa_user_sgpr_private_segment_size 0
		.amdhsa_uses_dynamic_stack 0
		.amdhsa_system_sgpr_private_segment_wavefront_offset 0
		.amdhsa_system_sgpr_workgroup_id_x 1
		.amdhsa_system_sgpr_workgroup_id_y 0
		.amdhsa_system_sgpr_workgroup_id_z 0
		.amdhsa_system_sgpr_workgroup_info 0
		.amdhsa_system_vgpr_workitem_id 0
		.amdhsa_next_free_vgpr 1
		.amdhsa_next_free_sgpr 0
		.amdhsa_accum_offset 4
		.amdhsa_reserve_vcc 0
		.amdhsa_reserve_flat_scratch 0
		.amdhsa_float_round_mode_32 0
		.amdhsa_float_round_mode_16_64 0
		.amdhsa_float_denorm_mode_32 3
		.amdhsa_float_denorm_mode_16_64 3
		.amdhsa_dx10_clamp 1
		.amdhsa_ieee_mode 1
		.amdhsa_fp16_overflow 0
		.amdhsa_tg_split 0
		.amdhsa_exception_fp_ieee_invalid_op 0
		.amdhsa_exception_fp_denorm_src 0
		.amdhsa_exception_fp_ieee_div_zero 0
		.amdhsa_exception_fp_ieee_overflow 0
		.amdhsa_exception_fp_ieee_underflow 0
		.amdhsa_exception_fp_ieee_inexact 0
		.amdhsa_exception_int_div_zero 0
	.end_amdhsa_kernel
	.section	.text._ZN7rocprim17ROCPRIM_400000_NS6detail17trampoline_kernelINS0_14default_configENS1_21merge_config_selectorIyNS0_10empty_typeEEEZNS1_10merge_implIS3_N6thrust23THRUST_200600_302600_NS6detail15normal_iteratorINS9_10device_ptrIKyEEEESF_NSB_INSC_IyEEEEPS5_SI_SI_NS9_4lessIyEEEE10hipError_tPvRmT0_T1_T2_T3_T4_T5_mmT6_P12ihipStream_tbEUlT_E0_NS1_11comp_targetILNS1_3genE10ELNS1_11target_archE1201ELNS1_3gpuE5ELNS1_3repE0EEENS1_30default_config_static_selectorELNS0_4arch9wavefront6targetE1EEEvSP_,"axG",@progbits,_ZN7rocprim17ROCPRIM_400000_NS6detail17trampoline_kernelINS0_14default_configENS1_21merge_config_selectorIyNS0_10empty_typeEEEZNS1_10merge_implIS3_N6thrust23THRUST_200600_302600_NS6detail15normal_iteratorINS9_10device_ptrIKyEEEESF_NSB_INSC_IyEEEEPS5_SI_SI_NS9_4lessIyEEEE10hipError_tPvRmT0_T1_T2_T3_T4_T5_mmT6_P12ihipStream_tbEUlT_E0_NS1_11comp_targetILNS1_3genE10ELNS1_11target_archE1201ELNS1_3gpuE5ELNS1_3repE0EEENS1_30default_config_static_selectorELNS0_4arch9wavefront6targetE1EEEvSP_,comdat
.Lfunc_end110:
	.size	_ZN7rocprim17ROCPRIM_400000_NS6detail17trampoline_kernelINS0_14default_configENS1_21merge_config_selectorIyNS0_10empty_typeEEEZNS1_10merge_implIS3_N6thrust23THRUST_200600_302600_NS6detail15normal_iteratorINS9_10device_ptrIKyEEEESF_NSB_INSC_IyEEEEPS5_SI_SI_NS9_4lessIyEEEE10hipError_tPvRmT0_T1_T2_T3_T4_T5_mmT6_P12ihipStream_tbEUlT_E0_NS1_11comp_targetILNS1_3genE10ELNS1_11target_archE1201ELNS1_3gpuE5ELNS1_3repE0EEENS1_30default_config_static_selectorELNS0_4arch9wavefront6targetE1EEEvSP_, .Lfunc_end110-_ZN7rocprim17ROCPRIM_400000_NS6detail17trampoline_kernelINS0_14default_configENS1_21merge_config_selectorIyNS0_10empty_typeEEEZNS1_10merge_implIS3_N6thrust23THRUST_200600_302600_NS6detail15normal_iteratorINS9_10device_ptrIKyEEEESF_NSB_INSC_IyEEEEPS5_SI_SI_NS9_4lessIyEEEE10hipError_tPvRmT0_T1_T2_T3_T4_T5_mmT6_P12ihipStream_tbEUlT_E0_NS1_11comp_targetILNS1_3genE10ELNS1_11target_archE1201ELNS1_3gpuE5ELNS1_3repE0EEENS1_30default_config_static_selectorELNS0_4arch9wavefront6targetE1EEEvSP_
                                        ; -- End function
	.section	.AMDGPU.csdata,"",@progbits
; Kernel info:
; codeLenInByte = 0
; NumSgprs: 4
; NumVgprs: 0
; NumAgprs: 0
; TotalNumVgprs: 0
; ScratchSize: 0
; MemoryBound: 0
; FloatMode: 240
; IeeeMode: 1
; LDSByteSize: 0 bytes/workgroup (compile time only)
; SGPRBlocks: 0
; VGPRBlocks: 0
; NumSGPRsForWavesPerEU: 4
; NumVGPRsForWavesPerEU: 1
; AccumOffset: 4
; Occupancy: 8
; WaveLimiterHint : 0
; COMPUTE_PGM_RSRC2:SCRATCH_EN: 0
; COMPUTE_PGM_RSRC2:USER_SGPR: 6
; COMPUTE_PGM_RSRC2:TRAP_HANDLER: 0
; COMPUTE_PGM_RSRC2:TGID_X_EN: 1
; COMPUTE_PGM_RSRC2:TGID_Y_EN: 0
; COMPUTE_PGM_RSRC2:TGID_Z_EN: 0
; COMPUTE_PGM_RSRC2:TIDIG_COMP_CNT: 0
; COMPUTE_PGM_RSRC3_GFX90A:ACCUM_OFFSET: 0
; COMPUTE_PGM_RSRC3_GFX90A:TG_SPLIT: 0
	.section	.text._ZN7rocprim17ROCPRIM_400000_NS6detail17trampoline_kernelINS0_14default_configENS1_21merge_config_selectorIyNS0_10empty_typeEEEZNS1_10merge_implIS3_N6thrust23THRUST_200600_302600_NS6detail15normal_iteratorINS9_10device_ptrIKyEEEESF_NSB_INSC_IyEEEEPS5_SI_SI_NS9_4lessIyEEEE10hipError_tPvRmT0_T1_T2_T3_T4_T5_mmT6_P12ihipStream_tbEUlT_E0_NS1_11comp_targetILNS1_3genE10ELNS1_11target_archE1200ELNS1_3gpuE4ELNS1_3repE0EEENS1_30default_config_static_selectorELNS0_4arch9wavefront6targetE1EEEvSP_,"axG",@progbits,_ZN7rocprim17ROCPRIM_400000_NS6detail17trampoline_kernelINS0_14default_configENS1_21merge_config_selectorIyNS0_10empty_typeEEEZNS1_10merge_implIS3_N6thrust23THRUST_200600_302600_NS6detail15normal_iteratorINS9_10device_ptrIKyEEEESF_NSB_INSC_IyEEEEPS5_SI_SI_NS9_4lessIyEEEE10hipError_tPvRmT0_T1_T2_T3_T4_T5_mmT6_P12ihipStream_tbEUlT_E0_NS1_11comp_targetILNS1_3genE10ELNS1_11target_archE1200ELNS1_3gpuE4ELNS1_3repE0EEENS1_30default_config_static_selectorELNS0_4arch9wavefront6targetE1EEEvSP_,comdat
	.protected	_ZN7rocprim17ROCPRIM_400000_NS6detail17trampoline_kernelINS0_14default_configENS1_21merge_config_selectorIyNS0_10empty_typeEEEZNS1_10merge_implIS3_N6thrust23THRUST_200600_302600_NS6detail15normal_iteratorINS9_10device_ptrIKyEEEESF_NSB_INSC_IyEEEEPS5_SI_SI_NS9_4lessIyEEEE10hipError_tPvRmT0_T1_T2_T3_T4_T5_mmT6_P12ihipStream_tbEUlT_E0_NS1_11comp_targetILNS1_3genE10ELNS1_11target_archE1200ELNS1_3gpuE4ELNS1_3repE0EEENS1_30default_config_static_selectorELNS0_4arch9wavefront6targetE1EEEvSP_ ; -- Begin function _ZN7rocprim17ROCPRIM_400000_NS6detail17trampoline_kernelINS0_14default_configENS1_21merge_config_selectorIyNS0_10empty_typeEEEZNS1_10merge_implIS3_N6thrust23THRUST_200600_302600_NS6detail15normal_iteratorINS9_10device_ptrIKyEEEESF_NSB_INSC_IyEEEEPS5_SI_SI_NS9_4lessIyEEEE10hipError_tPvRmT0_T1_T2_T3_T4_T5_mmT6_P12ihipStream_tbEUlT_E0_NS1_11comp_targetILNS1_3genE10ELNS1_11target_archE1200ELNS1_3gpuE4ELNS1_3repE0EEENS1_30default_config_static_selectorELNS0_4arch9wavefront6targetE1EEEvSP_
	.globl	_ZN7rocprim17ROCPRIM_400000_NS6detail17trampoline_kernelINS0_14default_configENS1_21merge_config_selectorIyNS0_10empty_typeEEEZNS1_10merge_implIS3_N6thrust23THRUST_200600_302600_NS6detail15normal_iteratorINS9_10device_ptrIKyEEEESF_NSB_INSC_IyEEEEPS5_SI_SI_NS9_4lessIyEEEE10hipError_tPvRmT0_T1_T2_T3_T4_T5_mmT6_P12ihipStream_tbEUlT_E0_NS1_11comp_targetILNS1_3genE10ELNS1_11target_archE1200ELNS1_3gpuE4ELNS1_3repE0EEENS1_30default_config_static_selectorELNS0_4arch9wavefront6targetE1EEEvSP_
	.p2align	8
	.type	_ZN7rocprim17ROCPRIM_400000_NS6detail17trampoline_kernelINS0_14default_configENS1_21merge_config_selectorIyNS0_10empty_typeEEEZNS1_10merge_implIS3_N6thrust23THRUST_200600_302600_NS6detail15normal_iteratorINS9_10device_ptrIKyEEEESF_NSB_INSC_IyEEEEPS5_SI_SI_NS9_4lessIyEEEE10hipError_tPvRmT0_T1_T2_T3_T4_T5_mmT6_P12ihipStream_tbEUlT_E0_NS1_11comp_targetILNS1_3genE10ELNS1_11target_archE1200ELNS1_3gpuE4ELNS1_3repE0EEENS1_30default_config_static_selectorELNS0_4arch9wavefront6targetE1EEEvSP_,@function
_ZN7rocprim17ROCPRIM_400000_NS6detail17trampoline_kernelINS0_14default_configENS1_21merge_config_selectorIyNS0_10empty_typeEEEZNS1_10merge_implIS3_N6thrust23THRUST_200600_302600_NS6detail15normal_iteratorINS9_10device_ptrIKyEEEESF_NSB_INSC_IyEEEEPS5_SI_SI_NS9_4lessIyEEEE10hipError_tPvRmT0_T1_T2_T3_T4_T5_mmT6_P12ihipStream_tbEUlT_E0_NS1_11comp_targetILNS1_3genE10ELNS1_11target_archE1200ELNS1_3gpuE4ELNS1_3repE0EEENS1_30default_config_static_selectorELNS0_4arch9wavefront6targetE1EEEvSP_: ; @_ZN7rocprim17ROCPRIM_400000_NS6detail17trampoline_kernelINS0_14default_configENS1_21merge_config_selectorIyNS0_10empty_typeEEEZNS1_10merge_implIS3_N6thrust23THRUST_200600_302600_NS6detail15normal_iteratorINS9_10device_ptrIKyEEEESF_NSB_INSC_IyEEEEPS5_SI_SI_NS9_4lessIyEEEE10hipError_tPvRmT0_T1_T2_T3_T4_T5_mmT6_P12ihipStream_tbEUlT_E0_NS1_11comp_targetILNS1_3genE10ELNS1_11target_archE1200ELNS1_3gpuE4ELNS1_3repE0EEENS1_30default_config_static_selectorELNS0_4arch9wavefront6targetE1EEEvSP_
; %bb.0:
	.section	.rodata,"a",@progbits
	.p2align	6, 0x0
	.amdhsa_kernel _ZN7rocprim17ROCPRIM_400000_NS6detail17trampoline_kernelINS0_14default_configENS1_21merge_config_selectorIyNS0_10empty_typeEEEZNS1_10merge_implIS3_N6thrust23THRUST_200600_302600_NS6detail15normal_iteratorINS9_10device_ptrIKyEEEESF_NSB_INSC_IyEEEEPS5_SI_SI_NS9_4lessIyEEEE10hipError_tPvRmT0_T1_T2_T3_T4_T5_mmT6_P12ihipStream_tbEUlT_E0_NS1_11comp_targetILNS1_3genE10ELNS1_11target_archE1200ELNS1_3gpuE4ELNS1_3repE0EEENS1_30default_config_static_selectorELNS0_4arch9wavefront6targetE1EEEvSP_
		.amdhsa_group_segment_fixed_size 0
		.amdhsa_private_segment_fixed_size 0
		.amdhsa_kernarg_size 88
		.amdhsa_user_sgpr_count 6
		.amdhsa_user_sgpr_private_segment_buffer 1
		.amdhsa_user_sgpr_dispatch_ptr 0
		.amdhsa_user_sgpr_queue_ptr 0
		.amdhsa_user_sgpr_kernarg_segment_ptr 1
		.amdhsa_user_sgpr_dispatch_id 0
		.amdhsa_user_sgpr_flat_scratch_init 0
		.amdhsa_user_sgpr_kernarg_preload_length 0
		.amdhsa_user_sgpr_kernarg_preload_offset 0
		.amdhsa_user_sgpr_private_segment_size 0
		.amdhsa_uses_dynamic_stack 0
		.amdhsa_system_sgpr_private_segment_wavefront_offset 0
		.amdhsa_system_sgpr_workgroup_id_x 1
		.amdhsa_system_sgpr_workgroup_id_y 0
		.amdhsa_system_sgpr_workgroup_id_z 0
		.amdhsa_system_sgpr_workgroup_info 0
		.amdhsa_system_vgpr_workitem_id 0
		.amdhsa_next_free_vgpr 1
		.amdhsa_next_free_sgpr 0
		.amdhsa_accum_offset 4
		.amdhsa_reserve_vcc 0
		.amdhsa_reserve_flat_scratch 0
		.amdhsa_float_round_mode_32 0
		.amdhsa_float_round_mode_16_64 0
		.amdhsa_float_denorm_mode_32 3
		.amdhsa_float_denorm_mode_16_64 3
		.amdhsa_dx10_clamp 1
		.amdhsa_ieee_mode 1
		.amdhsa_fp16_overflow 0
		.amdhsa_tg_split 0
		.amdhsa_exception_fp_ieee_invalid_op 0
		.amdhsa_exception_fp_denorm_src 0
		.amdhsa_exception_fp_ieee_div_zero 0
		.amdhsa_exception_fp_ieee_overflow 0
		.amdhsa_exception_fp_ieee_underflow 0
		.amdhsa_exception_fp_ieee_inexact 0
		.amdhsa_exception_int_div_zero 0
	.end_amdhsa_kernel
	.section	.text._ZN7rocprim17ROCPRIM_400000_NS6detail17trampoline_kernelINS0_14default_configENS1_21merge_config_selectorIyNS0_10empty_typeEEEZNS1_10merge_implIS3_N6thrust23THRUST_200600_302600_NS6detail15normal_iteratorINS9_10device_ptrIKyEEEESF_NSB_INSC_IyEEEEPS5_SI_SI_NS9_4lessIyEEEE10hipError_tPvRmT0_T1_T2_T3_T4_T5_mmT6_P12ihipStream_tbEUlT_E0_NS1_11comp_targetILNS1_3genE10ELNS1_11target_archE1200ELNS1_3gpuE4ELNS1_3repE0EEENS1_30default_config_static_selectorELNS0_4arch9wavefront6targetE1EEEvSP_,"axG",@progbits,_ZN7rocprim17ROCPRIM_400000_NS6detail17trampoline_kernelINS0_14default_configENS1_21merge_config_selectorIyNS0_10empty_typeEEEZNS1_10merge_implIS3_N6thrust23THRUST_200600_302600_NS6detail15normal_iteratorINS9_10device_ptrIKyEEEESF_NSB_INSC_IyEEEEPS5_SI_SI_NS9_4lessIyEEEE10hipError_tPvRmT0_T1_T2_T3_T4_T5_mmT6_P12ihipStream_tbEUlT_E0_NS1_11comp_targetILNS1_3genE10ELNS1_11target_archE1200ELNS1_3gpuE4ELNS1_3repE0EEENS1_30default_config_static_selectorELNS0_4arch9wavefront6targetE1EEEvSP_,comdat
.Lfunc_end111:
	.size	_ZN7rocprim17ROCPRIM_400000_NS6detail17trampoline_kernelINS0_14default_configENS1_21merge_config_selectorIyNS0_10empty_typeEEEZNS1_10merge_implIS3_N6thrust23THRUST_200600_302600_NS6detail15normal_iteratorINS9_10device_ptrIKyEEEESF_NSB_INSC_IyEEEEPS5_SI_SI_NS9_4lessIyEEEE10hipError_tPvRmT0_T1_T2_T3_T4_T5_mmT6_P12ihipStream_tbEUlT_E0_NS1_11comp_targetILNS1_3genE10ELNS1_11target_archE1200ELNS1_3gpuE4ELNS1_3repE0EEENS1_30default_config_static_selectorELNS0_4arch9wavefront6targetE1EEEvSP_, .Lfunc_end111-_ZN7rocprim17ROCPRIM_400000_NS6detail17trampoline_kernelINS0_14default_configENS1_21merge_config_selectorIyNS0_10empty_typeEEEZNS1_10merge_implIS3_N6thrust23THRUST_200600_302600_NS6detail15normal_iteratorINS9_10device_ptrIKyEEEESF_NSB_INSC_IyEEEEPS5_SI_SI_NS9_4lessIyEEEE10hipError_tPvRmT0_T1_T2_T3_T4_T5_mmT6_P12ihipStream_tbEUlT_E0_NS1_11comp_targetILNS1_3genE10ELNS1_11target_archE1200ELNS1_3gpuE4ELNS1_3repE0EEENS1_30default_config_static_selectorELNS0_4arch9wavefront6targetE1EEEvSP_
                                        ; -- End function
	.section	.AMDGPU.csdata,"",@progbits
; Kernel info:
; codeLenInByte = 0
; NumSgprs: 4
; NumVgprs: 0
; NumAgprs: 0
; TotalNumVgprs: 0
; ScratchSize: 0
; MemoryBound: 0
; FloatMode: 240
; IeeeMode: 1
; LDSByteSize: 0 bytes/workgroup (compile time only)
; SGPRBlocks: 0
; VGPRBlocks: 0
; NumSGPRsForWavesPerEU: 4
; NumVGPRsForWavesPerEU: 1
; AccumOffset: 4
; Occupancy: 8
; WaveLimiterHint : 0
; COMPUTE_PGM_RSRC2:SCRATCH_EN: 0
; COMPUTE_PGM_RSRC2:USER_SGPR: 6
; COMPUTE_PGM_RSRC2:TRAP_HANDLER: 0
; COMPUTE_PGM_RSRC2:TGID_X_EN: 1
; COMPUTE_PGM_RSRC2:TGID_Y_EN: 0
; COMPUTE_PGM_RSRC2:TGID_Z_EN: 0
; COMPUTE_PGM_RSRC2:TIDIG_COMP_CNT: 0
; COMPUTE_PGM_RSRC3_GFX90A:ACCUM_OFFSET: 0
; COMPUTE_PGM_RSRC3_GFX90A:TG_SPLIT: 0
	.section	.text._ZN7rocprim17ROCPRIM_400000_NS6detail17trampoline_kernelINS0_14default_configENS1_21merge_config_selectorIyNS0_10empty_typeEEEZNS1_10merge_implIS3_N6thrust23THRUST_200600_302600_NS6detail15normal_iteratorINS9_10device_ptrIKyEEEESF_NSB_INSC_IyEEEEPS5_SI_SI_NS9_4lessIyEEEE10hipError_tPvRmT0_T1_T2_T3_T4_T5_mmT6_P12ihipStream_tbEUlT_E0_NS1_11comp_targetILNS1_3genE9ELNS1_11target_archE1100ELNS1_3gpuE3ELNS1_3repE0EEENS1_30default_config_static_selectorELNS0_4arch9wavefront6targetE1EEEvSP_,"axG",@progbits,_ZN7rocprim17ROCPRIM_400000_NS6detail17trampoline_kernelINS0_14default_configENS1_21merge_config_selectorIyNS0_10empty_typeEEEZNS1_10merge_implIS3_N6thrust23THRUST_200600_302600_NS6detail15normal_iteratorINS9_10device_ptrIKyEEEESF_NSB_INSC_IyEEEEPS5_SI_SI_NS9_4lessIyEEEE10hipError_tPvRmT0_T1_T2_T3_T4_T5_mmT6_P12ihipStream_tbEUlT_E0_NS1_11comp_targetILNS1_3genE9ELNS1_11target_archE1100ELNS1_3gpuE3ELNS1_3repE0EEENS1_30default_config_static_selectorELNS0_4arch9wavefront6targetE1EEEvSP_,comdat
	.protected	_ZN7rocprim17ROCPRIM_400000_NS6detail17trampoline_kernelINS0_14default_configENS1_21merge_config_selectorIyNS0_10empty_typeEEEZNS1_10merge_implIS3_N6thrust23THRUST_200600_302600_NS6detail15normal_iteratorINS9_10device_ptrIKyEEEESF_NSB_INSC_IyEEEEPS5_SI_SI_NS9_4lessIyEEEE10hipError_tPvRmT0_T1_T2_T3_T4_T5_mmT6_P12ihipStream_tbEUlT_E0_NS1_11comp_targetILNS1_3genE9ELNS1_11target_archE1100ELNS1_3gpuE3ELNS1_3repE0EEENS1_30default_config_static_selectorELNS0_4arch9wavefront6targetE1EEEvSP_ ; -- Begin function _ZN7rocprim17ROCPRIM_400000_NS6detail17trampoline_kernelINS0_14default_configENS1_21merge_config_selectorIyNS0_10empty_typeEEEZNS1_10merge_implIS3_N6thrust23THRUST_200600_302600_NS6detail15normal_iteratorINS9_10device_ptrIKyEEEESF_NSB_INSC_IyEEEEPS5_SI_SI_NS9_4lessIyEEEE10hipError_tPvRmT0_T1_T2_T3_T4_T5_mmT6_P12ihipStream_tbEUlT_E0_NS1_11comp_targetILNS1_3genE9ELNS1_11target_archE1100ELNS1_3gpuE3ELNS1_3repE0EEENS1_30default_config_static_selectorELNS0_4arch9wavefront6targetE1EEEvSP_
	.globl	_ZN7rocprim17ROCPRIM_400000_NS6detail17trampoline_kernelINS0_14default_configENS1_21merge_config_selectorIyNS0_10empty_typeEEEZNS1_10merge_implIS3_N6thrust23THRUST_200600_302600_NS6detail15normal_iteratorINS9_10device_ptrIKyEEEESF_NSB_INSC_IyEEEEPS5_SI_SI_NS9_4lessIyEEEE10hipError_tPvRmT0_T1_T2_T3_T4_T5_mmT6_P12ihipStream_tbEUlT_E0_NS1_11comp_targetILNS1_3genE9ELNS1_11target_archE1100ELNS1_3gpuE3ELNS1_3repE0EEENS1_30default_config_static_selectorELNS0_4arch9wavefront6targetE1EEEvSP_
	.p2align	8
	.type	_ZN7rocprim17ROCPRIM_400000_NS6detail17trampoline_kernelINS0_14default_configENS1_21merge_config_selectorIyNS0_10empty_typeEEEZNS1_10merge_implIS3_N6thrust23THRUST_200600_302600_NS6detail15normal_iteratorINS9_10device_ptrIKyEEEESF_NSB_INSC_IyEEEEPS5_SI_SI_NS9_4lessIyEEEE10hipError_tPvRmT0_T1_T2_T3_T4_T5_mmT6_P12ihipStream_tbEUlT_E0_NS1_11comp_targetILNS1_3genE9ELNS1_11target_archE1100ELNS1_3gpuE3ELNS1_3repE0EEENS1_30default_config_static_selectorELNS0_4arch9wavefront6targetE1EEEvSP_,@function
_ZN7rocprim17ROCPRIM_400000_NS6detail17trampoline_kernelINS0_14default_configENS1_21merge_config_selectorIyNS0_10empty_typeEEEZNS1_10merge_implIS3_N6thrust23THRUST_200600_302600_NS6detail15normal_iteratorINS9_10device_ptrIKyEEEESF_NSB_INSC_IyEEEEPS5_SI_SI_NS9_4lessIyEEEE10hipError_tPvRmT0_T1_T2_T3_T4_T5_mmT6_P12ihipStream_tbEUlT_E0_NS1_11comp_targetILNS1_3genE9ELNS1_11target_archE1100ELNS1_3gpuE3ELNS1_3repE0EEENS1_30default_config_static_selectorELNS0_4arch9wavefront6targetE1EEEvSP_: ; @_ZN7rocprim17ROCPRIM_400000_NS6detail17trampoline_kernelINS0_14default_configENS1_21merge_config_selectorIyNS0_10empty_typeEEEZNS1_10merge_implIS3_N6thrust23THRUST_200600_302600_NS6detail15normal_iteratorINS9_10device_ptrIKyEEEESF_NSB_INSC_IyEEEEPS5_SI_SI_NS9_4lessIyEEEE10hipError_tPvRmT0_T1_T2_T3_T4_T5_mmT6_P12ihipStream_tbEUlT_E0_NS1_11comp_targetILNS1_3genE9ELNS1_11target_archE1100ELNS1_3gpuE3ELNS1_3repE0EEENS1_30default_config_static_selectorELNS0_4arch9wavefront6targetE1EEEvSP_
; %bb.0:
	.section	.rodata,"a",@progbits
	.p2align	6, 0x0
	.amdhsa_kernel _ZN7rocprim17ROCPRIM_400000_NS6detail17trampoline_kernelINS0_14default_configENS1_21merge_config_selectorIyNS0_10empty_typeEEEZNS1_10merge_implIS3_N6thrust23THRUST_200600_302600_NS6detail15normal_iteratorINS9_10device_ptrIKyEEEESF_NSB_INSC_IyEEEEPS5_SI_SI_NS9_4lessIyEEEE10hipError_tPvRmT0_T1_T2_T3_T4_T5_mmT6_P12ihipStream_tbEUlT_E0_NS1_11comp_targetILNS1_3genE9ELNS1_11target_archE1100ELNS1_3gpuE3ELNS1_3repE0EEENS1_30default_config_static_selectorELNS0_4arch9wavefront6targetE1EEEvSP_
		.amdhsa_group_segment_fixed_size 0
		.amdhsa_private_segment_fixed_size 0
		.amdhsa_kernarg_size 88
		.amdhsa_user_sgpr_count 6
		.amdhsa_user_sgpr_private_segment_buffer 1
		.amdhsa_user_sgpr_dispatch_ptr 0
		.amdhsa_user_sgpr_queue_ptr 0
		.amdhsa_user_sgpr_kernarg_segment_ptr 1
		.amdhsa_user_sgpr_dispatch_id 0
		.amdhsa_user_sgpr_flat_scratch_init 0
		.amdhsa_user_sgpr_kernarg_preload_length 0
		.amdhsa_user_sgpr_kernarg_preload_offset 0
		.amdhsa_user_sgpr_private_segment_size 0
		.amdhsa_uses_dynamic_stack 0
		.amdhsa_system_sgpr_private_segment_wavefront_offset 0
		.amdhsa_system_sgpr_workgroup_id_x 1
		.amdhsa_system_sgpr_workgroup_id_y 0
		.amdhsa_system_sgpr_workgroup_id_z 0
		.amdhsa_system_sgpr_workgroup_info 0
		.amdhsa_system_vgpr_workitem_id 0
		.amdhsa_next_free_vgpr 1
		.amdhsa_next_free_sgpr 0
		.amdhsa_accum_offset 4
		.amdhsa_reserve_vcc 0
		.amdhsa_reserve_flat_scratch 0
		.amdhsa_float_round_mode_32 0
		.amdhsa_float_round_mode_16_64 0
		.amdhsa_float_denorm_mode_32 3
		.amdhsa_float_denorm_mode_16_64 3
		.amdhsa_dx10_clamp 1
		.amdhsa_ieee_mode 1
		.amdhsa_fp16_overflow 0
		.amdhsa_tg_split 0
		.amdhsa_exception_fp_ieee_invalid_op 0
		.amdhsa_exception_fp_denorm_src 0
		.amdhsa_exception_fp_ieee_div_zero 0
		.amdhsa_exception_fp_ieee_overflow 0
		.amdhsa_exception_fp_ieee_underflow 0
		.amdhsa_exception_fp_ieee_inexact 0
		.amdhsa_exception_int_div_zero 0
	.end_amdhsa_kernel
	.section	.text._ZN7rocprim17ROCPRIM_400000_NS6detail17trampoline_kernelINS0_14default_configENS1_21merge_config_selectorIyNS0_10empty_typeEEEZNS1_10merge_implIS3_N6thrust23THRUST_200600_302600_NS6detail15normal_iteratorINS9_10device_ptrIKyEEEESF_NSB_INSC_IyEEEEPS5_SI_SI_NS9_4lessIyEEEE10hipError_tPvRmT0_T1_T2_T3_T4_T5_mmT6_P12ihipStream_tbEUlT_E0_NS1_11comp_targetILNS1_3genE9ELNS1_11target_archE1100ELNS1_3gpuE3ELNS1_3repE0EEENS1_30default_config_static_selectorELNS0_4arch9wavefront6targetE1EEEvSP_,"axG",@progbits,_ZN7rocprim17ROCPRIM_400000_NS6detail17trampoline_kernelINS0_14default_configENS1_21merge_config_selectorIyNS0_10empty_typeEEEZNS1_10merge_implIS3_N6thrust23THRUST_200600_302600_NS6detail15normal_iteratorINS9_10device_ptrIKyEEEESF_NSB_INSC_IyEEEEPS5_SI_SI_NS9_4lessIyEEEE10hipError_tPvRmT0_T1_T2_T3_T4_T5_mmT6_P12ihipStream_tbEUlT_E0_NS1_11comp_targetILNS1_3genE9ELNS1_11target_archE1100ELNS1_3gpuE3ELNS1_3repE0EEENS1_30default_config_static_selectorELNS0_4arch9wavefront6targetE1EEEvSP_,comdat
.Lfunc_end112:
	.size	_ZN7rocprim17ROCPRIM_400000_NS6detail17trampoline_kernelINS0_14default_configENS1_21merge_config_selectorIyNS0_10empty_typeEEEZNS1_10merge_implIS3_N6thrust23THRUST_200600_302600_NS6detail15normal_iteratorINS9_10device_ptrIKyEEEESF_NSB_INSC_IyEEEEPS5_SI_SI_NS9_4lessIyEEEE10hipError_tPvRmT0_T1_T2_T3_T4_T5_mmT6_P12ihipStream_tbEUlT_E0_NS1_11comp_targetILNS1_3genE9ELNS1_11target_archE1100ELNS1_3gpuE3ELNS1_3repE0EEENS1_30default_config_static_selectorELNS0_4arch9wavefront6targetE1EEEvSP_, .Lfunc_end112-_ZN7rocprim17ROCPRIM_400000_NS6detail17trampoline_kernelINS0_14default_configENS1_21merge_config_selectorIyNS0_10empty_typeEEEZNS1_10merge_implIS3_N6thrust23THRUST_200600_302600_NS6detail15normal_iteratorINS9_10device_ptrIKyEEEESF_NSB_INSC_IyEEEEPS5_SI_SI_NS9_4lessIyEEEE10hipError_tPvRmT0_T1_T2_T3_T4_T5_mmT6_P12ihipStream_tbEUlT_E0_NS1_11comp_targetILNS1_3genE9ELNS1_11target_archE1100ELNS1_3gpuE3ELNS1_3repE0EEENS1_30default_config_static_selectorELNS0_4arch9wavefront6targetE1EEEvSP_
                                        ; -- End function
	.section	.AMDGPU.csdata,"",@progbits
; Kernel info:
; codeLenInByte = 0
; NumSgprs: 4
; NumVgprs: 0
; NumAgprs: 0
; TotalNumVgprs: 0
; ScratchSize: 0
; MemoryBound: 0
; FloatMode: 240
; IeeeMode: 1
; LDSByteSize: 0 bytes/workgroup (compile time only)
; SGPRBlocks: 0
; VGPRBlocks: 0
; NumSGPRsForWavesPerEU: 4
; NumVGPRsForWavesPerEU: 1
; AccumOffset: 4
; Occupancy: 8
; WaveLimiterHint : 0
; COMPUTE_PGM_RSRC2:SCRATCH_EN: 0
; COMPUTE_PGM_RSRC2:USER_SGPR: 6
; COMPUTE_PGM_RSRC2:TRAP_HANDLER: 0
; COMPUTE_PGM_RSRC2:TGID_X_EN: 1
; COMPUTE_PGM_RSRC2:TGID_Y_EN: 0
; COMPUTE_PGM_RSRC2:TGID_Z_EN: 0
; COMPUTE_PGM_RSRC2:TIDIG_COMP_CNT: 0
; COMPUTE_PGM_RSRC3_GFX90A:ACCUM_OFFSET: 0
; COMPUTE_PGM_RSRC3_GFX90A:TG_SPLIT: 0
	.section	.text._ZN7rocprim17ROCPRIM_400000_NS6detail17trampoline_kernelINS0_14default_configENS1_21merge_config_selectorIyNS0_10empty_typeEEEZNS1_10merge_implIS3_N6thrust23THRUST_200600_302600_NS6detail15normal_iteratorINS9_10device_ptrIKyEEEESF_NSB_INSC_IyEEEEPS5_SI_SI_NS9_4lessIyEEEE10hipError_tPvRmT0_T1_T2_T3_T4_T5_mmT6_P12ihipStream_tbEUlT_E0_NS1_11comp_targetILNS1_3genE8ELNS1_11target_archE1030ELNS1_3gpuE2ELNS1_3repE0EEENS1_30default_config_static_selectorELNS0_4arch9wavefront6targetE1EEEvSP_,"axG",@progbits,_ZN7rocprim17ROCPRIM_400000_NS6detail17trampoline_kernelINS0_14default_configENS1_21merge_config_selectorIyNS0_10empty_typeEEEZNS1_10merge_implIS3_N6thrust23THRUST_200600_302600_NS6detail15normal_iteratorINS9_10device_ptrIKyEEEESF_NSB_INSC_IyEEEEPS5_SI_SI_NS9_4lessIyEEEE10hipError_tPvRmT0_T1_T2_T3_T4_T5_mmT6_P12ihipStream_tbEUlT_E0_NS1_11comp_targetILNS1_3genE8ELNS1_11target_archE1030ELNS1_3gpuE2ELNS1_3repE0EEENS1_30default_config_static_selectorELNS0_4arch9wavefront6targetE1EEEvSP_,comdat
	.protected	_ZN7rocprim17ROCPRIM_400000_NS6detail17trampoline_kernelINS0_14default_configENS1_21merge_config_selectorIyNS0_10empty_typeEEEZNS1_10merge_implIS3_N6thrust23THRUST_200600_302600_NS6detail15normal_iteratorINS9_10device_ptrIKyEEEESF_NSB_INSC_IyEEEEPS5_SI_SI_NS9_4lessIyEEEE10hipError_tPvRmT0_T1_T2_T3_T4_T5_mmT6_P12ihipStream_tbEUlT_E0_NS1_11comp_targetILNS1_3genE8ELNS1_11target_archE1030ELNS1_3gpuE2ELNS1_3repE0EEENS1_30default_config_static_selectorELNS0_4arch9wavefront6targetE1EEEvSP_ ; -- Begin function _ZN7rocprim17ROCPRIM_400000_NS6detail17trampoline_kernelINS0_14default_configENS1_21merge_config_selectorIyNS0_10empty_typeEEEZNS1_10merge_implIS3_N6thrust23THRUST_200600_302600_NS6detail15normal_iteratorINS9_10device_ptrIKyEEEESF_NSB_INSC_IyEEEEPS5_SI_SI_NS9_4lessIyEEEE10hipError_tPvRmT0_T1_T2_T3_T4_T5_mmT6_P12ihipStream_tbEUlT_E0_NS1_11comp_targetILNS1_3genE8ELNS1_11target_archE1030ELNS1_3gpuE2ELNS1_3repE0EEENS1_30default_config_static_selectorELNS0_4arch9wavefront6targetE1EEEvSP_
	.globl	_ZN7rocprim17ROCPRIM_400000_NS6detail17trampoline_kernelINS0_14default_configENS1_21merge_config_selectorIyNS0_10empty_typeEEEZNS1_10merge_implIS3_N6thrust23THRUST_200600_302600_NS6detail15normal_iteratorINS9_10device_ptrIKyEEEESF_NSB_INSC_IyEEEEPS5_SI_SI_NS9_4lessIyEEEE10hipError_tPvRmT0_T1_T2_T3_T4_T5_mmT6_P12ihipStream_tbEUlT_E0_NS1_11comp_targetILNS1_3genE8ELNS1_11target_archE1030ELNS1_3gpuE2ELNS1_3repE0EEENS1_30default_config_static_selectorELNS0_4arch9wavefront6targetE1EEEvSP_
	.p2align	8
	.type	_ZN7rocprim17ROCPRIM_400000_NS6detail17trampoline_kernelINS0_14default_configENS1_21merge_config_selectorIyNS0_10empty_typeEEEZNS1_10merge_implIS3_N6thrust23THRUST_200600_302600_NS6detail15normal_iteratorINS9_10device_ptrIKyEEEESF_NSB_INSC_IyEEEEPS5_SI_SI_NS9_4lessIyEEEE10hipError_tPvRmT0_T1_T2_T3_T4_T5_mmT6_P12ihipStream_tbEUlT_E0_NS1_11comp_targetILNS1_3genE8ELNS1_11target_archE1030ELNS1_3gpuE2ELNS1_3repE0EEENS1_30default_config_static_selectorELNS0_4arch9wavefront6targetE1EEEvSP_,@function
_ZN7rocprim17ROCPRIM_400000_NS6detail17trampoline_kernelINS0_14default_configENS1_21merge_config_selectorIyNS0_10empty_typeEEEZNS1_10merge_implIS3_N6thrust23THRUST_200600_302600_NS6detail15normal_iteratorINS9_10device_ptrIKyEEEESF_NSB_INSC_IyEEEEPS5_SI_SI_NS9_4lessIyEEEE10hipError_tPvRmT0_T1_T2_T3_T4_T5_mmT6_P12ihipStream_tbEUlT_E0_NS1_11comp_targetILNS1_3genE8ELNS1_11target_archE1030ELNS1_3gpuE2ELNS1_3repE0EEENS1_30default_config_static_selectorELNS0_4arch9wavefront6targetE1EEEvSP_: ; @_ZN7rocprim17ROCPRIM_400000_NS6detail17trampoline_kernelINS0_14default_configENS1_21merge_config_selectorIyNS0_10empty_typeEEEZNS1_10merge_implIS3_N6thrust23THRUST_200600_302600_NS6detail15normal_iteratorINS9_10device_ptrIKyEEEESF_NSB_INSC_IyEEEEPS5_SI_SI_NS9_4lessIyEEEE10hipError_tPvRmT0_T1_T2_T3_T4_T5_mmT6_P12ihipStream_tbEUlT_E0_NS1_11comp_targetILNS1_3genE8ELNS1_11target_archE1030ELNS1_3gpuE2ELNS1_3repE0EEENS1_30default_config_static_selectorELNS0_4arch9wavefront6targetE1EEEvSP_
; %bb.0:
	.section	.rodata,"a",@progbits
	.p2align	6, 0x0
	.amdhsa_kernel _ZN7rocprim17ROCPRIM_400000_NS6detail17trampoline_kernelINS0_14default_configENS1_21merge_config_selectorIyNS0_10empty_typeEEEZNS1_10merge_implIS3_N6thrust23THRUST_200600_302600_NS6detail15normal_iteratorINS9_10device_ptrIKyEEEESF_NSB_INSC_IyEEEEPS5_SI_SI_NS9_4lessIyEEEE10hipError_tPvRmT0_T1_T2_T3_T4_T5_mmT6_P12ihipStream_tbEUlT_E0_NS1_11comp_targetILNS1_3genE8ELNS1_11target_archE1030ELNS1_3gpuE2ELNS1_3repE0EEENS1_30default_config_static_selectorELNS0_4arch9wavefront6targetE1EEEvSP_
		.amdhsa_group_segment_fixed_size 0
		.amdhsa_private_segment_fixed_size 0
		.amdhsa_kernarg_size 88
		.amdhsa_user_sgpr_count 6
		.amdhsa_user_sgpr_private_segment_buffer 1
		.amdhsa_user_sgpr_dispatch_ptr 0
		.amdhsa_user_sgpr_queue_ptr 0
		.amdhsa_user_sgpr_kernarg_segment_ptr 1
		.amdhsa_user_sgpr_dispatch_id 0
		.amdhsa_user_sgpr_flat_scratch_init 0
		.amdhsa_user_sgpr_kernarg_preload_length 0
		.amdhsa_user_sgpr_kernarg_preload_offset 0
		.amdhsa_user_sgpr_private_segment_size 0
		.amdhsa_uses_dynamic_stack 0
		.amdhsa_system_sgpr_private_segment_wavefront_offset 0
		.amdhsa_system_sgpr_workgroup_id_x 1
		.amdhsa_system_sgpr_workgroup_id_y 0
		.amdhsa_system_sgpr_workgroup_id_z 0
		.amdhsa_system_sgpr_workgroup_info 0
		.amdhsa_system_vgpr_workitem_id 0
		.amdhsa_next_free_vgpr 1
		.amdhsa_next_free_sgpr 0
		.amdhsa_accum_offset 4
		.amdhsa_reserve_vcc 0
		.amdhsa_reserve_flat_scratch 0
		.amdhsa_float_round_mode_32 0
		.amdhsa_float_round_mode_16_64 0
		.amdhsa_float_denorm_mode_32 3
		.amdhsa_float_denorm_mode_16_64 3
		.amdhsa_dx10_clamp 1
		.amdhsa_ieee_mode 1
		.amdhsa_fp16_overflow 0
		.amdhsa_tg_split 0
		.amdhsa_exception_fp_ieee_invalid_op 0
		.amdhsa_exception_fp_denorm_src 0
		.amdhsa_exception_fp_ieee_div_zero 0
		.amdhsa_exception_fp_ieee_overflow 0
		.amdhsa_exception_fp_ieee_underflow 0
		.amdhsa_exception_fp_ieee_inexact 0
		.amdhsa_exception_int_div_zero 0
	.end_amdhsa_kernel
	.section	.text._ZN7rocprim17ROCPRIM_400000_NS6detail17trampoline_kernelINS0_14default_configENS1_21merge_config_selectorIyNS0_10empty_typeEEEZNS1_10merge_implIS3_N6thrust23THRUST_200600_302600_NS6detail15normal_iteratorINS9_10device_ptrIKyEEEESF_NSB_INSC_IyEEEEPS5_SI_SI_NS9_4lessIyEEEE10hipError_tPvRmT0_T1_T2_T3_T4_T5_mmT6_P12ihipStream_tbEUlT_E0_NS1_11comp_targetILNS1_3genE8ELNS1_11target_archE1030ELNS1_3gpuE2ELNS1_3repE0EEENS1_30default_config_static_selectorELNS0_4arch9wavefront6targetE1EEEvSP_,"axG",@progbits,_ZN7rocprim17ROCPRIM_400000_NS6detail17trampoline_kernelINS0_14default_configENS1_21merge_config_selectorIyNS0_10empty_typeEEEZNS1_10merge_implIS3_N6thrust23THRUST_200600_302600_NS6detail15normal_iteratorINS9_10device_ptrIKyEEEESF_NSB_INSC_IyEEEEPS5_SI_SI_NS9_4lessIyEEEE10hipError_tPvRmT0_T1_T2_T3_T4_T5_mmT6_P12ihipStream_tbEUlT_E0_NS1_11comp_targetILNS1_3genE8ELNS1_11target_archE1030ELNS1_3gpuE2ELNS1_3repE0EEENS1_30default_config_static_selectorELNS0_4arch9wavefront6targetE1EEEvSP_,comdat
.Lfunc_end113:
	.size	_ZN7rocprim17ROCPRIM_400000_NS6detail17trampoline_kernelINS0_14default_configENS1_21merge_config_selectorIyNS0_10empty_typeEEEZNS1_10merge_implIS3_N6thrust23THRUST_200600_302600_NS6detail15normal_iteratorINS9_10device_ptrIKyEEEESF_NSB_INSC_IyEEEEPS5_SI_SI_NS9_4lessIyEEEE10hipError_tPvRmT0_T1_T2_T3_T4_T5_mmT6_P12ihipStream_tbEUlT_E0_NS1_11comp_targetILNS1_3genE8ELNS1_11target_archE1030ELNS1_3gpuE2ELNS1_3repE0EEENS1_30default_config_static_selectorELNS0_4arch9wavefront6targetE1EEEvSP_, .Lfunc_end113-_ZN7rocprim17ROCPRIM_400000_NS6detail17trampoline_kernelINS0_14default_configENS1_21merge_config_selectorIyNS0_10empty_typeEEEZNS1_10merge_implIS3_N6thrust23THRUST_200600_302600_NS6detail15normal_iteratorINS9_10device_ptrIKyEEEESF_NSB_INSC_IyEEEEPS5_SI_SI_NS9_4lessIyEEEE10hipError_tPvRmT0_T1_T2_T3_T4_T5_mmT6_P12ihipStream_tbEUlT_E0_NS1_11comp_targetILNS1_3genE8ELNS1_11target_archE1030ELNS1_3gpuE2ELNS1_3repE0EEENS1_30default_config_static_selectorELNS0_4arch9wavefront6targetE1EEEvSP_
                                        ; -- End function
	.section	.AMDGPU.csdata,"",@progbits
; Kernel info:
; codeLenInByte = 0
; NumSgprs: 4
; NumVgprs: 0
; NumAgprs: 0
; TotalNumVgprs: 0
; ScratchSize: 0
; MemoryBound: 0
; FloatMode: 240
; IeeeMode: 1
; LDSByteSize: 0 bytes/workgroup (compile time only)
; SGPRBlocks: 0
; VGPRBlocks: 0
; NumSGPRsForWavesPerEU: 4
; NumVGPRsForWavesPerEU: 1
; AccumOffset: 4
; Occupancy: 8
; WaveLimiterHint : 0
; COMPUTE_PGM_RSRC2:SCRATCH_EN: 0
; COMPUTE_PGM_RSRC2:USER_SGPR: 6
; COMPUTE_PGM_RSRC2:TRAP_HANDLER: 0
; COMPUTE_PGM_RSRC2:TGID_X_EN: 1
; COMPUTE_PGM_RSRC2:TGID_Y_EN: 0
; COMPUTE_PGM_RSRC2:TGID_Z_EN: 0
; COMPUTE_PGM_RSRC2:TIDIG_COMP_CNT: 0
; COMPUTE_PGM_RSRC3_GFX90A:ACCUM_OFFSET: 0
; COMPUTE_PGM_RSRC3_GFX90A:TG_SPLIT: 0
	.section	.text._ZN7rocprim17ROCPRIM_400000_NS6detail17trampoline_kernelINS0_14default_configENS1_22reduce_config_selectorIN6thrust23THRUST_200600_302600_NS5tupleIblNS6_9null_typeES8_S8_S8_S8_S8_S8_S8_EEEEZNS1_11reduce_implILb1ES3_NS6_12zip_iteratorINS7_INS6_11hip_rocprim26transform_input_iterator_tIbNSD_35transform_pair_of_input_iterators_tIbNS6_6detail15normal_iteratorINS6_10device_ptrIKyEEEESL_NS6_8equal_toIyEEEENSG_9not_fun_tINSD_8identityEEEEENSD_19counting_iterator_tIlEES8_S8_S8_S8_S8_S8_S8_S8_EEEEPS9_S9_NSD_9__find_if7functorIS9_EEEE10hipError_tPvRmT1_T2_T3_mT4_P12ihipStream_tbEUlT_E0_NS1_11comp_targetILNS1_3genE0ELNS1_11target_archE4294967295ELNS1_3gpuE0ELNS1_3repE0EEENS1_30default_config_static_selectorELNS0_4arch9wavefront6targetE1EEEvS14_,"axG",@progbits,_ZN7rocprim17ROCPRIM_400000_NS6detail17trampoline_kernelINS0_14default_configENS1_22reduce_config_selectorIN6thrust23THRUST_200600_302600_NS5tupleIblNS6_9null_typeES8_S8_S8_S8_S8_S8_S8_EEEEZNS1_11reduce_implILb1ES3_NS6_12zip_iteratorINS7_INS6_11hip_rocprim26transform_input_iterator_tIbNSD_35transform_pair_of_input_iterators_tIbNS6_6detail15normal_iteratorINS6_10device_ptrIKyEEEESL_NS6_8equal_toIyEEEENSG_9not_fun_tINSD_8identityEEEEENSD_19counting_iterator_tIlEES8_S8_S8_S8_S8_S8_S8_S8_EEEEPS9_S9_NSD_9__find_if7functorIS9_EEEE10hipError_tPvRmT1_T2_T3_mT4_P12ihipStream_tbEUlT_E0_NS1_11comp_targetILNS1_3genE0ELNS1_11target_archE4294967295ELNS1_3gpuE0ELNS1_3repE0EEENS1_30default_config_static_selectorELNS0_4arch9wavefront6targetE1EEEvS14_,comdat
	.protected	_ZN7rocprim17ROCPRIM_400000_NS6detail17trampoline_kernelINS0_14default_configENS1_22reduce_config_selectorIN6thrust23THRUST_200600_302600_NS5tupleIblNS6_9null_typeES8_S8_S8_S8_S8_S8_S8_EEEEZNS1_11reduce_implILb1ES3_NS6_12zip_iteratorINS7_INS6_11hip_rocprim26transform_input_iterator_tIbNSD_35transform_pair_of_input_iterators_tIbNS6_6detail15normal_iteratorINS6_10device_ptrIKyEEEESL_NS6_8equal_toIyEEEENSG_9not_fun_tINSD_8identityEEEEENSD_19counting_iterator_tIlEES8_S8_S8_S8_S8_S8_S8_S8_EEEEPS9_S9_NSD_9__find_if7functorIS9_EEEE10hipError_tPvRmT1_T2_T3_mT4_P12ihipStream_tbEUlT_E0_NS1_11comp_targetILNS1_3genE0ELNS1_11target_archE4294967295ELNS1_3gpuE0ELNS1_3repE0EEENS1_30default_config_static_selectorELNS0_4arch9wavefront6targetE1EEEvS14_ ; -- Begin function _ZN7rocprim17ROCPRIM_400000_NS6detail17trampoline_kernelINS0_14default_configENS1_22reduce_config_selectorIN6thrust23THRUST_200600_302600_NS5tupleIblNS6_9null_typeES8_S8_S8_S8_S8_S8_S8_EEEEZNS1_11reduce_implILb1ES3_NS6_12zip_iteratorINS7_INS6_11hip_rocprim26transform_input_iterator_tIbNSD_35transform_pair_of_input_iterators_tIbNS6_6detail15normal_iteratorINS6_10device_ptrIKyEEEESL_NS6_8equal_toIyEEEENSG_9not_fun_tINSD_8identityEEEEENSD_19counting_iterator_tIlEES8_S8_S8_S8_S8_S8_S8_S8_EEEEPS9_S9_NSD_9__find_if7functorIS9_EEEE10hipError_tPvRmT1_T2_T3_mT4_P12ihipStream_tbEUlT_E0_NS1_11comp_targetILNS1_3genE0ELNS1_11target_archE4294967295ELNS1_3gpuE0ELNS1_3repE0EEENS1_30default_config_static_selectorELNS0_4arch9wavefront6targetE1EEEvS14_
	.globl	_ZN7rocprim17ROCPRIM_400000_NS6detail17trampoline_kernelINS0_14default_configENS1_22reduce_config_selectorIN6thrust23THRUST_200600_302600_NS5tupleIblNS6_9null_typeES8_S8_S8_S8_S8_S8_S8_EEEEZNS1_11reduce_implILb1ES3_NS6_12zip_iteratorINS7_INS6_11hip_rocprim26transform_input_iterator_tIbNSD_35transform_pair_of_input_iterators_tIbNS6_6detail15normal_iteratorINS6_10device_ptrIKyEEEESL_NS6_8equal_toIyEEEENSG_9not_fun_tINSD_8identityEEEEENSD_19counting_iterator_tIlEES8_S8_S8_S8_S8_S8_S8_S8_EEEEPS9_S9_NSD_9__find_if7functorIS9_EEEE10hipError_tPvRmT1_T2_T3_mT4_P12ihipStream_tbEUlT_E0_NS1_11comp_targetILNS1_3genE0ELNS1_11target_archE4294967295ELNS1_3gpuE0ELNS1_3repE0EEENS1_30default_config_static_selectorELNS0_4arch9wavefront6targetE1EEEvS14_
	.p2align	8
	.type	_ZN7rocprim17ROCPRIM_400000_NS6detail17trampoline_kernelINS0_14default_configENS1_22reduce_config_selectorIN6thrust23THRUST_200600_302600_NS5tupleIblNS6_9null_typeES8_S8_S8_S8_S8_S8_S8_EEEEZNS1_11reduce_implILb1ES3_NS6_12zip_iteratorINS7_INS6_11hip_rocprim26transform_input_iterator_tIbNSD_35transform_pair_of_input_iterators_tIbNS6_6detail15normal_iteratorINS6_10device_ptrIKyEEEESL_NS6_8equal_toIyEEEENSG_9not_fun_tINSD_8identityEEEEENSD_19counting_iterator_tIlEES8_S8_S8_S8_S8_S8_S8_S8_EEEEPS9_S9_NSD_9__find_if7functorIS9_EEEE10hipError_tPvRmT1_T2_T3_mT4_P12ihipStream_tbEUlT_E0_NS1_11comp_targetILNS1_3genE0ELNS1_11target_archE4294967295ELNS1_3gpuE0ELNS1_3repE0EEENS1_30default_config_static_selectorELNS0_4arch9wavefront6targetE1EEEvS14_,@function
_ZN7rocprim17ROCPRIM_400000_NS6detail17trampoline_kernelINS0_14default_configENS1_22reduce_config_selectorIN6thrust23THRUST_200600_302600_NS5tupleIblNS6_9null_typeES8_S8_S8_S8_S8_S8_S8_EEEEZNS1_11reduce_implILb1ES3_NS6_12zip_iteratorINS7_INS6_11hip_rocprim26transform_input_iterator_tIbNSD_35transform_pair_of_input_iterators_tIbNS6_6detail15normal_iteratorINS6_10device_ptrIKyEEEESL_NS6_8equal_toIyEEEENSG_9not_fun_tINSD_8identityEEEEENSD_19counting_iterator_tIlEES8_S8_S8_S8_S8_S8_S8_S8_EEEEPS9_S9_NSD_9__find_if7functorIS9_EEEE10hipError_tPvRmT1_T2_T3_mT4_P12ihipStream_tbEUlT_E0_NS1_11comp_targetILNS1_3genE0ELNS1_11target_archE4294967295ELNS1_3gpuE0ELNS1_3repE0EEENS1_30default_config_static_selectorELNS0_4arch9wavefront6targetE1EEEvS14_: ; @_ZN7rocprim17ROCPRIM_400000_NS6detail17trampoline_kernelINS0_14default_configENS1_22reduce_config_selectorIN6thrust23THRUST_200600_302600_NS5tupleIblNS6_9null_typeES8_S8_S8_S8_S8_S8_S8_EEEEZNS1_11reduce_implILb1ES3_NS6_12zip_iteratorINS7_INS6_11hip_rocprim26transform_input_iterator_tIbNSD_35transform_pair_of_input_iterators_tIbNS6_6detail15normal_iteratorINS6_10device_ptrIKyEEEESL_NS6_8equal_toIyEEEENSG_9not_fun_tINSD_8identityEEEEENSD_19counting_iterator_tIlEES8_S8_S8_S8_S8_S8_S8_S8_EEEEPS9_S9_NSD_9__find_if7functorIS9_EEEE10hipError_tPvRmT1_T2_T3_mT4_P12ihipStream_tbEUlT_E0_NS1_11comp_targetILNS1_3genE0ELNS1_11target_archE4294967295ELNS1_3gpuE0ELNS1_3repE0EEENS1_30default_config_static_selectorELNS0_4arch9wavefront6targetE1EEEvS14_
; %bb.0:
	.section	.rodata,"a",@progbits
	.p2align	6, 0x0
	.amdhsa_kernel _ZN7rocprim17ROCPRIM_400000_NS6detail17trampoline_kernelINS0_14default_configENS1_22reduce_config_selectorIN6thrust23THRUST_200600_302600_NS5tupleIblNS6_9null_typeES8_S8_S8_S8_S8_S8_S8_EEEEZNS1_11reduce_implILb1ES3_NS6_12zip_iteratorINS7_INS6_11hip_rocprim26transform_input_iterator_tIbNSD_35transform_pair_of_input_iterators_tIbNS6_6detail15normal_iteratorINS6_10device_ptrIKyEEEESL_NS6_8equal_toIyEEEENSG_9not_fun_tINSD_8identityEEEEENSD_19counting_iterator_tIlEES8_S8_S8_S8_S8_S8_S8_S8_EEEEPS9_S9_NSD_9__find_if7functorIS9_EEEE10hipError_tPvRmT1_T2_T3_mT4_P12ihipStream_tbEUlT_E0_NS1_11comp_targetILNS1_3genE0ELNS1_11target_archE4294967295ELNS1_3gpuE0ELNS1_3repE0EEENS1_30default_config_static_selectorELNS0_4arch9wavefront6targetE1EEEvS14_
		.amdhsa_group_segment_fixed_size 0
		.amdhsa_private_segment_fixed_size 0
		.amdhsa_kernarg_size 104
		.amdhsa_user_sgpr_count 6
		.amdhsa_user_sgpr_private_segment_buffer 1
		.amdhsa_user_sgpr_dispatch_ptr 0
		.amdhsa_user_sgpr_queue_ptr 0
		.amdhsa_user_sgpr_kernarg_segment_ptr 1
		.amdhsa_user_sgpr_dispatch_id 0
		.amdhsa_user_sgpr_flat_scratch_init 0
		.amdhsa_user_sgpr_kernarg_preload_length 0
		.amdhsa_user_sgpr_kernarg_preload_offset 0
		.amdhsa_user_sgpr_private_segment_size 0
		.amdhsa_uses_dynamic_stack 0
		.amdhsa_system_sgpr_private_segment_wavefront_offset 0
		.amdhsa_system_sgpr_workgroup_id_x 1
		.amdhsa_system_sgpr_workgroup_id_y 0
		.amdhsa_system_sgpr_workgroup_id_z 0
		.amdhsa_system_sgpr_workgroup_info 0
		.amdhsa_system_vgpr_workitem_id 0
		.amdhsa_next_free_vgpr 1
		.amdhsa_next_free_sgpr 0
		.amdhsa_accum_offset 4
		.amdhsa_reserve_vcc 0
		.amdhsa_reserve_flat_scratch 0
		.amdhsa_float_round_mode_32 0
		.amdhsa_float_round_mode_16_64 0
		.amdhsa_float_denorm_mode_32 3
		.amdhsa_float_denorm_mode_16_64 3
		.amdhsa_dx10_clamp 1
		.amdhsa_ieee_mode 1
		.amdhsa_fp16_overflow 0
		.amdhsa_tg_split 0
		.amdhsa_exception_fp_ieee_invalid_op 0
		.amdhsa_exception_fp_denorm_src 0
		.amdhsa_exception_fp_ieee_div_zero 0
		.amdhsa_exception_fp_ieee_overflow 0
		.amdhsa_exception_fp_ieee_underflow 0
		.amdhsa_exception_fp_ieee_inexact 0
		.amdhsa_exception_int_div_zero 0
	.end_amdhsa_kernel
	.section	.text._ZN7rocprim17ROCPRIM_400000_NS6detail17trampoline_kernelINS0_14default_configENS1_22reduce_config_selectorIN6thrust23THRUST_200600_302600_NS5tupleIblNS6_9null_typeES8_S8_S8_S8_S8_S8_S8_EEEEZNS1_11reduce_implILb1ES3_NS6_12zip_iteratorINS7_INS6_11hip_rocprim26transform_input_iterator_tIbNSD_35transform_pair_of_input_iterators_tIbNS6_6detail15normal_iteratorINS6_10device_ptrIKyEEEESL_NS6_8equal_toIyEEEENSG_9not_fun_tINSD_8identityEEEEENSD_19counting_iterator_tIlEES8_S8_S8_S8_S8_S8_S8_S8_EEEEPS9_S9_NSD_9__find_if7functorIS9_EEEE10hipError_tPvRmT1_T2_T3_mT4_P12ihipStream_tbEUlT_E0_NS1_11comp_targetILNS1_3genE0ELNS1_11target_archE4294967295ELNS1_3gpuE0ELNS1_3repE0EEENS1_30default_config_static_selectorELNS0_4arch9wavefront6targetE1EEEvS14_,"axG",@progbits,_ZN7rocprim17ROCPRIM_400000_NS6detail17trampoline_kernelINS0_14default_configENS1_22reduce_config_selectorIN6thrust23THRUST_200600_302600_NS5tupleIblNS6_9null_typeES8_S8_S8_S8_S8_S8_S8_EEEEZNS1_11reduce_implILb1ES3_NS6_12zip_iteratorINS7_INS6_11hip_rocprim26transform_input_iterator_tIbNSD_35transform_pair_of_input_iterators_tIbNS6_6detail15normal_iteratorINS6_10device_ptrIKyEEEESL_NS6_8equal_toIyEEEENSG_9not_fun_tINSD_8identityEEEEENSD_19counting_iterator_tIlEES8_S8_S8_S8_S8_S8_S8_S8_EEEEPS9_S9_NSD_9__find_if7functorIS9_EEEE10hipError_tPvRmT1_T2_T3_mT4_P12ihipStream_tbEUlT_E0_NS1_11comp_targetILNS1_3genE0ELNS1_11target_archE4294967295ELNS1_3gpuE0ELNS1_3repE0EEENS1_30default_config_static_selectorELNS0_4arch9wavefront6targetE1EEEvS14_,comdat
.Lfunc_end114:
	.size	_ZN7rocprim17ROCPRIM_400000_NS6detail17trampoline_kernelINS0_14default_configENS1_22reduce_config_selectorIN6thrust23THRUST_200600_302600_NS5tupleIblNS6_9null_typeES8_S8_S8_S8_S8_S8_S8_EEEEZNS1_11reduce_implILb1ES3_NS6_12zip_iteratorINS7_INS6_11hip_rocprim26transform_input_iterator_tIbNSD_35transform_pair_of_input_iterators_tIbNS6_6detail15normal_iteratorINS6_10device_ptrIKyEEEESL_NS6_8equal_toIyEEEENSG_9not_fun_tINSD_8identityEEEEENSD_19counting_iterator_tIlEES8_S8_S8_S8_S8_S8_S8_S8_EEEEPS9_S9_NSD_9__find_if7functorIS9_EEEE10hipError_tPvRmT1_T2_T3_mT4_P12ihipStream_tbEUlT_E0_NS1_11comp_targetILNS1_3genE0ELNS1_11target_archE4294967295ELNS1_3gpuE0ELNS1_3repE0EEENS1_30default_config_static_selectorELNS0_4arch9wavefront6targetE1EEEvS14_, .Lfunc_end114-_ZN7rocprim17ROCPRIM_400000_NS6detail17trampoline_kernelINS0_14default_configENS1_22reduce_config_selectorIN6thrust23THRUST_200600_302600_NS5tupleIblNS6_9null_typeES8_S8_S8_S8_S8_S8_S8_EEEEZNS1_11reduce_implILb1ES3_NS6_12zip_iteratorINS7_INS6_11hip_rocprim26transform_input_iterator_tIbNSD_35transform_pair_of_input_iterators_tIbNS6_6detail15normal_iteratorINS6_10device_ptrIKyEEEESL_NS6_8equal_toIyEEEENSG_9not_fun_tINSD_8identityEEEEENSD_19counting_iterator_tIlEES8_S8_S8_S8_S8_S8_S8_S8_EEEEPS9_S9_NSD_9__find_if7functorIS9_EEEE10hipError_tPvRmT1_T2_T3_mT4_P12ihipStream_tbEUlT_E0_NS1_11comp_targetILNS1_3genE0ELNS1_11target_archE4294967295ELNS1_3gpuE0ELNS1_3repE0EEENS1_30default_config_static_selectorELNS0_4arch9wavefront6targetE1EEEvS14_
                                        ; -- End function
	.section	.AMDGPU.csdata,"",@progbits
; Kernel info:
; codeLenInByte = 0
; NumSgprs: 4
; NumVgprs: 0
; NumAgprs: 0
; TotalNumVgprs: 0
; ScratchSize: 0
; MemoryBound: 0
; FloatMode: 240
; IeeeMode: 1
; LDSByteSize: 0 bytes/workgroup (compile time only)
; SGPRBlocks: 0
; VGPRBlocks: 0
; NumSGPRsForWavesPerEU: 4
; NumVGPRsForWavesPerEU: 1
; AccumOffset: 4
; Occupancy: 8
; WaveLimiterHint : 0
; COMPUTE_PGM_RSRC2:SCRATCH_EN: 0
; COMPUTE_PGM_RSRC2:USER_SGPR: 6
; COMPUTE_PGM_RSRC2:TRAP_HANDLER: 0
; COMPUTE_PGM_RSRC2:TGID_X_EN: 1
; COMPUTE_PGM_RSRC2:TGID_Y_EN: 0
; COMPUTE_PGM_RSRC2:TGID_Z_EN: 0
; COMPUTE_PGM_RSRC2:TIDIG_COMP_CNT: 0
; COMPUTE_PGM_RSRC3_GFX90A:ACCUM_OFFSET: 0
; COMPUTE_PGM_RSRC3_GFX90A:TG_SPLIT: 0
	.section	.text._ZN7rocprim17ROCPRIM_400000_NS6detail17trampoline_kernelINS0_14default_configENS1_22reduce_config_selectorIN6thrust23THRUST_200600_302600_NS5tupleIblNS6_9null_typeES8_S8_S8_S8_S8_S8_S8_EEEEZNS1_11reduce_implILb1ES3_NS6_12zip_iteratorINS7_INS6_11hip_rocprim26transform_input_iterator_tIbNSD_35transform_pair_of_input_iterators_tIbNS6_6detail15normal_iteratorINS6_10device_ptrIKyEEEESL_NS6_8equal_toIyEEEENSG_9not_fun_tINSD_8identityEEEEENSD_19counting_iterator_tIlEES8_S8_S8_S8_S8_S8_S8_S8_EEEEPS9_S9_NSD_9__find_if7functorIS9_EEEE10hipError_tPvRmT1_T2_T3_mT4_P12ihipStream_tbEUlT_E0_NS1_11comp_targetILNS1_3genE5ELNS1_11target_archE942ELNS1_3gpuE9ELNS1_3repE0EEENS1_30default_config_static_selectorELNS0_4arch9wavefront6targetE1EEEvS14_,"axG",@progbits,_ZN7rocprim17ROCPRIM_400000_NS6detail17trampoline_kernelINS0_14default_configENS1_22reduce_config_selectorIN6thrust23THRUST_200600_302600_NS5tupleIblNS6_9null_typeES8_S8_S8_S8_S8_S8_S8_EEEEZNS1_11reduce_implILb1ES3_NS6_12zip_iteratorINS7_INS6_11hip_rocprim26transform_input_iterator_tIbNSD_35transform_pair_of_input_iterators_tIbNS6_6detail15normal_iteratorINS6_10device_ptrIKyEEEESL_NS6_8equal_toIyEEEENSG_9not_fun_tINSD_8identityEEEEENSD_19counting_iterator_tIlEES8_S8_S8_S8_S8_S8_S8_S8_EEEEPS9_S9_NSD_9__find_if7functorIS9_EEEE10hipError_tPvRmT1_T2_T3_mT4_P12ihipStream_tbEUlT_E0_NS1_11comp_targetILNS1_3genE5ELNS1_11target_archE942ELNS1_3gpuE9ELNS1_3repE0EEENS1_30default_config_static_selectorELNS0_4arch9wavefront6targetE1EEEvS14_,comdat
	.protected	_ZN7rocprim17ROCPRIM_400000_NS6detail17trampoline_kernelINS0_14default_configENS1_22reduce_config_selectorIN6thrust23THRUST_200600_302600_NS5tupleIblNS6_9null_typeES8_S8_S8_S8_S8_S8_S8_EEEEZNS1_11reduce_implILb1ES3_NS6_12zip_iteratorINS7_INS6_11hip_rocprim26transform_input_iterator_tIbNSD_35transform_pair_of_input_iterators_tIbNS6_6detail15normal_iteratorINS6_10device_ptrIKyEEEESL_NS6_8equal_toIyEEEENSG_9not_fun_tINSD_8identityEEEEENSD_19counting_iterator_tIlEES8_S8_S8_S8_S8_S8_S8_S8_EEEEPS9_S9_NSD_9__find_if7functorIS9_EEEE10hipError_tPvRmT1_T2_T3_mT4_P12ihipStream_tbEUlT_E0_NS1_11comp_targetILNS1_3genE5ELNS1_11target_archE942ELNS1_3gpuE9ELNS1_3repE0EEENS1_30default_config_static_selectorELNS0_4arch9wavefront6targetE1EEEvS14_ ; -- Begin function _ZN7rocprim17ROCPRIM_400000_NS6detail17trampoline_kernelINS0_14default_configENS1_22reduce_config_selectorIN6thrust23THRUST_200600_302600_NS5tupleIblNS6_9null_typeES8_S8_S8_S8_S8_S8_S8_EEEEZNS1_11reduce_implILb1ES3_NS6_12zip_iteratorINS7_INS6_11hip_rocprim26transform_input_iterator_tIbNSD_35transform_pair_of_input_iterators_tIbNS6_6detail15normal_iteratorINS6_10device_ptrIKyEEEESL_NS6_8equal_toIyEEEENSG_9not_fun_tINSD_8identityEEEEENSD_19counting_iterator_tIlEES8_S8_S8_S8_S8_S8_S8_S8_EEEEPS9_S9_NSD_9__find_if7functorIS9_EEEE10hipError_tPvRmT1_T2_T3_mT4_P12ihipStream_tbEUlT_E0_NS1_11comp_targetILNS1_3genE5ELNS1_11target_archE942ELNS1_3gpuE9ELNS1_3repE0EEENS1_30default_config_static_selectorELNS0_4arch9wavefront6targetE1EEEvS14_
	.globl	_ZN7rocprim17ROCPRIM_400000_NS6detail17trampoline_kernelINS0_14default_configENS1_22reduce_config_selectorIN6thrust23THRUST_200600_302600_NS5tupleIblNS6_9null_typeES8_S8_S8_S8_S8_S8_S8_EEEEZNS1_11reduce_implILb1ES3_NS6_12zip_iteratorINS7_INS6_11hip_rocprim26transform_input_iterator_tIbNSD_35transform_pair_of_input_iterators_tIbNS6_6detail15normal_iteratorINS6_10device_ptrIKyEEEESL_NS6_8equal_toIyEEEENSG_9not_fun_tINSD_8identityEEEEENSD_19counting_iterator_tIlEES8_S8_S8_S8_S8_S8_S8_S8_EEEEPS9_S9_NSD_9__find_if7functorIS9_EEEE10hipError_tPvRmT1_T2_T3_mT4_P12ihipStream_tbEUlT_E0_NS1_11comp_targetILNS1_3genE5ELNS1_11target_archE942ELNS1_3gpuE9ELNS1_3repE0EEENS1_30default_config_static_selectorELNS0_4arch9wavefront6targetE1EEEvS14_
	.p2align	8
	.type	_ZN7rocprim17ROCPRIM_400000_NS6detail17trampoline_kernelINS0_14default_configENS1_22reduce_config_selectorIN6thrust23THRUST_200600_302600_NS5tupleIblNS6_9null_typeES8_S8_S8_S8_S8_S8_S8_EEEEZNS1_11reduce_implILb1ES3_NS6_12zip_iteratorINS7_INS6_11hip_rocprim26transform_input_iterator_tIbNSD_35transform_pair_of_input_iterators_tIbNS6_6detail15normal_iteratorINS6_10device_ptrIKyEEEESL_NS6_8equal_toIyEEEENSG_9not_fun_tINSD_8identityEEEEENSD_19counting_iterator_tIlEES8_S8_S8_S8_S8_S8_S8_S8_EEEEPS9_S9_NSD_9__find_if7functorIS9_EEEE10hipError_tPvRmT1_T2_T3_mT4_P12ihipStream_tbEUlT_E0_NS1_11comp_targetILNS1_3genE5ELNS1_11target_archE942ELNS1_3gpuE9ELNS1_3repE0EEENS1_30default_config_static_selectorELNS0_4arch9wavefront6targetE1EEEvS14_,@function
_ZN7rocprim17ROCPRIM_400000_NS6detail17trampoline_kernelINS0_14default_configENS1_22reduce_config_selectorIN6thrust23THRUST_200600_302600_NS5tupleIblNS6_9null_typeES8_S8_S8_S8_S8_S8_S8_EEEEZNS1_11reduce_implILb1ES3_NS6_12zip_iteratorINS7_INS6_11hip_rocprim26transform_input_iterator_tIbNSD_35transform_pair_of_input_iterators_tIbNS6_6detail15normal_iteratorINS6_10device_ptrIKyEEEESL_NS6_8equal_toIyEEEENSG_9not_fun_tINSD_8identityEEEEENSD_19counting_iterator_tIlEES8_S8_S8_S8_S8_S8_S8_S8_EEEEPS9_S9_NSD_9__find_if7functorIS9_EEEE10hipError_tPvRmT1_T2_T3_mT4_P12ihipStream_tbEUlT_E0_NS1_11comp_targetILNS1_3genE5ELNS1_11target_archE942ELNS1_3gpuE9ELNS1_3repE0EEENS1_30default_config_static_selectorELNS0_4arch9wavefront6targetE1EEEvS14_: ; @_ZN7rocprim17ROCPRIM_400000_NS6detail17trampoline_kernelINS0_14default_configENS1_22reduce_config_selectorIN6thrust23THRUST_200600_302600_NS5tupleIblNS6_9null_typeES8_S8_S8_S8_S8_S8_S8_EEEEZNS1_11reduce_implILb1ES3_NS6_12zip_iteratorINS7_INS6_11hip_rocprim26transform_input_iterator_tIbNSD_35transform_pair_of_input_iterators_tIbNS6_6detail15normal_iteratorINS6_10device_ptrIKyEEEESL_NS6_8equal_toIyEEEENSG_9not_fun_tINSD_8identityEEEEENSD_19counting_iterator_tIlEES8_S8_S8_S8_S8_S8_S8_S8_EEEEPS9_S9_NSD_9__find_if7functorIS9_EEEE10hipError_tPvRmT1_T2_T3_mT4_P12ihipStream_tbEUlT_E0_NS1_11comp_targetILNS1_3genE5ELNS1_11target_archE942ELNS1_3gpuE9ELNS1_3repE0EEENS1_30default_config_static_selectorELNS0_4arch9wavefront6targetE1EEEvS14_
; %bb.0:
	.section	.rodata,"a",@progbits
	.p2align	6, 0x0
	.amdhsa_kernel _ZN7rocprim17ROCPRIM_400000_NS6detail17trampoline_kernelINS0_14default_configENS1_22reduce_config_selectorIN6thrust23THRUST_200600_302600_NS5tupleIblNS6_9null_typeES8_S8_S8_S8_S8_S8_S8_EEEEZNS1_11reduce_implILb1ES3_NS6_12zip_iteratorINS7_INS6_11hip_rocprim26transform_input_iterator_tIbNSD_35transform_pair_of_input_iterators_tIbNS6_6detail15normal_iteratorINS6_10device_ptrIKyEEEESL_NS6_8equal_toIyEEEENSG_9not_fun_tINSD_8identityEEEEENSD_19counting_iterator_tIlEES8_S8_S8_S8_S8_S8_S8_S8_EEEEPS9_S9_NSD_9__find_if7functorIS9_EEEE10hipError_tPvRmT1_T2_T3_mT4_P12ihipStream_tbEUlT_E0_NS1_11comp_targetILNS1_3genE5ELNS1_11target_archE942ELNS1_3gpuE9ELNS1_3repE0EEENS1_30default_config_static_selectorELNS0_4arch9wavefront6targetE1EEEvS14_
		.amdhsa_group_segment_fixed_size 0
		.amdhsa_private_segment_fixed_size 0
		.amdhsa_kernarg_size 104
		.amdhsa_user_sgpr_count 6
		.amdhsa_user_sgpr_private_segment_buffer 1
		.amdhsa_user_sgpr_dispatch_ptr 0
		.amdhsa_user_sgpr_queue_ptr 0
		.amdhsa_user_sgpr_kernarg_segment_ptr 1
		.amdhsa_user_sgpr_dispatch_id 0
		.amdhsa_user_sgpr_flat_scratch_init 0
		.amdhsa_user_sgpr_kernarg_preload_length 0
		.amdhsa_user_sgpr_kernarg_preload_offset 0
		.amdhsa_user_sgpr_private_segment_size 0
		.amdhsa_uses_dynamic_stack 0
		.amdhsa_system_sgpr_private_segment_wavefront_offset 0
		.amdhsa_system_sgpr_workgroup_id_x 1
		.amdhsa_system_sgpr_workgroup_id_y 0
		.amdhsa_system_sgpr_workgroup_id_z 0
		.amdhsa_system_sgpr_workgroup_info 0
		.amdhsa_system_vgpr_workitem_id 0
		.amdhsa_next_free_vgpr 1
		.amdhsa_next_free_sgpr 0
		.amdhsa_accum_offset 4
		.amdhsa_reserve_vcc 0
		.amdhsa_reserve_flat_scratch 0
		.amdhsa_float_round_mode_32 0
		.amdhsa_float_round_mode_16_64 0
		.amdhsa_float_denorm_mode_32 3
		.amdhsa_float_denorm_mode_16_64 3
		.amdhsa_dx10_clamp 1
		.amdhsa_ieee_mode 1
		.amdhsa_fp16_overflow 0
		.amdhsa_tg_split 0
		.amdhsa_exception_fp_ieee_invalid_op 0
		.amdhsa_exception_fp_denorm_src 0
		.amdhsa_exception_fp_ieee_div_zero 0
		.amdhsa_exception_fp_ieee_overflow 0
		.amdhsa_exception_fp_ieee_underflow 0
		.amdhsa_exception_fp_ieee_inexact 0
		.amdhsa_exception_int_div_zero 0
	.end_amdhsa_kernel
	.section	.text._ZN7rocprim17ROCPRIM_400000_NS6detail17trampoline_kernelINS0_14default_configENS1_22reduce_config_selectorIN6thrust23THRUST_200600_302600_NS5tupleIblNS6_9null_typeES8_S8_S8_S8_S8_S8_S8_EEEEZNS1_11reduce_implILb1ES3_NS6_12zip_iteratorINS7_INS6_11hip_rocprim26transform_input_iterator_tIbNSD_35transform_pair_of_input_iterators_tIbNS6_6detail15normal_iteratorINS6_10device_ptrIKyEEEESL_NS6_8equal_toIyEEEENSG_9not_fun_tINSD_8identityEEEEENSD_19counting_iterator_tIlEES8_S8_S8_S8_S8_S8_S8_S8_EEEEPS9_S9_NSD_9__find_if7functorIS9_EEEE10hipError_tPvRmT1_T2_T3_mT4_P12ihipStream_tbEUlT_E0_NS1_11comp_targetILNS1_3genE5ELNS1_11target_archE942ELNS1_3gpuE9ELNS1_3repE0EEENS1_30default_config_static_selectorELNS0_4arch9wavefront6targetE1EEEvS14_,"axG",@progbits,_ZN7rocprim17ROCPRIM_400000_NS6detail17trampoline_kernelINS0_14default_configENS1_22reduce_config_selectorIN6thrust23THRUST_200600_302600_NS5tupleIblNS6_9null_typeES8_S8_S8_S8_S8_S8_S8_EEEEZNS1_11reduce_implILb1ES3_NS6_12zip_iteratorINS7_INS6_11hip_rocprim26transform_input_iterator_tIbNSD_35transform_pair_of_input_iterators_tIbNS6_6detail15normal_iteratorINS6_10device_ptrIKyEEEESL_NS6_8equal_toIyEEEENSG_9not_fun_tINSD_8identityEEEEENSD_19counting_iterator_tIlEES8_S8_S8_S8_S8_S8_S8_S8_EEEEPS9_S9_NSD_9__find_if7functorIS9_EEEE10hipError_tPvRmT1_T2_T3_mT4_P12ihipStream_tbEUlT_E0_NS1_11comp_targetILNS1_3genE5ELNS1_11target_archE942ELNS1_3gpuE9ELNS1_3repE0EEENS1_30default_config_static_selectorELNS0_4arch9wavefront6targetE1EEEvS14_,comdat
.Lfunc_end115:
	.size	_ZN7rocprim17ROCPRIM_400000_NS6detail17trampoline_kernelINS0_14default_configENS1_22reduce_config_selectorIN6thrust23THRUST_200600_302600_NS5tupleIblNS6_9null_typeES8_S8_S8_S8_S8_S8_S8_EEEEZNS1_11reduce_implILb1ES3_NS6_12zip_iteratorINS7_INS6_11hip_rocprim26transform_input_iterator_tIbNSD_35transform_pair_of_input_iterators_tIbNS6_6detail15normal_iteratorINS6_10device_ptrIKyEEEESL_NS6_8equal_toIyEEEENSG_9not_fun_tINSD_8identityEEEEENSD_19counting_iterator_tIlEES8_S8_S8_S8_S8_S8_S8_S8_EEEEPS9_S9_NSD_9__find_if7functorIS9_EEEE10hipError_tPvRmT1_T2_T3_mT4_P12ihipStream_tbEUlT_E0_NS1_11comp_targetILNS1_3genE5ELNS1_11target_archE942ELNS1_3gpuE9ELNS1_3repE0EEENS1_30default_config_static_selectorELNS0_4arch9wavefront6targetE1EEEvS14_, .Lfunc_end115-_ZN7rocprim17ROCPRIM_400000_NS6detail17trampoline_kernelINS0_14default_configENS1_22reduce_config_selectorIN6thrust23THRUST_200600_302600_NS5tupleIblNS6_9null_typeES8_S8_S8_S8_S8_S8_S8_EEEEZNS1_11reduce_implILb1ES3_NS6_12zip_iteratorINS7_INS6_11hip_rocprim26transform_input_iterator_tIbNSD_35transform_pair_of_input_iterators_tIbNS6_6detail15normal_iteratorINS6_10device_ptrIKyEEEESL_NS6_8equal_toIyEEEENSG_9not_fun_tINSD_8identityEEEEENSD_19counting_iterator_tIlEES8_S8_S8_S8_S8_S8_S8_S8_EEEEPS9_S9_NSD_9__find_if7functorIS9_EEEE10hipError_tPvRmT1_T2_T3_mT4_P12ihipStream_tbEUlT_E0_NS1_11comp_targetILNS1_3genE5ELNS1_11target_archE942ELNS1_3gpuE9ELNS1_3repE0EEENS1_30default_config_static_selectorELNS0_4arch9wavefront6targetE1EEEvS14_
                                        ; -- End function
	.section	.AMDGPU.csdata,"",@progbits
; Kernel info:
; codeLenInByte = 0
; NumSgprs: 4
; NumVgprs: 0
; NumAgprs: 0
; TotalNumVgprs: 0
; ScratchSize: 0
; MemoryBound: 0
; FloatMode: 240
; IeeeMode: 1
; LDSByteSize: 0 bytes/workgroup (compile time only)
; SGPRBlocks: 0
; VGPRBlocks: 0
; NumSGPRsForWavesPerEU: 4
; NumVGPRsForWavesPerEU: 1
; AccumOffset: 4
; Occupancy: 8
; WaveLimiterHint : 0
; COMPUTE_PGM_RSRC2:SCRATCH_EN: 0
; COMPUTE_PGM_RSRC2:USER_SGPR: 6
; COMPUTE_PGM_RSRC2:TRAP_HANDLER: 0
; COMPUTE_PGM_RSRC2:TGID_X_EN: 1
; COMPUTE_PGM_RSRC2:TGID_Y_EN: 0
; COMPUTE_PGM_RSRC2:TGID_Z_EN: 0
; COMPUTE_PGM_RSRC2:TIDIG_COMP_CNT: 0
; COMPUTE_PGM_RSRC3_GFX90A:ACCUM_OFFSET: 0
; COMPUTE_PGM_RSRC3_GFX90A:TG_SPLIT: 0
	.section	.text._ZN7rocprim17ROCPRIM_400000_NS6detail17trampoline_kernelINS0_14default_configENS1_22reduce_config_selectorIN6thrust23THRUST_200600_302600_NS5tupleIblNS6_9null_typeES8_S8_S8_S8_S8_S8_S8_EEEEZNS1_11reduce_implILb1ES3_NS6_12zip_iteratorINS7_INS6_11hip_rocprim26transform_input_iterator_tIbNSD_35transform_pair_of_input_iterators_tIbNS6_6detail15normal_iteratorINS6_10device_ptrIKyEEEESL_NS6_8equal_toIyEEEENSG_9not_fun_tINSD_8identityEEEEENSD_19counting_iterator_tIlEES8_S8_S8_S8_S8_S8_S8_S8_EEEEPS9_S9_NSD_9__find_if7functorIS9_EEEE10hipError_tPvRmT1_T2_T3_mT4_P12ihipStream_tbEUlT_E0_NS1_11comp_targetILNS1_3genE4ELNS1_11target_archE910ELNS1_3gpuE8ELNS1_3repE0EEENS1_30default_config_static_selectorELNS0_4arch9wavefront6targetE1EEEvS14_,"axG",@progbits,_ZN7rocprim17ROCPRIM_400000_NS6detail17trampoline_kernelINS0_14default_configENS1_22reduce_config_selectorIN6thrust23THRUST_200600_302600_NS5tupleIblNS6_9null_typeES8_S8_S8_S8_S8_S8_S8_EEEEZNS1_11reduce_implILb1ES3_NS6_12zip_iteratorINS7_INS6_11hip_rocprim26transform_input_iterator_tIbNSD_35transform_pair_of_input_iterators_tIbNS6_6detail15normal_iteratorINS6_10device_ptrIKyEEEESL_NS6_8equal_toIyEEEENSG_9not_fun_tINSD_8identityEEEEENSD_19counting_iterator_tIlEES8_S8_S8_S8_S8_S8_S8_S8_EEEEPS9_S9_NSD_9__find_if7functorIS9_EEEE10hipError_tPvRmT1_T2_T3_mT4_P12ihipStream_tbEUlT_E0_NS1_11comp_targetILNS1_3genE4ELNS1_11target_archE910ELNS1_3gpuE8ELNS1_3repE0EEENS1_30default_config_static_selectorELNS0_4arch9wavefront6targetE1EEEvS14_,comdat
	.protected	_ZN7rocprim17ROCPRIM_400000_NS6detail17trampoline_kernelINS0_14default_configENS1_22reduce_config_selectorIN6thrust23THRUST_200600_302600_NS5tupleIblNS6_9null_typeES8_S8_S8_S8_S8_S8_S8_EEEEZNS1_11reduce_implILb1ES3_NS6_12zip_iteratorINS7_INS6_11hip_rocprim26transform_input_iterator_tIbNSD_35transform_pair_of_input_iterators_tIbNS6_6detail15normal_iteratorINS6_10device_ptrIKyEEEESL_NS6_8equal_toIyEEEENSG_9not_fun_tINSD_8identityEEEEENSD_19counting_iterator_tIlEES8_S8_S8_S8_S8_S8_S8_S8_EEEEPS9_S9_NSD_9__find_if7functorIS9_EEEE10hipError_tPvRmT1_T2_T3_mT4_P12ihipStream_tbEUlT_E0_NS1_11comp_targetILNS1_3genE4ELNS1_11target_archE910ELNS1_3gpuE8ELNS1_3repE0EEENS1_30default_config_static_selectorELNS0_4arch9wavefront6targetE1EEEvS14_ ; -- Begin function _ZN7rocprim17ROCPRIM_400000_NS6detail17trampoline_kernelINS0_14default_configENS1_22reduce_config_selectorIN6thrust23THRUST_200600_302600_NS5tupleIblNS6_9null_typeES8_S8_S8_S8_S8_S8_S8_EEEEZNS1_11reduce_implILb1ES3_NS6_12zip_iteratorINS7_INS6_11hip_rocprim26transform_input_iterator_tIbNSD_35transform_pair_of_input_iterators_tIbNS6_6detail15normal_iteratorINS6_10device_ptrIKyEEEESL_NS6_8equal_toIyEEEENSG_9not_fun_tINSD_8identityEEEEENSD_19counting_iterator_tIlEES8_S8_S8_S8_S8_S8_S8_S8_EEEEPS9_S9_NSD_9__find_if7functorIS9_EEEE10hipError_tPvRmT1_T2_T3_mT4_P12ihipStream_tbEUlT_E0_NS1_11comp_targetILNS1_3genE4ELNS1_11target_archE910ELNS1_3gpuE8ELNS1_3repE0EEENS1_30default_config_static_selectorELNS0_4arch9wavefront6targetE1EEEvS14_
	.globl	_ZN7rocprim17ROCPRIM_400000_NS6detail17trampoline_kernelINS0_14default_configENS1_22reduce_config_selectorIN6thrust23THRUST_200600_302600_NS5tupleIblNS6_9null_typeES8_S8_S8_S8_S8_S8_S8_EEEEZNS1_11reduce_implILb1ES3_NS6_12zip_iteratorINS7_INS6_11hip_rocprim26transform_input_iterator_tIbNSD_35transform_pair_of_input_iterators_tIbNS6_6detail15normal_iteratorINS6_10device_ptrIKyEEEESL_NS6_8equal_toIyEEEENSG_9not_fun_tINSD_8identityEEEEENSD_19counting_iterator_tIlEES8_S8_S8_S8_S8_S8_S8_S8_EEEEPS9_S9_NSD_9__find_if7functorIS9_EEEE10hipError_tPvRmT1_T2_T3_mT4_P12ihipStream_tbEUlT_E0_NS1_11comp_targetILNS1_3genE4ELNS1_11target_archE910ELNS1_3gpuE8ELNS1_3repE0EEENS1_30default_config_static_selectorELNS0_4arch9wavefront6targetE1EEEvS14_
	.p2align	8
	.type	_ZN7rocprim17ROCPRIM_400000_NS6detail17trampoline_kernelINS0_14default_configENS1_22reduce_config_selectorIN6thrust23THRUST_200600_302600_NS5tupleIblNS6_9null_typeES8_S8_S8_S8_S8_S8_S8_EEEEZNS1_11reduce_implILb1ES3_NS6_12zip_iteratorINS7_INS6_11hip_rocprim26transform_input_iterator_tIbNSD_35transform_pair_of_input_iterators_tIbNS6_6detail15normal_iteratorINS6_10device_ptrIKyEEEESL_NS6_8equal_toIyEEEENSG_9not_fun_tINSD_8identityEEEEENSD_19counting_iterator_tIlEES8_S8_S8_S8_S8_S8_S8_S8_EEEEPS9_S9_NSD_9__find_if7functorIS9_EEEE10hipError_tPvRmT1_T2_T3_mT4_P12ihipStream_tbEUlT_E0_NS1_11comp_targetILNS1_3genE4ELNS1_11target_archE910ELNS1_3gpuE8ELNS1_3repE0EEENS1_30default_config_static_selectorELNS0_4arch9wavefront6targetE1EEEvS14_,@function
_ZN7rocprim17ROCPRIM_400000_NS6detail17trampoline_kernelINS0_14default_configENS1_22reduce_config_selectorIN6thrust23THRUST_200600_302600_NS5tupleIblNS6_9null_typeES8_S8_S8_S8_S8_S8_S8_EEEEZNS1_11reduce_implILb1ES3_NS6_12zip_iteratorINS7_INS6_11hip_rocprim26transform_input_iterator_tIbNSD_35transform_pair_of_input_iterators_tIbNS6_6detail15normal_iteratorINS6_10device_ptrIKyEEEESL_NS6_8equal_toIyEEEENSG_9not_fun_tINSD_8identityEEEEENSD_19counting_iterator_tIlEES8_S8_S8_S8_S8_S8_S8_S8_EEEEPS9_S9_NSD_9__find_if7functorIS9_EEEE10hipError_tPvRmT1_T2_T3_mT4_P12ihipStream_tbEUlT_E0_NS1_11comp_targetILNS1_3genE4ELNS1_11target_archE910ELNS1_3gpuE8ELNS1_3repE0EEENS1_30default_config_static_selectorELNS0_4arch9wavefront6targetE1EEEvS14_: ; @_ZN7rocprim17ROCPRIM_400000_NS6detail17trampoline_kernelINS0_14default_configENS1_22reduce_config_selectorIN6thrust23THRUST_200600_302600_NS5tupleIblNS6_9null_typeES8_S8_S8_S8_S8_S8_S8_EEEEZNS1_11reduce_implILb1ES3_NS6_12zip_iteratorINS7_INS6_11hip_rocprim26transform_input_iterator_tIbNSD_35transform_pair_of_input_iterators_tIbNS6_6detail15normal_iteratorINS6_10device_ptrIKyEEEESL_NS6_8equal_toIyEEEENSG_9not_fun_tINSD_8identityEEEEENSD_19counting_iterator_tIlEES8_S8_S8_S8_S8_S8_S8_S8_EEEEPS9_S9_NSD_9__find_if7functorIS9_EEEE10hipError_tPvRmT1_T2_T3_mT4_P12ihipStream_tbEUlT_E0_NS1_11comp_targetILNS1_3genE4ELNS1_11target_archE910ELNS1_3gpuE8ELNS1_3repE0EEENS1_30default_config_static_selectorELNS0_4arch9wavefront6targetE1EEEvS14_
; %bb.0:
	s_load_dwordx8 s[8:15], s[4:5], 0x20
	s_load_dwordx4 s[0:3], s[4:5], 0x0
	s_load_dwordx4 s[16:19], s[4:5], 0x40
	s_mov_b32 s25, 0
	s_mov_b32 s7, s25
	s_waitcnt lgkmcnt(0)
	s_lshl_b64 s[20:21], s[10:11], 3
	s_add_u32 s22, s0, s20
	s_addc_u32 s23, s1, s21
	s_add_u32 s26, s2, s20
	s_addc_u32 s27, s3, s21
	s_lshl_b32 s24, s6, 9
	s_lshr_b64 s[0:1], s[12:13], 9
	s_lshl_b64 s[2:3], s[24:25], 3
	s_add_u32 s20, s22, s2
	s_addc_u32 s21, s23, s3
	s_add_u32 s22, s26, s2
	s_addc_u32 s23, s27, s3
	;; [unrolled: 2-line block ×4, first 2 shown]
	s_cmp_lg_u64 s[0:1], s[6:7]
	v_lshlrev_b32_e32 v1, 3, v0
	s_cbranch_scc0 .LBB116_18
; %bb.1:
	global_load_dwordx2 v[2:3], v1, s[22:23] offset:2048
	global_load_dwordx2 v[4:5], v1, s[22:23]
	global_load_dwordx2 v[6:7], v1, s[20:21] offset:2048
	global_load_dwordx2 v[8:9], v1, s[20:21]
	v_mov_b32_e32 v10, s9
	v_add_co_u32_e32 v11, vcc, s8, v0
	v_addc_co_u32_e32 v10, vcc, 0, v10, vcc
	v_add_co_u32_e32 v12, vcc, 0x100, v11
	v_addc_co_u32_e32 v13, vcc, 0, v10, vcc
	s_waitcnt vmcnt(1)
	v_cmp_ne_u64_e32 vcc, v[6:7], v[2:3]
	s_waitcnt vmcnt(0)
	v_cmp_ne_u64_e64 s[0:1], v[8:9], v[4:5]
	v_cndmask_b32_e64 v3, v13, v10, s[0:1]
	v_cndmask_b32_e64 v2, v12, v11, s[0:1]
	s_or_b64 s[0:1], s[0:1], vcc
	v_cndmask_b32_e64 v6, 0, 1, s[0:1]
	v_mov_b32_dpp v4, v2 quad_perm:[1,0,3,2] row_mask:0xf bank_mask:0xf bound_ctrl:1
	v_mov_b32_dpp v5, v3 quad_perm:[1,0,3,2] row_mask:0xf bank_mask:0xf bound_ctrl:1
	;; [unrolled: 1-line block ×3, first 2 shown]
	v_and_b32_e32 v8, 1, v7
	v_cmp_eq_u32_e32 vcc, 1, v8
	s_and_saveexec_b64 s[2:3], vcc
; %bb.2:
	v_cmp_lt_i64_e32 vcc, v[2:3], v[4:5]
	v_cndmask_b32_e64 v7, v7, 1, s[0:1]
	s_and_b64 vcc, s[0:1], vcc
	v_cndmask_b32_e32 v2, v4, v2, vcc
	v_and_b32_e32 v4, 1, v7
	v_cndmask_b32_e32 v3, v5, v3, vcc
	v_cmp_eq_u32_e32 vcc, 1, v4
	s_andn2_b64 s[0:1], s[0:1], exec
	s_and_b64 s[10:11], vcc, exec
	v_and_b32_e32 v6, 0xff, v7
	s_or_b64 s[0:1], s[0:1], s[10:11]
; %bb.3:
	s_or_b64 exec, exec, s[2:3]
	v_mov_b32_dpp v7, v6 quad_perm:[2,3,0,1] row_mask:0xf bank_mask:0xf bound_ctrl:1
	v_and_b32_e32 v8, 1, v7
	v_mov_b32_dpp v4, v2 quad_perm:[2,3,0,1] row_mask:0xf bank_mask:0xf bound_ctrl:1
	v_mov_b32_dpp v5, v3 quad_perm:[2,3,0,1] row_mask:0xf bank_mask:0xf bound_ctrl:1
	v_cmp_eq_u32_e32 vcc, 1, v8
	s_and_saveexec_b64 s[2:3], vcc
; %bb.4:
	v_cmp_lt_i64_e32 vcc, v[2:3], v[4:5]
	v_cndmask_b32_e64 v7, v7, 1, s[0:1]
	s_and_b64 vcc, s[0:1], vcc
	v_cndmask_b32_e32 v2, v4, v2, vcc
	v_and_b32_e32 v4, 1, v7
	v_cndmask_b32_e32 v3, v5, v3, vcc
	v_cmp_eq_u32_e32 vcc, 1, v4
	s_andn2_b64 s[0:1], s[0:1], exec
	s_and_b64 s[10:11], vcc, exec
	v_and_b32_e32 v6, 0xff, v7
	s_or_b64 s[0:1], s[0:1], s[10:11]
; %bb.5:
	s_or_b64 exec, exec, s[2:3]
	v_mov_b32_dpp v7, v6 row_ror:4 row_mask:0xf bank_mask:0xf bound_ctrl:1
	v_and_b32_e32 v8, 1, v7
	v_mov_b32_dpp v4, v2 row_ror:4 row_mask:0xf bank_mask:0xf bound_ctrl:1
	v_mov_b32_dpp v5, v3 row_ror:4 row_mask:0xf bank_mask:0xf bound_ctrl:1
	v_cmp_eq_u32_e32 vcc, 1, v8
	s_and_saveexec_b64 s[2:3], vcc
; %bb.6:
	v_cmp_lt_i64_e32 vcc, v[2:3], v[4:5]
	v_cndmask_b32_e64 v7, v7, 1, s[0:1]
	s_and_b64 vcc, s[0:1], vcc
	v_cndmask_b32_e32 v2, v4, v2, vcc
	v_and_b32_e32 v4, 1, v7
	v_cndmask_b32_e32 v3, v5, v3, vcc
	v_cmp_eq_u32_e32 vcc, 1, v4
	s_andn2_b64 s[0:1], s[0:1], exec
	s_and_b64 s[10:11], vcc, exec
	v_and_b32_e32 v6, 0xff, v7
	s_or_b64 s[0:1], s[0:1], s[10:11]
; %bb.7:
	s_or_b64 exec, exec, s[2:3]
	v_mov_b32_dpp v7, v6 row_ror:8 row_mask:0xf bank_mask:0xf bound_ctrl:1
	v_and_b32_e32 v8, 1, v7
	v_mov_b32_dpp v4, v2 row_ror:8 row_mask:0xf bank_mask:0xf bound_ctrl:1
	v_mov_b32_dpp v5, v3 row_ror:8 row_mask:0xf bank_mask:0xf bound_ctrl:1
	v_cmp_eq_u32_e32 vcc, 1, v8
	s_and_saveexec_b64 s[2:3], vcc
; %bb.8:
	v_cmp_lt_i64_e32 vcc, v[2:3], v[4:5]
	v_cndmask_b32_e64 v7, v7, 1, s[0:1]
	s_and_b64 vcc, s[0:1], vcc
	v_cndmask_b32_e32 v2, v4, v2, vcc
	v_and_b32_e32 v4, 1, v7
	v_cndmask_b32_e32 v3, v5, v3, vcc
	v_cmp_eq_u32_e32 vcc, 1, v4
	s_andn2_b64 s[0:1], s[0:1], exec
	s_and_b64 s[10:11], vcc, exec
	v_and_b32_e32 v6, 0xff, v7
	s_or_b64 s[0:1], s[0:1], s[10:11]
; %bb.9:
	s_or_b64 exec, exec, s[2:3]
	v_mov_b32_dpp v7, v6 row_bcast:15 row_mask:0xf bank_mask:0xf bound_ctrl:1
	v_and_b32_e32 v8, 1, v7
	v_mov_b32_dpp v4, v2 row_bcast:15 row_mask:0xf bank_mask:0xf bound_ctrl:1
	v_mov_b32_dpp v5, v3 row_bcast:15 row_mask:0xf bank_mask:0xf bound_ctrl:1
	v_cmp_eq_u32_e32 vcc, 1, v8
	s_and_saveexec_b64 s[2:3], vcc
; %bb.10:
	v_cmp_lt_i64_e32 vcc, v[2:3], v[4:5]
	v_cndmask_b32_e64 v7, v7, 1, s[0:1]
	s_and_b64 vcc, s[0:1], vcc
	v_cndmask_b32_e32 v2, v4, v2, vcc
	v_and_b32_e32 v4, 1, v7
	v_cndmask_b32_e32 v3, v5, v3, vcc
	v_cmp_eq_u32_e32 vcc, 1, v4
	s_andn2_b64 s[0:1], s[0:1], exec
	s_and_b64 s[10:11], vcc, exec
	v_and_b32_e32 v6, 0xff, v7
	s_or_b64 s[0:1], s[0:1], s[10:11]
; %bb.11:
	s_or_b64 exec, exec, s[2:3]
	v_mov_b32_dpp v7, v6 row_bcast:31 row_mask:0xf bank_mask:0xf bound_ctrl:1
	v_and_b32_e32 v8, 1, v7
	v_mov_b32_dpp v4, v2 row_bcast:31 row_mask:0xf bank_mask:0xf bound_ctrl:1
	v_mov_b32_dpp v5, v3 row_bcast:31 row_mask:0xf bank_mask:0xf bound_ctrl:1
	v_cmp_eq_u32_e32 vcc, 1, v8
	s_and_saveexec_b64 s[2:3], vcc
; %bb.12:
	v_cmp_lt_i64_e32 vcc, v[2:3], v[4:5]
	v_and_b32_e32 v6, 0xff, v7
	s_and_b64 vcc, s[0:1], vcc
	v_cndmask_b32_e32 v2, v4, v2, vcc
	v_cndmask_b32_e32 v3, v5, v3, vcc
	v_cndmask_b32_e64 v6, v6, 1, s[0:1]
; %bb.13:
	s_or_b64 exec, exec, s[2:3]
	v_mbcnt_lo_u32_b32 v4, -1, 0
	v_mbcnt_hi_u32_b32 v4, -1, v4
	v_bfrev_b32_e32 v5, 0.5
	v_lshl_or_b32 v5, v4, 2, v5
	ds_bpermute_b32 v6, v5, v6
	ds_bpermute_b32 v2, v5, v2
	ds_bpermute_b32 v3, v5, v3
	v_cmp_eq_u32_e32 vcc, 0, v4
	s_and_saveexec_b64 s[0:1], vcc
	s_cbranch_execz .LBB116_15
; %bb.14:
	v_lshrrev_b32_e32 v5, 2, v0
	v_and_b32_e32 v5, 48, v5
	s_waitcnt lgkmcnt(2)
	ds_write_b8 v5, v6
	s_waitcnt lgkmcnt(1)
	ds_write_b64 v5, v[2:3] offset:8
.LBB116_15:
	s_or_b64 exec, exec, s[0:1]
	v_cmp_gt_u32_e32 vcc, 64, v0
	s_waitcnt lgkmcnt(0)
	s_barrier
	s_and_saveexec_b64 s[2:3], vcc
	s_cbranch_execz .LBB116_17
; %bb.16:
	v_and_b32_e32 v5, 3, v4
	v_lshlrev_b32_e32 v2, 4, v5
	ds_read_u8 v8, v2
	ds_read_b64 v[2:3], v2 offset:8
	v_cmp_ne_u32_e32 vcc, 3, v5
	v_addc_co_u32_e32 v6, vcc, 0, v4, vcc
	s_waitcnt lgkmcnt(1)
	v_and_b32_e32 v7, 0xff, v8
	v_lshlrev_b32_e32 v9, 2, v6
	ds_bpermute_b32 v10, v9, v7
	s_waitcnt lgkmcnt(1)
	ds_bpermute_b32 v6, v9, v2
	ds_bpermute_b32 v7, v9, v3
	v_and_b32_e32 v9, 1, v8
	s_waitcnt lgkmcnt(2)
	v_and_b32_e32 v11, 1, v10
	v_cmp_eq_u32_e64 s[0:1], 1, v11
	s_waitcnt lgkmcnt(0)
	v_cmp_lt_i64_e32 vcc, v[6:7], v[2:3]
	s_and_b64 vcc, s[0:1], vcc
	v_cndmask_b32_e64 v8, v8, 1, s[0:1]
	v_cndmask_b32_e32 v2, v2, v6, vcc
	v_cndmask_b32_e32 v3, v3, v7, vcc
	v_cmp_eq_u32_e32 vcc, 1, v9
	v_cndmask_b32_e32 v8, v10, v8, vcc
	v_cndmask_b32_e32 v3, v7, v3, vcc
	;; [unrolled: 1-line block ×3, first 2 shown]
	v_cmp_gt_u32_e32 vcc, 2, v5
	v_cndmask_b32_e64 v5, 0, 1, vcc
	v_lshlrev_b32_e32 v5, 1, v5
	v_and_b32_e32 v6, 0xff, v8
	v_add_lshl_u32 v5, v5, v4, 2
	ds_bpermute_b32 v6, v5, v6
	ds_bpermute_b32 v4, v5, v2
	;; [unrolled: 1-line block ×3, first 2 shown]
	v_and_b32_e32 v7, 1, v8
	s_waitcnt lgkmcnt(2)
	v_and_b32_e32 v9, 1, v6
	v_cmp_eq_u32_e64 s[0:1], 1, v9
	s_waitcnt lgkmcnt(0)
	v_cmp_lt_i64_e32 vcc, v[4:5], v[2:3]
	s_and_b64 vcc, s[0:1], vcc
	v_cndmask_b32_e64 v8, v8, 1, s[0:1]
	v_cndmask_b32_e32 v2, v2, v4, vcc
	v_cndmask_b32_e32 v3, v3, v5, vcc
	v_cmp_eq_u32_e32 vcc, 1, v7
	v_cndmask_b32_e32 v6, v6, v8, vcc
	v_cndmask_b32_e32 v3, v5, v3, vcc
	;; [unrolled: 1-line block ×3, first 2 shown]
	v_and_b32_e32 v6, 0xff, v6
.LBB116_17:
	s_or_b64 exec, exec, s[2:3]
	s_load_dword s10, s[4:5], 0x50
	s_load_dwordx2 s[2:3], s[4:5], 0x58
	s_branch .LBB116_46
.LBB116_18:
                                        ; implicit-def: $vgpr2_vgpr3
                                        ; implicit-def: $vgpr6
	s_load_dword s10, s[4:5], 0x50
	s_load_dwordx2 s[2:3], s[4:5], 0x58
	s_cbranch_execz .LBB116_46
; %bb.19:
	s_sub_i32 s11, s12, s24
	v_pk_mov_b32 v[4:5], 0, 0
	v_cmp_gt_u32_e32 vcc, s11, v0
	v_mov_b32_e32 v6, 0
	v_pk_mov_b32 v[2:3], v[4:5], v[4:5] op_sel:[0,1]
	v_mov_b32_e32 v7, 0
	s_and_saveexec_b64 s[0:1], vcc
	s_cbranch_execz .LBB116_21
; %bb.20:
	global_load_dwordx2 v[8:9], v1, s[20:21]
	global_load_dwordx2 v[10:11], v1, s[22:23]
	v_mov_b32_e32 v3, s9
	v_add_co_u32_e32 v2, vcc, s8, v0
	v_addc_co_u32_e32 v3, vcc, 0, v3, vcc
	s_waitcnt vmcnt(0)
	v_cmp_ne_u64_e32 vcc, v[8:9], v[10:11]
	v_cndmask_b32_e64 v7, 0, 1, vcc
.LBB116_21:
	s_or_b64 exec, exec, s[0:1]
	v_or_b32_e32 v8, 0x100, v0
	v_cmp_gt_u32_e32 vcc, s11, v8
	s_and_saveexec_b64 s[4:5], vcc
	s_cbranch_execz .LBB116_23
; %bb.22:
	global_load_dwordx2 v[10:11], v1, s[20:21] offset:2048
	global_load_dwordx2 v[12:13], v1, s[22:23] offset:2048
	v_mov_b32_e32 v1, s9
	v_add_co_u32_e64 v4, s[0:1], s8, v8
	v_addc_co_u32_e64 v5, s[0:1], 0, v1, s[0:1]
	s_waitcnt vmcnt(0)
	v_cmp_ne_u64_e64 s[0:1], v[10:11], v[12:13]
	v_cndmask_b32_e64 v6, 0, 1, s[0:1]
.LBB116_23:
	s_or_b64 exec, exec, s[4:5]
	s_and_saveexec_b64 s[4:5], vcc
	s_cbranch_execz .LBB116_25
; %bb.24:
	v_and_b32_e32 v8, 1, v6
	v_cmp_lt_i64_e32 vcc, v[4:5], v[2:3]
	v_cmp_eq_u32_e64 s[0:1], 1, v8
	v_and_b32_e32 v1, 1, v7
	s_and_b64 vcc, s[0:1], vcc
	v_cndmask_b32_e64 v7, v7, 1, s[0:1]
	v_cndmask_b32_e32 v2, v2, v4, vcc
	v_cndmask_b32_e32 v3, v3, v5, vcc
	v_cmp_eq_u32_e32 vcc, 1, v1
	v_cndmask_b32_e32 v7, v6, v7, vcc
	v_cndmask_b32_e32 v3, v5, v3, vcc
	;; [unrolled: 1-line block ×3, first 2 shown]
.LBB116_25:
	s_or_b64 exec, exec, s[4:5]
	v_mbcnt_lo_u32_b32 v1, -1, 0
	v_mbcnt_hi_u32_b32 v1, -1, v1
	v_and_b32_e32 v8, 63, v1
	v_cmp_ne_u32_e32 vcc, 63, v8
	v_addc_co_u32_e32 v4, vcc, 0, v1, vcc
	v_and_b32_e32 v6, 0xffff, v7
	v_lshlrev_b32_e32 v5, 2, v4
	ds_bpermute_b32 v10, v5, v6
	ds_bpermute_b32 v4, v5, v2
	ds_bpermute_b32 v5, v5, v3
	s_min_u32 s8, s11, 0x100
	v_and_b32_e32 v9, 0xc0, v0
	v_sub_u32_e64 v9, s8, v9 clamp
	v_add_u32_e32 v11, 1, v8
	v_cmp_lt_u32_e32 vcc, v11, v9
	s_and_saveexec_b64 s[4:5], vcc
	s_cbranch_execz .LBB116_27
; %bb.26:
	s_waitcnt lgkmcnt(0)
	v_and_b32_e32 v11, 1, v10
	v_cmp_lt_i64_e32 vcc, v[4:5], v[2:3]
	v_cmp_eq_u32_e64 s[0:1], 1, v11
	v_and_b32_e32 v6, 1, v7
	s_and_b64 vcc, s[0:1], vcc
	v_cndmask_b32_e64 v7, v7, 1, s[0:1]
	v_cndmask_b32_e32 v2, v2, v4, vcc
	v_cndmask_b32_e32 v3, v3, v5, vcc
	v_cmp_eq_u32_e32 vcc, 1, v6
	v_cndmask_b32_e32 v7, v10, v7, vcc
	v_cndmask_b32_e32 v3, v5, v3, vcc
	;; [unrolled: 1-line block ×3, first 2 shown]
	v_and_b32_e32 v6, 0xff, v7
.LBB116_27:
	s_or_b64 exec, exec, s[4:5]
	v_cmp_gt_u32_e32 vcc, 62, v8
	s_waitcnt lgkmcnt(0)
	v_cndmask_b32_e64 v4, 0, 1, vcc
	v_lshlrev_b32_e32 v4, 1, v4
	v_add_lshl_u32 v5, v4, v1, 2
	ds_bpermute_b32 v10, v5, v6
	ds_bpermute_b32 v4, v5, v2
	ds_bpermute_b32 v5, v5, v3
	v_add_u32_e32 v11, 2, v8
	v_cmp_lt_u32_e32 vcc, v11, v9
	s_and_saveexec_b64 s[4:5], vcc
	s_cbranch_execz .LBB116_29
; %bb.28:
	s_waitcnt lgkmcnt(2)
	v_and_b32_e32 v11, 1, v10
	s_waitcnt lgkmcnt(0)
	v_cmp_lt_i64_e32 vcc, v[4:5], v[2:3]
	v_cmp_eq_u32_e64 s[0:1], 1, v11
	v_and_b32_e32 v6, 1, v7
	s_and_b64 vcc, s[0:1], vcc
	v_cndmask_b32_e64 v7, v7, 1, s[0:1]
	v_cndmask_b32_e32 v2, v2, v4, vcc
	v_cndmask_b32_e32 v3, v3, v5, vcc
	v_cmp_eq_u32_e32 vcc, 1, v6
	v_cndmask_b32_e32 v7, v10, v7, vcc
	v_cndmask_b32_e32 v3, v5, v3, vcc
	v_cndmask_b32_e32 v2, v4, v2, vcc
	v_and_b32_e32 v6, 0xff, v7
.LBB116_29:
	s_or_b64 exec, exec, s[4:5]
	v_cmp_gt_u32_e32 vcc, 60, v8
	s_waitcnt lgkmcnt(1)
	v_cndmask_b32_e64 v4, 0, 1, vcc
	v_lshlrev_b32_e32 v4, 2, v4
	s_waitcnt lgkmcnt(0)
	v_add_lshl_u32 v5, v4, v1, 2
	ds_bpermute_b32 v10, v5, v6
	ds_bpermute_b32 v4, v5, v2
	ds_bpermute_b32 v5, v5, v3
	v_add_u32_e32 v11, 4, v8
	v_cmp_lt_u32_e32 vcc, v11, v9
	s_and_saveexec_b64 s[4:5], vcc
	s_cbranch_execz .LBB116_31
; %bb.30:
	s_waitcnt lgkmcnt(2)
	v_and_b32_e32 v11, 1, v10
	s_waitcnt lgkmcnt(0)
	v_cmp_lt_i64_e32 vcc, v[4:5], v[2:3]
	v_cmp_eq_u32_e64 s[0:1], 1, v11
	v_and_b32_e32 v6, 1, v7
	s_and_b64 vcc, s[0:1], vcc
	v_cndmask_b32_e64 v7, v7, 1, s[0:1]
	v_cndmask_b32_e32 v2, v2, v4, vcc
	v_cndmask_b32_e32 v3, v3, v5, vcc
	v_cmp_eq_u32_e32 vcc, 1, v6
	v_cndmask_b32_e32 v7, v10, v7, vcc
	v_cndmask_b32_e32 v3, v5, v3, vcc
	v_cndmask_b32_e32 v2, v4, v2, vcc
	v_and_b32_e32 v6, 0xff, v7
.LBB116_31:
	s_or_b64 exec, exec, s[4:5]
	v_cmp_gt_u32_e32 vcc, 56, v8
	s_waitcnt lgkmcnt(1)
	v_cndmask_b32_e64 v4, 0, 1, vcc
	v_lshlrev_b32_e32 v4, 3, v4
	s_waitcnt lgkmcnt(0)
	;; [unrolled: 31-line block ×4, first 2 shown]
	v_add_lshl_u32 v5, v4, v1, 2
	ds_bpermute_b32 v10, v5, v6
	ds_bpermute_b32 v4, v5, v2
	;; [unrolled: 1-line block ×3, first 2 shown]
	v_add_u32_e32 v8, 32, v8
	v_cmp_lt_u32_e32 vcc, v8, v9
	s_and_saveexec_b64 s[4:5], vcc
	s_cbranch_execz .LBB116_37
; %bb.36:
	s_waitcnt lgkmcnt(2)
	v_and_b32_e32 v8, 1, v10
	s_waitcnt lgkmcnt(0)
	v_cmp_lt_i64_e32 vcc, v[4:5], v[2:3]
	v_cmp_eq_u32_e64 s[0:1], 1, v8
	v_and_b32_e32 v6, 1, v7
	s_and_b64 vcc, s[0:1], vcc
	v_cndmask_b32_e64 v7, v7, 1, s[0:1]
	v_cndmask_b32_e32 v2, v2, v4, vcc
	v_cndmask_b32_e32 v3, v3, v5, vcc
	v_cmp_eq_u32_e32 vcc, 1, v6
	v_cndmask_b32_e32 v7, v10, v7, vcc
	v_cndmask_b32_e32 v3, v5, v3, vcc
	v_cndmask_b32_e32 v2, v4, v2, vcc
	v_and_b32_e32 v6, 0xff, v7
.LBB116_37:
	s_or_b64 exec, exec, s[4:5]
	v_cmp_eq_u32_e32 vcc, 0, v1
	s_and_saveexec_b64 s[0:1], vcc
	s_cbranch_execz .LBB116_39
; %bb.38:
	s_waitcnt lgkmcnt(1)
	v_lshrrev_b32_e32 v4, 2, v0
	v_and_b32_e32 v4, 48, v4
	ds_write_b8 v4, v7 offset:64
	ds_write_b64 v4, v[2:3] offset:72
.LBB116_39:
	s_or_b64 exec, exec, s[0:1]
	v_cmp_gt_u32_e32 vcc, 4, v0
	s_waitcnt lgkmcnt(0)
	s_barrier
	s_and_saveexec_b64 s[4:5], vcc
	s_cbranch_execz .LBB116_45
; %bb.40:
	v_lshlrev_b32_e32 v2, 4, v1
	ds_read_u8 v7, v2 offset:64
	ds_read_b64 v[2:3], v2 offset:72
	v_and_b32_e32 v8, 3, v1
	v_cmp_ne_u32_e32 vcc, 3, v8
	v_addc_co_u32_e32 v4, vcc, 0, v1, vcc
	s_waitcnt lgkmcnt(1)
	v_and_b32_e32 v6, 0xff, v7
	v_lshlrev_b32_e32 v5, 2, v4
	ds_bpermute_b32 v9, v5, v6
	s_waitcnt lgkmcnt(1)
	ds_bpermute_b32 v4, v5, v2
	ds_bpermute_b32 v5, v5, v3
	s_add_i32 s8, s8, 63
	s_lshr_b32 s11, s8, 6
	v_add_u32_e32 v10, 1, v8
	v_cmp_gt_u32_e32 vcc, s11, v10
	s_and_saveexec_b64 s[8:9], vcc
	s_cbranch_execz .LBB116_42
; %bb.41:
	s_waitcnt lgkmcnt(2)
	v_and_b32_e32 v10, 1, v9
	s_waitcnt lgkmcnt(0)
	v_cmp_lt_i64_e32 vcc, v[4:5], v[2:3]
	v_cmp_eq_u32_e64 s[0:1], 1, v10
	v_and_b32_e32 v6, 1, v7
	s_and_b64 vcc, s[0:1], vcc
	v_cndmask_b32_e64 v7, v7, 1, s[0:1]
	v_cndmask_b32_e32 v2, v2, v4, vcc
	v_cndmask_b32_e32 v3, v3, v5, vcc
	v_cmp_eq_u32_e32 vcc, 1, v6
	v_cndmask_b32_e32 v7, v9, v7, vcc
	v_cndmask_b32_e32 v3, v5, v3, vcc
	;; [unrolled: 1-line block ×3, first 2 shown]
	v_and_b32_e32 v6, 0xff, v7
.LBB116_42:
	s_or_b64 exec, exec, s[8:9]
	v_cmp_gt_u32_e32 vcc, 2, v8
	s_waitcnt lgkmcnt(1)
	v_cndmask_b32_e64 v4, 0, 1, vcc
	v_lshlrev_b32_e32 v4, 1, v4
	s_waitcnt lgkmcnt(0)
	v_add_lshl_u32 v5, v4, v1, 2
	ds_bpermute_b32 v1, v5, v6
	ds_bpermute_b32 v4, v5, v2
	;; [unrolled: 1-line block ×3, first 2 shown]
	v_add_u32_e32 v8, 2, v8
	v_cmp_gt_u32_e32 vcc, s11, v8
	s_and_saveexec_b64 s[8:9], vcc
	s_cbranch_execz .LBB116_44
; %bb.43:
	s_waitcnt lgkmcnt(2)
	v_and_b32_e32 v8, 1, v1
	s_waitcnt lgkmcnt(0)
	v_cmp_lt_i64_e32 vcc, v[4:5], v[2:3]
	v_cmp_eq_u32_e64 s[0:1], 1, v8
	v_and_b32_e32 v6, 1, v7
	s_and_b64 vcc, s[0:1], vcc
	v_cndmask_b32_e64 v7, v7, 1, s[0:1]
	v_cndmask_b32_e32 v2, v2, v4, vcc
	v_cndmask_b32_e32 v3, v3, v5, vcc
	v_cmp_eq_u32_e32 vcc, 1, v6
	v_cndmask_b32_e32 v1, v1, v7, vcc
	v_cndmask_b32_e32 v3, v5, v3, vcc
	;; [unrolled: 1-line block ×3, first 2 shown]
	v_and_b32_e32 v6, 0xff, v1
.LBB116_44:
	s_or_b64 exec, exec, s[8:9]
.LBB116_45:
	s_or_b64 exec, exec, s[4:5]
.LBB116_46:
	v_cmp_eq_u32_e32 vcc, 0, v0
	s_and_saveexec_b64 s[0:1], vcc
	s_cbranch_execnz .LBB116_48
; %bb.47:
	s_endpgm
.LBB116_48:
	s_mul_i32 s0, s18, s17
	s_mul_hi_u32 s1, s18, s16
	s_add_i32 s0, s1, s0
	s_mul_i32 s1, s19, s16
	s_add_i32 s1, s0, s1
	s_mul_i32 s0, s18, s16
	s_lshl_b64 s[0:1], s[0:1], 4
	s_add_u32 s4, s14, s0
	s_addc_u32 s5, s15, s1
	s_cmp_eq_u64 s[12:13], 0
	s_waitcnt lgkmcnt(0)
	v_mov_b32_e32 v0, s3
	s_cselect_b64 vcc, -1, 0
	v_cndmask_b32_e32 v1, v3, v0, vcc
	v_mov_b32_e32 v0, s2
	s_lshl_b64 s[0:1], s[6:7], 4
	v_cndmask_b32_e32 v0, v2, v0, vcc
	v_mov_b32_e32 v2, s10
	s_add_u32 s0, s4, s0
	v_cndmask_b32_e32 v2, v6, v2, vcc
	s_addc_u32 s1, s5, s1
	v_mov_b32_e32 v3, 0
	global_store_byte v3, v2, s[0:1]
	global_store_dwordx2 v3, v[0:1], s[0:1] offset:8
	s_endpgm
	.section	.rodata,"a",@progbits
	.p2align	6, 0x0
	.amdhsa_kernel _ZN7rocprim17ROCPRIM_400000_NS6detail17trampoline_kernelINS0_14default_configENS1_22reduce_config_selectorIN6thrust23THRUST_200600_302600_NS5tupleIblNS6_9null_typeES8_S8_S8_S8_S8_S8_S8_EEEEZNS1_11reduce_implILb1ES3_NS6_12zip_iteratorINS7_INS6_11hip_rocprim26transform_input_iterator_tIbNSD_35transform_pair_of_input_iterators_tIbNS6_6detail15normal_iteratorINS6_10device_ptrIKyEEEESL_NS6_8equal_toIyEEEENSG_9not_fun_tINSD_8identityEEEEENSD_19counting_iterator_tIlEES8_S8_S8_S8_S8_S8_S8_S8_EEEEPS9_S9_NSD_9__find_if7functorIS9_EEEE10hipError_tPvRmT1_T2_T3_mT4_P12ihipStream_tbEUlT_E0_NS1_11comp_targetILNS1_3genE4ELNS1_11target_archE910ELNS1_3gpuE8ELNS1_3repE0EEENS1_30default_config_static_selectorELNS0_4arch9wavefront6targetE1EEEvS14_
		.amdhsa_group_segment_fixed_size 128
		.amdhsa_private_segment_fixed_size 0
		.amdhsa_kernarg_size 104
		.amdhsa_user_sgpr_count 6
		.amdhsa_user_sgpr_private_segment_buffer 1
		.amdhsa_user_sgpr_dispatch_ptr 0
		.amdhsa_user_sgpr_queue_ptr 0
		.amdhsa_user_sgpr_kernarg_segment_ptr 1
		.amdhsa_user_sgpr_dispatch_id 0
		.amdhsa_user_sgpr_flat_scratch_init 0
		.amdhsa_user_sgpr_kernarg_preload_length 0
		.amdhsa_user_sgpr_kernarg_preload_offset 0
		.amdhsa_user_sgpr_private_segment_size 0
		.amdhsa_uses_dynamic_stack 0
		.amdhsa_system_sgpr_private_segment_wavefront_offset 0
		.amdhsa_system_sgpr_workgroup_id_x 1
		.amdhsa_system_sgpr_workgroup_id_y 0
		.amdhsa_system_sgpr_workgroup_id_z 0
		.amdhsa_system_sgpr_workgroup_info 0
		.amdhsa_system_vgpr_workitem_id 0
		.amdhsa_next_free_vgpr 14
		.amdhsa_next_free_sgpr 28
		.amdhsa_accum_offset 16
		.amdhsa_reserve_vcc 1
		.amdhsa_reserve_flat_scratch 0
		.amdhsa_float_round_mode_32 0
		.amdhsa_float_round_mode_16_64 0
		.amdhsa_float_denorm_mode_32 3
		.amdhsa_float_denorm_mode_16_64 3
		.amdhsa_dx10_clamp 1
		.amdhsa_ieee_mode 1
		.amdhsa_fp16_overflow 0
		.amdhsa_tg_split 0
		.amdhsa_exception_fp_ieee_invalid_op 0
		.amdhsa_exception_fp_denorm_src 0
		.amdhsa_exception_fp_ieee_div_zero 0
		.amdhsa_exception_fp_ieee_overflow 0
		.amdhsa_exception_fp_ieee_underflow 0
		.amdhsa_exception_fp_ieee_inexact 0
		.amdhsa_exception_int_div_zero 0
	.end_amdhsa_kernel
	.section	.text._ZN7rocprim17ROCPRIM_400000_NS6detail17trampoline_kernelINS0_14default_configENS1_22reduce_config_selectorIN6thrust23THRUST_200600_302600_NS5tupleIblNS6_9null_typeES8_S8_S8_S8_S8_S8_S8_EEEEZNS1_11reduce_implILb1ES3_NS6_12zip_iteratorINS7_INS6_11hip_rocprim26transform_input_iterator_tIbNSD_35transform_pair_of_input_iterators_tIbNS6_6detail15normal_iteratorINS6_10device_ptrIKyEEEESL_NS6_8equal_toIyEEEENSG_9not_fun_tINSD_8identityEEEEENSD_19counting_iterator_tIlEES8_S8_S8_S8_S8_S8_S8_S8_EEEEPS9_S9_NSD_9__find_if7functorIS9_EEEE10hipError_tPvRmT1_T2_T3_mT4_P12ihipStream_tbEUlT_E0_NS1_11comp_targetILNS1_3genE4ELNS1_11target_archE910ELNS1_3gpuE8ELNS1_3repE0EEENS1_30default_config_static_selectorELNS0_4arch9wavefront6targetE1EEEvS14_,"axG",@progbits,_ZN7rocprim17ROCPRIM_400000_NS6detail17trampoline_kernelINS0_14default_configENS1_22reduce_config_selectorIN6thrust23THRUST_200600_302600_NS5tupleIblNS6_9null_typeES8_S8_S8_S8_S8_S8_S8_EEEEZNS1_11reduce_implILb1ES3_NS6_12zip_iteratorINS7_INS6_11hip_rocprim26transform_input_iterator_tIbNSD_35transform_pair_of_input_iterators_tIbNS6_6detail15normal_iteratorINS6_10device_ptrIKyEEEESL_NS6_8equal_toIyEEEENSG_9not_fun_tINSD_8identityEEEEENSD_19counting_iterator_tIlEES8_S8_S8_S8_S8_S8_S8_S8_EEEEPS9_S9_NSD_9__find_if7functorIS9_EEEE10hipError_tPvRmT1_T2_T3_mT4_P12ihipStream_tbEUlT_E0_NS1_11comp_targetILNS1_3genE4ELNS1_11target_archE910ELNS1_3gpuE8ELNS1_3repE0EEENS1_30default_config_static_selectorELNS0_4arch9wavefront6targetE1EEEvS14_,comdat
.Lfunc_end116:
	.size	_ZN7rocprim17ROCPRIM_400000_NS6detail17trampoline_kernelINS0_14default_configENS1_22reduce_config_selectorIN6thrust23THRUST_200600_302600_NS5tupleIblNS6_9null_typeES8_S8_S8_S8_S8_S8_S8_EEEEZNS1_11reduce_implILb1ES3_NS6_12zip_iteratorINS7_INS6_11hip_rocprim26transform_input_iterator_tIbNSD_35transform_pair_of_input_iterators_tIbNS6_6detail15normal_iteratorINS6_10device_ptrIKyEEEESL_NS6_8equal_toIyEEEENSG_9not_fun_tINSD_8identityEEEEENSD_19counting_iterator_tIlEES8_S8_S8_S8_S8_S8_S8_S8_EEEEPS9_S9_NSD_9__find_if7functorIS9_EEEE10hipError_tPvRmT1_T2_T3_mT4_P12ihipStream_tbEUlT_E0_NS1_11comp_targetILNS1_3genE4ELNS1_11target_archE910ELNS1_3gpuE8ELNS1_3repE0EEENS1_30default_config_static_selectorELNS0_4arch9wavefront6targetE1EEEvS14_, .Lfunc_end116-_ZN7rocprim17ROCPRIM_400000_NS6detail17trampoline_kernelINS0_14default_configENS1_22reduce_config_selectorIN6thrust23THRUST_200600_302600_NS5tupleIblNS6_9null_typeES8_S8_S8_S8_S8_S8_S8_EEEEZNS1_11reduce_implILb1ES3_NS6_12zip_iteratorINS7_INS6_11hip_rocprim26transform_input_iterator_tIbNSD_35transform_pair_of_input_iterators_tIbNS6_6detail15normal_iteratorINS6_10device_ptrIKyEEEESL_NS6_8equal_toIyEEEENSG_9not_fun_tINSD_8identityEEEEENSD_19counting_iterator_tIlEES8_S8_S8_S8_S8_S8_S8_S8_EEEEPS9_S9_NSD_9__find_if7functorIS9_EEEE10hipError_tPvRmT1_T2_T3_mT4_P12ihipStream_tbEUlT_E0_NS1_11comp_targetILNS1_3genE4ELNS1_11target_archE910ELNS1_3gpuE8ELNS1_3repE0EEENS1_30default_config_static_selectorELNS0_4arch9wavefront6targetE1EEEvS14_
                                        ; -- End function
	.section	.AMDGPU.csdata,"",@progbits
; Kernel info:
; codeLenInByte = 2844
; NumSgprs: 32
; NumVgprs: 14
; NumAgprs: 0
; TotalNumVgprs: 14
; ScratchSize: 0
; MemoryBound: 0
; FloatMode: 240
; IeeeMode: 1
; LDSByteSize: 128 bytes/workgroup (compile time only)
; SGPRBlocks: 3
; VGPRBlocks: 1
; NumSGPRsForWavesPerEU: 32
; NumVGPRsForWavesPerEU: 14
; AccumOffset: 16
; Occupancy: 8
; WaveLimiterHint : 0
; COMPUTE_PGM_RSRC2:SCRATCH_EN: 0
; COMPUTE_PGM_RSRC2:USER_SGPR: 6
; COMPUTE_PGM_RSRC2:TRAP_HANDLER: 0
; COMPUTE_PGM_RSRC2:TGID_X_EN: 1
; COMPUTE_PGM_RSRC2:TGID_Y_EN: 0
; COMPUTE_PGM_RSRC2:TGID_Z_EN: 0
; COMPUTE_PGM_RSRC2:TIDIG_COMP_CNT: 0
; COMPUTE_PGM_RSRC3_GFX90A:ACCUM_OFFSET: 3
; COMPUTE_PGM_RSRC3_GFX90A:TG_SPLIT: 0
	.section	.text._ZN7rocprim17ROCPRIM_400000_NS6detail17trampoline_kernelINS0_14default_configENS1_22reduce_config_selectorIN6thrust23THRUST_200600_302600_NS5tupleIblNS6_9null_typeES8_S8_S8_S8_S8_S8_S8_EEEEZNS1_11reduce_implILb1ES3_NS6_12zip_iteratorINS7_INS6_11hip_rocprim26transform_input_iterator_tIbNSD_35transform_pair_of_input_iterators_tIbNS6_6detail15normal_iteratorINS6_10device_ptrIKyEEEESL_NS6_8equal_toIyEEEENSG_9not_fun_tINSD_8identityEEEEENSD_19counting_iterator_tIlEES8_S8_S8_S8_S8_S8_S8_S8_EEEEPS9_S9_NSD_9__find_if7functorIS9_EEEE10hipError_tPvRmT1_T2_T3_mT4_P12ihipStream_tbEUlT_E0_NS1_11comp_targetILNS1_3genE3ELNS1_11target_archE908ELNS1_3gpuE7ELNS1_3repE0EEENS1_30default_config_static_selectorELNS0_4arch9wavefront6targetE1EEEvS14_,"axG",@progbits,_ZN7rocprim17ROCPRIM_400000_NS6detail17trampoline_kernelINS0_14default_configENS1_22reduce_config_selectorIN6thrust23THRUST_200600_302600_NS5tupleIblNS6_9null_typeES8_S8_S8_S8_S8_S8_S8_EEEEZNS1_11reduce_implILb1ES3_NS6_12zip_iteratorINS7_INS6_11hip_rocprim26transform_input_iterator_tIbNSD_35transform_pair_of_input_iterators_tIbNS6_6detail15normal_iteratorINS6_10device_ptrIKyEEEESL_NS6_8equal_toIyEEEENSG_9not_fun_tINSD_8identityEEEEENSD_19counting_iterator_tIlEES8_S8_S8_S8_S8_S8_S8_S8_EEEEPS9_S9_NSD_9__find_if7functorIS9_EEEE10hipError_tPvRmT1_T2_T3_mT4_P12ihipStream_tbEUlT_E0_NS1_11comp_targetILNS1_3genE3ELNS1_11target_archE908ELNS1_3gpuE7ELNS1_3repE0EEENS1_30default_config_static_selectorELNS0_4arch9wavefront6targetE1EEEvS14_,comdat
	.protected	_ZN7rocprim17ROCPRIM_400000_NS6detail17trampoline_kernelINS0_14default_configENS1_22reduce_config_selectorIN6thrust23THRUST_200600_302600_NS5tupleIblNS6_9null_typeES8_S8_S8_S8_S8_S8_S8_EEEEZNS1_11reduce_implILb1ES3_NS6_12zip_iteratorINS7_INS6_11hip_rocprim26transform_input_iterator_tIbNSD_35transform_pair_of_input_iterators_tIbNS6_6detail15normal_iteratorINS6_10device_ptrIKyEEEESL_NS6_8equal_toIyEEEENSG_9not_fun_tINSD_8identityEEEEENSD_19counting_iterator_tIlEES8_S8_S8_S8_S8_S8_S8_S8_EEEEPS9_S9_NSD_9__find_if7functorIS9_EEEE10hipError_tPvRmT1_T2_T3_mT4_P12ihipStream_tbEUlT_E0_NS1_11comp_targetILNS1_3genE3ELNS1_11target_archE908ELNS1_3gpuE7ELNS1_3repE0EEENS1_30default_config_static_selectorELNS0_4arch9wavefront6targetE1EEEvS14_ ; -- Begin function _ZN7rocprim17ROCPRIM_400000_NS6detail17trampoline_kernelINS0_14default_configENS1_22reduce_config_selectorIN6thrust23THRUST_200600_302600_NS5tupleIblNS6_9null_typeES8_S8_S8_S8_S8_S8_S8_EEEEZNS1_11reduce_implILb1ES3_NS6_12zip_iteratorINS7_INS6_11hip_rocprim26transform_input_iterator_tIbNSD_35transform_pair_of_input_iterators_tIbNS6_6detail15normal_iteratorINS6_10device_ptrIKyEEEESL_NS6_8equal_toIyEEEENSG_9not_fun_tINSD_8identityEEEEENSD_19counting_iterator_tIlEES8_S8_S8_S8_S8_S8_S8_S8_EEEEPS9_S9_NSD_9__find_if7functorIS9_EEEE10hipError_tPvRmT1_T2_T3_mT4_P12ihipStream_tbEUlT_E0_NS1_11comp_targetILNS1_3genE3ELNS1_11target_archE908ELNS1_3gpuE7ELNS1_3repE0EEENS1_30default_config_static_selectorELNS0_4arch9wavefront6targetE1EEEvS14_
	.globl	_ZN7rocprim17ROCPRIM_400000_NS6detail17trampoline_kernelINS0_14default_configENS1_22reduce_config_selectorIN6thrust23THRUST_200600_302600_NS5tupleIblNS6_9null_typeES8_S8_S8_S8_S8_S8_S8_EEEEZNS1_11reduce_implILb1ES3_NS6_12zip_iteratorINS7_INS6_11hip_rocprim26transform_input_iterator_tIbNSD_35transform_pair_of_input_iterators_tIbNS6_6detail15normal_iteratorINS6_10device_ptrIKyEEEESL_NS6_8equal_toIyEEEENSG_9not_fun_tINSD_8identityEEEEENSD_19counting_iterator_tIlEES8_S8_S8_S8_S8_S8_S8_S8_EEEEPS9_S9_NSD_9__find_if7functorIS9_EEEE10hipError_tPvRmT1_T2_T3_mT4_P12ihipStream_tbEUlT_E0_NS1_11comp_targetILNS1_3genE3ELNS1_11target_archE908ELNS1_3gpuE7ELNS1_3repE0EEENS1_30default_config_static_selectorELNS0_4arch9wavefront6targetE1EEEvS14_
	.p2align	8
	.type	_ZN7rocprim17ROCPRIM_400000_NS6detail17trampoline_kernelINS0_14default_configENS1_22reduce_config_selectorIN6thrust23THRUST_200600_302600_NS5tupleIblNS6_9null_typeES8_S8_S8_S8_S8_S8_S8_EEEEZNS1_11reduce_implILb1ES3_NS6_12zip_iteratorINS7_INS6_11hip_rocprim26transform_input_iterator_tIbNSD_35transform_pair_of_input_iterators_tIbNS6_6detail15normal_iteratorINS6_10device_ptrIKyEEEESL_NS6_8equal_toIyEEEENSG_9not_fun_tINSD_8identityEEEEENSD_19counting_iterator_tIlEES8_S8_S8_S8_S8_S8_S8_S8_EEEEPS9_S9_NSD_9__find_if7functorIS9_EEEE10hipError_tPvRmT1_T2_T3_mT4_P12ihipStream_tbEUlT_E0_NS1_11comp_targetILNS1_3genE3ELNS1_11target_archE908ELNS1_3gpuE7ELNS1_3repE0EEENS1_30default_config_static_selectorELNS0_4arch9wavefront6targetE1EEEvS14_,@function
_ZN7rocprim17ROCPRIM_400000_NS6detail17trampoline_kernelINS0_14default_configENS1_22reduce_config_selectorIN6thrust23THRUST_200600_302600_NS5tupleIblNS6_9null_typeES8_S8_S8_S8_S8_S8_S8_EEEEZNS1_11reduce_implILb1ES3_NS6_12zip_iteratorINS7_INS6_11hip_rocprim26transform_input_iterator_tIbNSD_35transform_pair_of_input_iterators_tIbNS6_6detail15normal_iteratorINS6_10device_ptrIKyEEEESL_NS6_8equal_toIyEEEENSG_9not_fun_tINSD_8identityEEEEENSD_19counting_iterator_tIlEES8_S8_S8_S8_S8_S8_S8_S8_EEEEPS9_S9_NSD_9__find_if7functorIS9_EEEE10hipError_tPvRmT1_T2_T3_mT4_P12ihipStream_tbEUlT_E0_NS1_11comp_targetILNS1_3genE3ELNS1_11target_archE908ELNS1_3gpuE7ELNS1_3repE0EEENS1_30default_config_static_selectorELNS0_4arch9wavefront6targetE1EEEvS14_: ; @_ZN7rocprim17ROCPRIM_400000_NS6detail17trampoline_kernelINS0_14default_configENS1_22reduce_config_selectorIN6thrust23THRUST_200600_302600_NS5tupleIblNS6_9null_typeES8_S8_S8_S8_S8_S8_S8_EEEEZNS1_11reduce_implILb1ES3_NS6_12zip_iteratorINS7_INS6_11hip_rocprim26transform_input_iterator_tIbNSD_35transform_pair_of_input_iterators_tIbNS6_6detail15normal_iteratorINS6_10device_ptrIKyEEEESL_NS6_8equal_toIyEEEENSG_9not_fun_tINSD_8identityEEEEENSD_19counting_iterator_tIlEES8_S8_S8_S8_S8_S8_S8_S8_EEEEPS9_S9_NSD_9__find_if7functorIS9_EEEE10hipError_tPvRmT1_T2_T3_mT4_P12ihipStream_tbEUlT_E0_NS1_11comp_targetILNS1_3genE3ELNS1_11target_archE908ELNS1_3gpuE7ELNS1_3repE0EEENS1_30default_config_static_selectorELNS0_4arch9wavefront6targetE1EEEvS14_
; %bb.0:
	.section	.rodata,"a",@progbits
	.p2align	6, 0x0
	.amdhsa_kernel _ZN7rocprim17ROCPRIM_400000_NS6detail17trampoline_kernelINS0_14default_configENS1_22reduce_config_selectorIN6thrust23THRUST_200600_302600_NS5tupleIblNS6_9null_typeES8_S8_S8_S8_S8_S8_S8_EEEEZNS1_11reduce_implILb1ES3_NS6_12zip_iteratorINS7_INS6_11hip_rocprim26transform_input_iterator_tIbNSD_35transform_pair_of_input_iterators_tIbNS6_6detail15normal_iteratorINS6_10device_ptrIKyEEEESL_NS6_8equal_toIyEEEENSG_9not_fun_tINSD_8identityEEEEENSD_19counting_iterator_tIlEES8_S8_S8_S8_S8_S8_S8_S8_EEEEPS9_S9_NSD_9__find_if7functorIS9_EEEE10hipError_tPvRmT1_T2_T3_mT4_P12ihipStream_tbEUlT_E0_NS1_11comp_targetILNS1_3genE3ELNS1_11target_archE908ELNS1_3gpuE7ELNS1_3repE0EEENS1_30default_config_static_selectorELNS0_4arch9wavefront6targetE1EEEvS14_
		.amdhsa_group_segment_fixed_size 0
		.amdhsa_private_segment_fixed_size 0
		.amdhsa_kernarg_size 104
		.amdhsa_user_sgpr_count 6
		.amdhsa_user_sgpr_private_segment_buffer 1
		.amdhsa_user_sgpr_dispatch_ptr 0
		.amdhsa_user_sgpr_queue_ptr 0
		.amdhsa_user_sgpr_kernarg_segment_ptr 1
		.amdhsa_user_sgpr_dispatch_id 0
		.amdhsa_user_sgpr_flat_scratch_init 0
		.amdhsa_user_sgpr_kernarg_preload_length 0
		.amdhsa_user_sgpr_kernarg_preload_offset 0
		.amdhsa_user_sgpr_private_segment_size 0
		.amdhsa_uses_dynamic_stack 0
		.amdhsa_system_sgpr_private_segment_wavefront_offset 0
		.amdhsa_system_sgpr_workgroup_id_x 1
		.amdhsa_system_sgpr_workgroup_id_y 0
		.amdhsa_system_sgpr_workgroup_id_z 0
		.amdhsa_system_sgpr_workgroup_info 0
		.amdhsa_system_vgpr_workitem_id 0
		.amdhsa_next_free_vgpr 1
		.amdhsa_next_free_sgpr 0
		.amdhsa_accum_offset 4
		.amdhsa_reserve_vcc 0
		.amdhsa_reserve_flat_scratch 0
		.amdhsa_float_round_mode_32 0
		.amdhsa_float_round_mode_16_64 0
		.amdhsa_float_denorm_mode_32 3
		.amdhsa_float_denorm_mode_16_64 3
		.amdhsa_dx10_clamp 1
		.amdhsa_ieee_mode 1
		.amdhsa_fp16_overflow 0
		.amdhsa_tg_split 0
		.amdhsa_exception_fp_ieee_invalid_op 0
		.amdhsa_exception_fp_denorm_src 0
		.amdhsa_exception_fp_ieee_div_zero 0
		.amdhsa_exception_fp_ieee_overflow 0
		.amdhsa_exception_fp_ieee_underflow 0
		.amdhsa_exception_fp_ieee_inexact 0
		.amdhsa_exception_int_div_zero 0
	.end_amdhsa_kernel
	.section	.text._ZN7rocprim17ROCPRIM_400000_NS6detail17trampoline_kernelINS0_14default_configENS1_22reduce_config_selectorIN6thrust23THRUST_200600_302600_NS5tupleIblNS6_9null_typeES8_S8_S8_S8_S8_S8_S8_EEEEZNS1_11reduce_implILb1ES3_NS6_12zip_iteratorINS7_INS6_11hip_rocprim26transform_input_iterator_tIbNSD_35transform_pair_of_input_iterators_tIbNS6_6detail15normal_iteratorINS6_10device_ptrIKyEEEESL_NS6_8equal_toIyEEEENSG_9not_fun_tINSD_8identityEEEEENSD_19counting_iterator_tIlEES8_S8_S8_S8_S8_S8_S8_S8_EEEEPS9_S9_NSD_9__find_if7functorIS9_EEEE10hipError_tPvRmT1_T2_T3_mT4_P12ihipStream_tbEUlT_E0_NS1_11comp_targetILNS1_3genE3ELNS1_11target_archE908ELNS1_3gpuE7ELNS1_3repE0EEENS1_30default_config_static_selectorELNS0_4arch9wavefront6targetE1EEEvS14_,"axG",@progbits,_ZN7rocprim17ROCPRIM_400000_NS6detail17trampoline_kernelINS0_14default_configENS1_22reduce_config_selectorIN6thrust23THRUST_200600_302600_NS5tupleIblNS6_9null_typeES8_S8_S8_S8_S8_S8_S8_EEEEZNS1_11reduce_implILb1ES3_NS6_12zip_iteratorINS7_INS6_11hip_rocprim26transform_input_iterator_tIbNSD_35transform_pair_of_input_iterators_tIbNS6_6detail15normal_iteratorINS6_10device_ptrIKyEEEESL_NS6_8equal_toIyEEEENSG_9not_fun_tINSD_8identityEEEEENSD_19counting_iterator_tIlEES8_S8_S8_S8_S8_S8_S8_S8_EEEEPS9_S9_NSD_9__find_if7functorIS9_EEEE10hipError_tPvRmT1_T2_T3_mT4_P12ihipStream_tbEUlT_E0_NS1_11comp_targetILNS1_3genE3ELNS1_11target_archE908ELNS1_3gpuE7ELNS1_3repE0EEENS1_30default_config_static_selectorELNS0_4arch9wavefront6targetE1EEEvS14_,comdat
.Lfunc_end117:
	.size	_ZN7rocprim17ROCPRIM_400000_NS6detail17trampoline_kernelINS0_14default_configENS1_22reduce_config_selectorIN6thrust23THRUST_200600_302600_NS5tupleIblNS6_9null_typeES8_S8_S8_S8_S8_S8_S8_EEEEZNS1_11reduce_implILb1ES3_NS6_12zip_iteratorINS7_INS6_11hip_rocprim26transform_input_iterator_tIbNSD_35transform_pair_of_input_iterators_tIbNS6_6detail15normal_iteratorINS6_10device_ptrIKyEEEESL_NS6_8equal_toIyEEEENSG_9not_fun_tINSD_8identityEEEEENSD_19counting_iterator_tIlEES8_S8_S8_S8_S8_S8_S8_S8_EEEEPS9_S9_NSD_9__find_if7functorIS9_EEEE10hipError_tPvRmT1_T2_T3_mT4_P12ihipStream_tbEUlT_E0_NS1_11comp_targetILNS1_3genE3ELNS1_11target_archE908ELNS1_3gpuE7ELNS1_3repE0EEENS1_30default_config_static_selectorELNS0_4arch9wavefront6targetE1EEEvS14_, .Lfunc_end117-_ZN7rocprim17ROCPRIM_400000_NS6detail17trampoline_kernelINS0_14default_configENS1_22reduce_config_selectorIN6thrust23THRUST_200600_302600_NS5tupleIblNS6_9null_typeES8_S8_S8_S8_S8_S8_S8_EEEEZNS1_11reduce_implILb1ES3_NS6_12zip_iteratorINS7_INS6_11hip_rocprim26transform_input_iterator_tIbNSD_35transform_pair_of_input_iterators_tIbNS6_6detail15normal_iteratorINS6_10device_ptrIKyEEEESL_NS6_8equal_toIyEEEENSG_9not_fun_tINSD_8identityEEEEENSD_19counting_iterator_tIlEES8_S8_S8_S8_S8_S8_S8_S8_EEEEPS9_S9_NSD_9__find_if7functorIS9_EEEE10hipError_tPvRmT1_T2_T3_mT4_P12ihipStream_tbEUlT_E0_NS1_11comp_targetILNS1_3genE3ELNS1_11target_archE908ELNS1_3gpuE7ELNS1_3repE0EEENS1_30default_config_static_selectorELNS0_4arch9wavefront6targetE1EEEvS14_
                                        ; -- End function
	.section	.AMDGPU.csdata,"",@progbits
; Kernel info:
; codeLenInByte = 0
; NumSgprs: 4
; NumVgprs: 0
; NumAgprs: 0
; TotalNumVgprs: 0
; ScratchSize: 0
; MemoryBound: 0
; FloatMode: 240
; IeeeMode: 1
; LDSByteSize: 0 bytes/workgroup (compile time only)
; SGPRBlocks: 0
; VGPRBlocks: 0
; NumSGPRsForWavesPerEU: 4
; NumVGPRsForWavesPerEU: 1
; AccumOffset: 4
; Occupancy: 8
; WaveLimiterHint : 0
; COMPUTE_PGM_RSRC2:SCRATCH_EN: 0
; COMPUTE_PGM_RSRC2:USER_SGPR: 6
; COMPUTE_PGM_RSRC2:TRAP_HANDLER: 0
; COMPUTE_PGM_RSRC2:TGID_X_EN: 1
; COMPUTE_PGM_RSRC2:TGID_Y_EN: 0
; COMPUTE_PGM_RSRC2:TGID_Z_EN: 0
; COMPUTE_PGM_RSRC2:TIDIG_COMP_CNT: 0
; COMPUTE_PGM_RSRC3_GFX90A:ACCUM_OFFSET: 0
; COMPUTE_PGM_RSRC3_GFX90A:TG_SPLIT: 0
	.section	.text._ZN7rocprim17ROCPRIM_400000_NS6detail17trampoline_kernelINS0_14default_configENS1_22reduce_config_selectorIN6thrust23THRUST_200600_302600_NS5tupleIblNS6_9null_typeES8_S8_S8_S8_S8_S8_S8_EEEEZNS1_11reduce_implILb1ES3_NS6_12zip_iteratorINS7_INS6_11hip_rocprim26transform_input_iterator_tIbNSD_35transform_pair_of_input_iterators_tIbNS6_6detail15normal_iteratorINS6_10device_ptrIKyEEEESL_NS6_8equal_toIyEEEENSG_9not_fun_tINSD_8identityEEEEENSD_19counting_iterator_tIlEES8_S8_S8_S8_S8_S8_S8_S8_EEEEPS9_S9_NSD_9__find_if7functorIS9_EEEE10hipError_tPvRmT1_T2_T3_mT4_P12ihipStream_tbEUlT_E0_NS1_11comp_targetILNS1_3genE2ELNS1_11target_archE906ELNS1_3gpuE6ELNS1_3repE0EEENS1_30default_config_static_selectorELNS0_4arch9wavefront6targetE1EEEvS14_,"axG",@progbits,_ZN7rocprim17ROCPRIM_400000_NS6detail17trampoline_kernelINS0_14default_configENS1_22reduce_config_selectorIN6thrust23THRUST_200600_302600_NS5tupleIblNS6_9null_typeES8_S8_S8_S8_S8_S8_S8_EEEEZNS1_11reduce_implILb1ES3_NS6_12zip_iteratorINS7_INS6_11hip_rocprim26transform_input_iterator_tIbNSD_35transform_pair_of_input_iterators_tIbNS6_6detail15normal_iteratorINS6_10device_ptrIKyEEEESL_NS6_8equal_toIyEEEENSG_9not_fun_tINSD_8identityEEEEENSD_19counting_iterator_tIlEES8_S8_S8_S8_S8_S8_S8_S8_EEEEPS9_S9_NSD_9__find_if7functorIS9_EEEE10hipError_tPvRmT1_T2_T3_mT4_P12ihipStream_tbEUlT_E0_NS1_11comp_targetILNS1_3genE2ELNS1_11target_archE906ELNS1_3gpuE6ELNS1_3repE0EEENS1_30default_config_static_selectorELNS0_4arch9wavefront6targetE1EEEvS14_,comdat
	.protected	_ZN7rocprim17ROCPRIM_400000_NS6detail17trampoline_kernelINS0_14default_configENS1_22reduce_config_selectorIN6thrust23THRUST_200600_302600_NS5tupleIblNS6_9null_typeES8_S8_S8_S8_S8_S8_S8_EEEEZNS1_11reduce_implILb1ES3_NS6_12zip_iteratorINS7_INS6_11hip_rocprim26transform_input_iterator_tIbNSD_35transform_pair_of_input_iterators_tIbNS6_6detail15normal_iteratorINS6_10device_ptrIKyEEEESL_NS6_8equal_toIyEEEENSG_9not_fun_tINSD_8identityEEEEENSD_19counting_iterator_tIlEES8_S8_S8_S8_S8_S8_S8_S8_EEEEPS9_S9_NSD_9__find_if7functorIS9_EEEE10hipError_tPvRmT1_T2_T3_mT4_P12ihipStream_tbEUlT_E0_NS1_11comp_targetILNS1_3genE2ELNS1_11target_archE906ELNS1_3gpuE6ELNS1_3repE0EEENS1_30default_config_static_selectorELNS0_4arch9wavefront6targetE1EEEvS14_ ; -- Begin function _ZN7rocprim17ROCPRIM_400000_NS6detail17trampoline_kernelINS0_14default_configENS1_22reduce_config_selectorIN6thrust23THRUST_200600_302600_NS5tupleIblNS6_9null_typeES8_S8_S8_S8_S8_S8_S8_EEEEZNS1_11reduce_implILb1ES3_NS6_12zip_iteratorINS7_INS6_11hip_rocprim26transform_input_iterator_tIbNSD_35transform_pair_of_input_iterators_tIbNS6_6detail15normal_iteratorINS6_10device_ptrIKyEEEESL_NS6_8equal_toIyEEEENSG_9not_fun_tINSD_8identityEEEEENSD_19counting_iterator_tIlEES8_S8_S8_S8_S8_S8_S8_S8_EEEEPS9_S9_NSD_9__find_if7functorIS9_EEEE10hipError_tPvRmT1_T2_T3_mT4_P12ihipStream_tbEUlT_E0_NS1_11comp_targetILNS1_3genE2ELNS1_11target_archE906ELNS1_3gpuE6ELNS1_3repE0EEENS1_30default_config_static_selectorELNS0_4arch9wavefront6targetE1EEEvS14_
	.globl	_ZN7rocprim17ROCPRIM_400000_NS6detail17trampoline_kernelINS0_14default_configENS1_22reduce_config_selectorIN6thrust23THRUST_200600_302600_NS5tupleIblNS6_9null_typeES8_S8_S8_S8_S8_S8_S8_EEEEZNS1_11reduce_implILb1ES3_NS6_12zip_iteratorINS7_INS6_11hip_rocprim26transform_input_iterator_tIbNSD_35transform_pair_of_input_iterators_tIbNS6_6detail15normal_iteratorINS6_10device_ptrIKyEEEESL_NS6_8equal_toIyEEEENSG_9not_fun_tINSD_8identityEEEEENSD_19counting_iterator_tIlEES8_S8_S8_S8_S8_S8_S8_S8_EEEEPS9_S9_NSD_9__find_if7functorIS9_EEEE10hipError_tPvRmT1_T2_T3_mT4_P12ihipStream_tbEUlT_E0_NS1_11comp_targetILNS1_3genE2ELNS1_11target_archE906ELNS1_3gpuE6ELNS1_3repE0EEENS1_30default_config_static_selectorELNS0_4arch9wavefront6targetE1EEEvS14_
	.p2align	8
	.type	_ZN7rocprim17ROCPRIM_400000_NS6detail17trampoline_kernelINS0_14default_configENS1_22reduce_config_selectorIN6thrust23THRUST_200600_302600_NS5tupleIblNS6_9null_typeES8_S8_S8_S8_S8_S8_S8_EEEEZNS1_11reduce_implILb1ES3_NS6_12zip_iteratorINS7_INS6_11hip_rocprim26transform_input_iterator_tIbNSD_35transform_pair_of_input_iterators_tIbNS6_6detail15normal_iteratorINS6_10device_ptrIKyEEEESL_NS6_8equal_toIyEEEENSG_9not_fun_tINSD_8identityEEEEENSD_19counting_iterator_tIlEES8_S8_S8_S8_S8_S8_S8_S8_EEEEPS9_S9_NSD_9__find_if7functorIS9_EEEE10hipError_tPvRmT1_T2_T3_mT4_P12ihipStream_tbEUlT_E0_NS1_11comp_targetILNS1_3genE2ELNS1_11target_archE906ELNS1_3gpuE6ELNS1_3repE0EEENS1_30default_config_static_selectorELNS0_4arch9wavefront6targetE1EEEvS14_,@function
_ZN7rocprim17ROCPRIM_400000_NS6detail17trampoline_kernelINS0_14default_configENS1_22reduce_config_selectorIN6thrust23THRUST_200600_302600_NS5tupleIblNS6_9null_typeES8_S8_S8_S8_S8_S8_S8_EEEEZNS1_11reduce_implILb1ES3_NS6_12zip_iteratorINS7_INS6_11hip_rocprim26transform_input_iterator_tIbNSD_35transform_pair_of_input_iterators_tIbNS6_6detail15normal_iteratorINS6_10device_ptrIKyEEEESL_NS6_8equal_toIyEEEENSG_9not_fun_tINSD_8identityEEEEENSD_19counting_iterator_tIlEES8_S8_S8_S8_S8_S8_S8_S8_EEEEPS9_S9_NSD_9__find_if7functorIS9_EEEE10hipError_tPvRmT1_T2_T3_mT4_P12ihipStream_tbEUlT_E0_NS1_11comp_targetILNS1_3genE2ELNS1_11target_archE906ELNS1_3gpuE6ELNS1_3repE0EEENS1_30default_config_static_selectorELNS0_4arch9wavefront6targetE1EEEvS14_: ; @_ZN7rocprim17ROCPRIM_400000_NS6detail17trampoline_kernelINS0_14default_configENS1_22reduce_config_selectorIN6thrust23THRUST_200600_302600_NS5tupleIblNS6_9null_typeES8_S8_S8_S8_S8_S8_S8_EEEEZNS1_11reduce_implILb1ES3_NS6_12zip_iteratorINS7_INS6_11hip_rocprim26transform_input_iterator_tIbNSD_35transform_pair_of_input_iterators_tIbNS6_6detail15normal_iteratorINS6_10device_ptrIKyEEEESL_NS6_8equal_toIyEEEENSG_9not_fun_tINSD_8identityEEEEENSD_19counting_iterator_tIlEES8_S8_S8_S8_S8_S8_S8_S8_EEEEPS9_S9_NSD_9__find_if7functorIS9_EEEE10hipError_tPvRmT1_T2_T3_mT4_P12ihipStream_tbEUlT_E0_NS1_11comp_targetILNS1_3genE2ELNS1_11target_archE906ELNS1_3gpuE6ELNS1_3repE0EEENS1_30default_config_static_selectorELNS0_4arch9wavefront6targetE1EEEvS14_
; %bb.0:
	.section	.rodata,"a",@progbits
	.p2align	6, 0x0
	.amdhsa_kernel _ZN7rocprim17ROCPRIM_400000_NS6detail17trampoline_kernelINS0_14default_configENS1_22reduce_config_selectorIN6thrust23THRUST_200600_302600_NS5tupleIblNS6_9null_typeES8_S8_S8_S8_S8_S8_S8_EEEEZNS1_11reduce_implILb1ES3_NS6_12zip_iteratorINS7_INS6_11hip_rocprim26transform_input_iterator_tIbNSD_35transform_pair_of_input_iterators_tIbNS6_6detail15normal_iteratorINS6_10device_ptrIKyEEEESL_NS6_8equal_toIyEEEENSG_9not_fun_tINSD_8identityEEEEENSD_19counting_iterator_tIlEES8_S8_S8_S8_S8_S8_S8_S8_EEEEPS9_S9_NSD_9__find_if7functorIS9_EEEE10hipError_tPvRmT1_T2_T3_mT4_P12ihipStream_tbEUlT_E0_NS1_11comp_targetILNS1_3genE2ELNS1_11target_archE906ELNS1_3gpuE6ELNS1_3repE0EEENS1_30default_config_static_selectorELNS0_4arch9wavefront6targetE1EEEvS14_
		.amdhsa_group_segment_fixed_size 0
		.amdhsa_private_segment_fixed_size 0
		.amdhsa_kernarg_size 104
		.amdhsa_user_sgpr_count 6
		.amdhsa_user_sgpr_private_segment_buffer 1
		.amdhsa_user_sgpr_dispatch_ptr 0
		.amdhsa_user_sgpr_queue_ptr 0
		.amdhsa_user_sgpr_kernarg_segment_ptr 1
		.amdhsa_user_sgpr_dispatch_id 0
		.amdhsa_user_sgpr_flat_scratch_init 0
		.amdhsa_user_sgpr_kernarg_preload_length 0
		.amdhsa_user_sgpr_kernarg_preload_offset 0
		.amdhsa_user_sgpr_private_segment_size 0
		.amdhsa_uses_dynamic_stack 0
		.amdhsa_system_sgpr_private_segment_wavefront_offset 0
		.amdhsa_system_sgpr_workgroup_id_x 1
		.amdhsa_system_sgpr_workgroup_id_y 0
		.amdhsa_system_sgpr_workgroup_id_z 0
		.amdhsa_system_sgpr_workgroup_info 0
		.amdhsa_system_vgpr_workitem_id 0
		.amdhsa_next_free_vgpr 1
		.amdhsa_next_free_sgpr 0
		.amdhsa_accum_offset 4
		.amdhsa_reserve_vcc 0
		.amdhsa_reserve_flat_scratch 0
		.amdhsa_float_round_mode_32 0
		.amdhsa_float_round_mode_16_64 0
		.amdhsa_float_denorm_mode_32 3
		.amdhsa_float_denorm_mode_16_64 3
		.amdhsa_dx10_clamp 1
		.amdhsa_ieee_mode 1
		.amdhsa_fp16_overflow 0
		.amdhsa_tg_split 0
		.amdhsa_exception_fp_ieee_invalid_op 0
		.amdhsa_exception_fp_denorm_src 0
		.amdhsa_exception_fp_ieee_div_zero 0
		.amdhsa_exception_fp_ieee_overflow 0
		.amdhsa_exception_fp_ieee_underflow 0
		.amdhsa_exception_fp_ieee_inexact 0
		.amdhsa_exception_int_div_zero 0
	.end_amdhsa_kernel
	.section	.text._ZN7rocprim17ROCPRIM_400000_NS6detail17trampoline_kernelINS0_14default_configENS1_22reduce_config_selectorIN6thrust23THRUST_200600_302600_NS5tupleIblNS6_9null_typeES8_S8_S8_S8_S8_S8_S8_EEEEZNS1_11reduce_implILb1ES3_NS6_12zip_iteratorINS7_INS6_11hip_rocprim26transform_input_iterator_tIbNSD_35transform_pair_of_input_iterators_tIbNS6_6detail15normal_iteratorINS6_10device_ptrIKyEEEESL_NS6_8equal_toIyEEEENSG_9not_fun_tINSD_8identityEEEEENSD_19counting_iterator_tIlEES8_S8_S8_S8_S8_S8_S8_S8_EEEEPS9_S9_NSD_9__find_if7functorIS9_EEEE10hipError_tPvRmT1_T2_T3_mT4_P12ihipStream_tbEUlT_E0_NS1_11comp_targetILNS1_3genE2ELNS1_11target_archE906ELNS1_3gpuE6ELNS1_3repE0EEENS1_30default_config_static_selectorELNS0_4arch9wavefront6targetE1EEEvS14_,"axG",@progbits,_ZN7rocprim17ROCPRIM_400000_NS6detail17trampoline_kernelINS0_14default_configENS1_22reduce_config_selectorIN6thrust23THRUST_200600_302600_NS5tupleIblNS6_9null_typeES8_S8_S8_S8_S8_S8_S8_EEEEZNS1_11reduce_implILb1ES3_NS6_12zip_iteratorINS7_INS6_11hip_rocprim26transform_input_iterator_tIbNSD_35transform_pair_of_input_iterators_tIbNS6_6detail15normal_iteratorINS6_10device_ptrIKyEEEESL_NS6_8equal_toIyEEEENSG_9not_fun_tINSD_8identityEEEEENSD_19counting_iterator_tIlEES8_S8_S8_S8_S8_S8_S8_S8_EEEEPS9_S9_NSD_9__find_if7functorIS9_EEEE10hipError_tPvRmT1_T2_T3_mT4_P12ihipStream_tbEUlT_E0_NS1_11comp_targetILNS1_3genE2ELNS1_11target_archE906ELNS1_3gpuE6ELNS1_3repE0EEENS1_30default_config_static_selectorELNS0_4arch9wavefront6targetE1EEEvS14_,comdat
.Lfunc_end118:
	.size	_ZN7rocprim17ROCPRIM_400000_NS6detail17trampoline_kernelINS0_14default_configENS1_22reduce_config_selectorIN6thrust23THRUST_200600_302600_NS5tupleIblNS6_9null_typeES8_S8_S8_S8_S8_S8_S8_EEEEZNS1_11reduce_implILb1ES3_NS6_12zip_iteratorINS7_INS6_11hip_rocprim26transform_input_iterator_tIbNSD_35transform_pair_of_input_iterators_tIbNS6_6detail15normal_iteratorINS6_10device_ptrIKyEEEESL_NS6_8equal_toIyEEEENSG_9not_fun_tINSD_8identityEEEEENSD_19counting_iterator_tIlEES8_S8_S8_S8_S8_S8_S8_S8_EEEEPS9_S9_NSD_9__find_if7functorIS9_EEEE10hipError_tPvRmT1_T2_T3_mT4_P12ihipStream_tbEUlT_E0_NS1_11comp_targetILNS1_3genE2ELNS1_11target_archE906ELNS1_3gpuE6ELNS1_3repE0EEENS1_30default_config_static_selectorELNS0_4arch9wavefront6targetE1EEEvS14_, .Lfunc_end118-_ZN7rocprim17ROCPRIM_400000_NS6detail17trampoline_kernelINS0_14default_configENS1_22reduce_config_selectorIN6thrust23THRUST_200600_302600_NS5tupleIblNS6_9null_typeES8_S8_S8_S8_S8_S8_S8_EEEEZNS1_11reduce_implILb1ES3_NS6_12zip_iteratorINS7_INS6_11hip_rocprim26transform_input_iterator_tIbNSD_35transform_pair_of_input_iterators_tIbNS6_6detail15normal_iteratorINS6_10device_ptrIKyEEEESL_NS6_8equal_toIyEEEENSG_9not_fun_tINSD_8identityEEEEENSD_19counting_iterator_tIlEES8_S8_S8_S8_S8_S8_S8_S8_EEEEPS9_S9_NSD_9__find_if7functorIS9_EEEE10hipError_tPvRmT1_T2_T3_mT4_P12ihipStream_tbEUlT_E0_NS1_11comp_targetILNS1_3genE2ELNS1_11target_archE906ELNS1_3gpuE6ELNS1_3repE0EEENS1_30default_config_static_selectorELNS0_4arch9wavefront6targetE1EEEvS14_
                                        ; -- End function
	.section	.AMDGPU.csdata,"",@progbits
; Kernel info:
; codeLenInByte = 0
; NumSgprs: 4
; NumVgprs: 0
; NumAgprs: 0
; TotalNumVgprs: 0
; ScratchSize: 0
; MemoryBound: 0
; FloatMode: 240
; IeeeMode: 1
; LDSByteSize: 0 bytes/workgroup (compile time only)
; SGPRBlocks: 0
; VGPRBlocks: 0
; NumSGPRsForWavesPerEU: 4
; NumVGPRsForWavesPerEU: 1
; AccumOffset: 4
; Occupancy: 8
; WaveLimiterHint : 0
; COMPUTE_PGM_RSRC2:SCRATCH_EN: 0
; COMPUTE_PGM_RSRC2:USER_SGPR: 6
; COMPUTE_PGM_RSRC2:TRAP_HANDLER: 0
; COMPUTE_PGM_RSRC2:TGID_X_EN: 1
; COMPUTE_PGM_RSRC2:TGID_Y_EN: 0
; COMPUTE_PGM_RSRC2:TGID_Z_EN: 0
; COMPUTE_PGM_RSRC2:TIDIG_COMP_CNT: 0
; COMPUTE_PGM_RSRC3_GFX90A:ACCUM_OFFSET: 0
; COMPUTE_PGM_RSRC3_GFX90A:TG_SPLIT: 0
	.section	.text._ZN7rocprim17ROCPRIM_400000_NS6detail17trampoline_kernelINS0_14default_configENS1_22reduce_config_selectorIN6thrust23THRUST_200600_302600_NS5tupleIblNS6_9null_typeES8_S8_S8_S8_S8_S8_S8_EEEEZNS1_11reduce_implILb1ES3_NS6_12zip_iteratorINS7_INS6_11hip_rocprim26transform_input_iterator_tIbNSD_35transform_pair_of_input_iterators_tIbNS6_6detail15normal_iteratorINS6_10device_ptrIKyEEEESL_NS6_8equal_toIyEEEENSG_9not_fun_tINSD_8identityEEEEENSD_19counting_iterator_tIlEES8_S8_S8_S8_S8_S8_S8_S8_EEEEPS9_S9_NSD_9__find_if7functorIS9_EEEE10hipError_tPvRmT1_T2_T3_mT4_P12ihipStream_tbEUlT_E0_NS1_11comp_targetILNS1_3genE10ELNS1_11target_archE1201ELNS1_3gpuE5ELNS1_3repE0EEENS1_30default_config_static_selectorELNS0_4arch9wavefront6targetE1EEEvS14_,"axG",@progbits,_ZN7rocprim17ROCPRIM_400000_NS6detail17trampoline_kernelINS0_14default_configENS1_22reduce_config_selectorIN6thrust23THRUST_200600_302600_NS5tupleIblNS6_9null_typeES8_S8_S8_S8_S8_S8_S8_EEEEZNS1_11reduce_implILb1ES3_NS6_12zip_iteratorINS7_INS6_11hip_rocprim26transform_input_iterator_tIbNSD_35transform_pair_of_input_iterators_tIbNS6_6detail15normal_iteratorINS6_10device_ptrIKyEEEESL_NS6_8equal_toIyEEEENSG_9not_fun_tINSD_8identityEEEEENSD_19counting_iterator_tIlEES8_S8_S8_S8_S8_S8_S8_S8_EEEEPS9_S9_NSD_9__find_if7functorIS9_EEEE10hipError_tPvRmT1_T2_T3_mT4_P12ihipStream_tbEUlT_E0_NS1_11comp_targetILNS1_3genE10ELNS1_11target_archE1201ELNS1_3gpuE5ELNS1_3repE0EEENS1_30default_config_static_selectorELNS0_4arch9wavefront6targetE1EEEvS14_,comdat
	.protected	_ZN7rocprim17ROCPRIM_400000_NS6detail17trampoline_kernelINS0_14default_configENS1_22reduce_config_selectorIN6thrust23THRUST_200600_302600_NS5tupleIblNS6_9null_typeES8_S8_S8_S8_S8_S8_S8_EEEEZNS1_11reduce_implILb1ES3_NS6_12zip_iteratorINS7_INS6_11hip_rocprim26transform_input_iterator_tIbNSD_35transform_pair_of_input_iterators_tIbNS6_6detail15normal_iteratorINS6_10device_ptrIKyEEEESL_NS6_8equal_toIyEEEENSG_9not_fun_tINSD_8identityEEEEENSD_19counting_iterator_tIlEES8_S8_S8_S8_S8_S8_S8_S8_EEEEPS9_S9_NSD_9__find_if7functorIS9_EEEE10hipError_tPvRmT1_T2_T3_mT4_P12ihipStream_tbEUlT_E0_NS1_11comp_targetILNS1_3genE10ELNS1_11target_archE1201ELNS1_3gpuE5ELNS1_3repE0EEENS1_30default_config_static_selectorELNS0_4arch9wavefront6targetE1EEEvS14_ ; -- Begin function _ZN7rocprim17ROCPRIM_400000_NS6detail17trampoline_kernelINS0_14default_configENS1_22reduce_config_selectorIN6thrust23THRUST_200600_302600_NS5tupleIblNS6_9null_typeES8_S8_S8_S8_S8_S8_S8_EEEEZNS1_11reduce_implILb1ES3_NS6_12zip_iteratorINS7_INS6_11hip_rocprim26transform_input_iterator_tIbNSD_35transform_pair_of_input_iterators_tIbNS6_6detail15normal_iteratorINS6_10device_ptrIKyEEEESL_NS6_8equal_toIyEEEENSG_9not_fun_tINSD_8identityEEEEENSD_19counting_iterator_tIlEES8_S8_S8_S8_S8_S8_S8_S8_EEEEPS9_S9_NSD_9__find_if7functorIS9_EEEE10hipError_tPvRmT1_T2_T3_mT4_P12ihipStream_tbEUlT_E0_NS1_11comp_targetILNS1_3genE10ELNS1_11target_archE1201ELNS1_3gpuE5ELNS1_3repE0EEENS1_30default_config_static_selectorELNS0_4arch9wavefront6targetE1EEEvS14_
	.globl	_ZN7rocprim17ROCPRIM_400000_NS6detail17trampoline_kernelINS0_14default_configENS1_22reduce_config_selectorIN6thrust23THRUST_200600_302600_NS5tupleIblNS6_9null_typeES8_S8_S8_S8_S8_S8_S8_EEEEZNS1_11reduce_implILb1ES3_NS6_12zip_iteratorINS7_INS6_11hip_rocprim26transform_input_iterator_tIbNSD_35transform_pair_of_input_iterators_tIbNS6_6detail15normal_iteratorINS6_10device_ptrIKyEEEESL_NS6_8equal_toIyEEEENSG_9not_fun_tINSD_8identityEEEEENSD_19counting_iterator_tIlEES8_S8_S8_S8_S8_S8_S8_S8_EEEEPS9_S9_NSD_9__find_if7functorIS9_EEEE10hipError_tPvRmT1_T2_T3_mT4_P12ihipStream_tbEUlT_E0_NS1_11comp_targetILNS1_3genE10ELNS1_11target_archE1201ELNS1_3gpuE5ELNS1_3repE0EEENS1_30default_config_static_selectorELNS0_4arch9wavefront6targetE1EEEvS14_
	.p2align	8
	.type	_ZN7rocprim17ROCPRIM_400000_NS6detail17trampoline_kernelINS0_14default_configENS1_22reduce_config_selectorIN6thrust23THRUST_200600_302600_NS5tupleIblNS6_9null_typeES8_S8_S8_S8_S8_S8_S8_EEEEZNS1_11reduce_implILb1ES3_NS6_12zip_iteratorINS7_INS6_11hip_rocprim26transform_input_iterator_tIbNSD_35transform_pair_of_input_iterators_tIbNS6_6detail15normal_iteratorINS6_10device_ptrIKyEEEESL_NS6_8equal_toIyEEEENSG_9not_fun_tINSD_8identityEEEEENSD_19counting_iterator_tIlEES8_S8_S8_S8_S8_S8_S8_S8_EEEEPS9_S9_NSD_9__find_if7functorIS9_EEEE10hipError_tPvRmT1_T2_T3_mT4_P12ihipStream_tbEUlT_E0_NS1_11comp_targetILNS1_3genE10ELNS1_11target_archE1201ELNS1_3gpuE5ELNS1_3repE0EEENS1_30default_config_static_selectorELNS0_4arch9wavefront6targetE1EEEvS14_,@function
_ZN7rocprim17ROCPRIM_400000_NS6detail17trampoline_kernelINS0_14default_configENS1_22reduce_config_selectorIN6thrust23THRUST_200600_302600_NS5tupleIblNS6_9null_typeES8_S8_S8_S8_S8_S8_S8_EEEEZNS1_11reduce_implILb1ES3_NS6_12zip_iteratorINS7_INS6_11hip_rocprim26transform_input_iterator_tIbNSD_35transform_pair_of_input_iterators_tIbNS6_6detail15normal_iteratorINS6_10device_ptrIKyEEEESL_NS6_8equal_toIyEEEENSG_9not_fun_tINSD_8identityEEEEENSD_19counting_iterator_tIlEES8_S8_S8_S8_S8_S8_S8_S8_EEEEPS9_S9_NSD_9__find_if7functorIS9_EEEE10hipError_tPvRmT1_T2_T3_mT4_P12ihipStream_tbEUlT_E0_NS1_11comp_targetILNS1_3genE10ELNS1_11target_archE1201ELNS1_3gpuE5ELNS1_3repE0EEENS1_30default_config_static_selectorELNS0_4arch9wavefront6targetE1EEEvS14_: ; @_ZN7rocprim17ROCPRIM_400000_NS6detail17trampoline_kernelINS0_14default_configENS1_22reduce_config_selectorIN6thrust23THRUST_200600_302600_NS5tupleIblNS6_9null_typeES8_S8_S8_S8_S8_S8_S8_EEEEZNS1_11reduce_implILb1ES3_NS6_12zip_iteratorINS7_INS6_11hip_rocprim26transform_input_iterator_tIbNSD_35transform_pair_of_input_iterators_tIbNS6_6detail15normal_iteratorINS6_10device_ptrIKyEEEESL_NS6_8equal_toIyEEEENSG_9not_fun_tINSD_8identityEEEEENSD_19counting_iterator_tIlEES8_S8_S8_S8_S8_S8_S8_S8_EEEEPS9_S9_NSD_9__find_if7functorIS9_EEEE10hipError_tPvRmT1_T2_T3_mT4_P12ihipStream_tbEUlT_E0_NS1_11comp_targetILNS1_3genE10ELNS1_11target_archE1201ELNS1_3gpuE5ELNS1_3repE0EEENS1_30default_config_static_selectorELNS0_4arch9wavefront6targetE1EEEvS14_
; %bb.0:
	.section	.rodata,"a",@progbits
	.p2align	6, 0x0
	.amdhsa_kernel _ZN7rocprim17ROCPRIM_400000_NS6detail17trampoline_kernelINS0_14default_configENS1_22reduce_config_selectorIN6thrust23THRUST_200600_302600_NS5tupleIblNS6_9null_typeES8_S8_S8_S8_S8_S8_S8_EEEEZNS1_11reduce_implILb1ES3_NS6_12zip_iteratorINS7_INS6_11hip_rocprim26transform_input_iterator_tIbNSD_35transform_pair_of_input_iterators_tIbNS6_6detail15normal_iteratorINS6_10device_ptrIKyEEEESL_NS6_8equal_toIyEEEENSG_9not_fun_tINSD_8identityEEEEENSD_19counting_iterator_tIlEES8_S8_S8_S8_S8_S8_S8_S8_EEEEPS9_S9_NSD_9__find_if7functorIS9_EEEE10hipError_tPvRmT1_T2_T3_mT4_P12ihipStream_tbEUlT_E0_NS1_11comp_targetILNS1_3genE10ELNS1_11target_archE1201ELNS1_3gpuE5ELNS1_3repE0EEENS1_30default_config_static_selectorELNS0_4arch9wavefront6targetE1EEEvS14_
		.amdhsa_group_segment_fixed_size 0
		.amdhsa_private_segment_fixed_size 0
		.amdhsa_kernarg_size 104
		.amdhsa_user_sgpr_count 6
		.amdhsa_user_sgpr_private_segment_buffer 1
		.amdhsa_user_sgpr_dispatch_ptr 0
		.amdhsa_user_sgpr_queue_ptr 0
		.amdhsa_user_sgpr_kernarg_segment_ptr 1
		.amdhsa_user_sgpr_dispatch_id 0
		.amdhsa_user_sgpr_flat_scratch_init 0
		.amdhsa_user_sgpr_kernarg_preload_length 0
		.amdhsa_user_sgpr_kernarg_preload_offset 0
		.amdhsa_user_sgpr_private_segment_size 0
		.amdhsa_uses_dynamic_stack 0
		.amdhsa_system_sgpr_private_segment_wavefront_offset 0
		.amdhsa_system_sgpr_workgroup_id_x 1
		.amdhsa_system_sgpr_workgroup_id_y 0
		.amdhsa_system_sgpr_workgroup_id_z 0
		.amdhsa_system_sgpr_workgroup_info 0
		.amdhsa_system_vgpr_workitem_id 0
		.amdhsa_next_free_vgpr 1
		.amdhsa_next_free_sgpr 0
		.amdhsa_accum_offset 4
		.amdhsa_reserve_vcc 0
		.amdhsa_reserve_flat_scratch 0
		.amdhsa_float_round_mode_32 0
		.amdhsa_float_round_mode_16_64 0
		.amdhsa_float_denorm_mode_32 3
		.amdhsa_float_denorm_mode_16_64 3
		.amdhsa_dx10_clamp 1
		.amdhsa_ieee_mode 1
		.amdhsa_fp16_overflow 0
		.amdhsa_tg_split 0
		.amdhsa_exception_fp_ieee_invalid_op 0
		.amdhsa_exception_fp_denorm_src 0
		.amdhsa_exception_fp_ieee_div_zero 0
		.amdhsa_exception_fp_ieee_overflow 0
		.amdhsa_exception_fp_ieee_underflow 0
		.amdhsa_exception_fp_ieee_inexact 0
		.amdhsa_exception_int_div_zero 0
	.end_amdhsa_kernel
	.section	.text._ZN7rocprim17ROCPRIM_400000_NS6detail17trampoline_kernelINS0_14default_configENS1_22reduce_config_selectorIN6thrust23THRUST_200600_302600_NS5tupleIblNS6_9null_typeES8_S8_S8_S8_S8_S8_S8_EEEEZNS1_11reduce_implILb1ES3_NS6_12zip_iteratorINS7_INS6_11hip_rocprim26transform_input_iterator_tIbNSD_35transform_pair_of_input_iterators_tIbNS6_6detail15normal_iteratorINS6_10device_ptrIKyEEEESL_NS6_8equal_toIyEEEENSG_9not_fun_tINSD_8identityEEEEENSD_19counting_iterator_tIlEES8_S8_S8_S8_S8_S8_S8_S8_EEEEPS9_S9_NSD_9__find_if7functorIS9_EEEE10hipError_tPvRmT1_T2_T3_mT4_P12ihipStream_tbEUlT_E0_NS1_11comp_targetILNS1_3genE10ELNS1_11target_archE1201ELNS1_3gpuE5ELNS1_3repE0EEENS1_30default_config_static_selectorELNS0_4arch9wavefront6targetE1EEEvS14_,"axG",@progbits,_ZN7rocprim17ROCPRIM_400000_NS6detail17trampoline_kernelINS0_14default_configENS1_22reduce_config_selectorIN6thrust23THRUST_200600_302600_NS5tupleIblNS6_9null_typeES8_S8_S8_S8_S8_S8_S8_EEEEZNS1_11reduce_implILb1ES3_NS6_12zip_iteratorINS7_INS6_11hip_rocprim26transform_input_iterator_tIbNSD_35transform_pair_of_input_iterators_tIbNS6_6detail15normal_iteratorINS6_10device_ptrIKyEEEESL_NS6_8equal_toIyEEEENSG_9not_fun_tINSD_8identityEEEEENSD_19counting_iterator_tIlEES8_S8_S8_S8_S8_S8_S8_S8_EEEEPS9_S9_NSD_9__find_if7functorIS9_EEEE10hipError_tPvRmT1_T2_T3_mT4_P12ihipStream_tbEUlT_E0_NS1_11comp_targetILNS1_3genE10ELNS1_11target_archE1201ELNS1_3gpuE5ELNS1_3repE0EEENS1_30default_config_static_selectorELNS0_4arch9wavefront6targetE1EEEvS14_,comdat
.Lfunc_end119:
	.size	_ZN7rocprim17ROCPRIM_400000_NS6detail17trampoline_kernelINS0_14default_configENS1_22reduce_config_selectorIN6thrust23THRUST_200600_302600_NS5tupleIblNS6_9null_typeES8_S8_S8_S8_S8_S8_S8_EEEEZNS1_11reduce_implILb1ES3_NS6_12zip_iteratorINS7_INS6_11hip_rocprim26transform_input_iterator_tIbNSD_35transform_pair_of_input_iterators_tIbNS6_6detail15normal_iteratorINS6_10device_ptrIKyEEEESL_NS6_8equal_toIyEEEENSG_9not_fun_tINSD_8identityEEEEENSD_19counting_iterator_tIlEES8_S8_S8_S8_S8_S8_S8_S8_EEEEPS9_S9_NSD_9__find_if7functorIS9_EEEE10hipError_tPvRmT1_T2_T3_mT4_P12ihipStream_tbEUlT_E0_NS1_11comp_targetILNS1_3genE10ELNS1_11target_archE1201ELNS1_3gpuE5ELNS1_3repE0EEENS1_30default_config_static_selectorELNS0_4arch9wavefront6targetE1EEEvS14_, .Lfunc_end119-_ZN7rocprim17ROCPRIM_400000_NS6detail17trampoline_kernelINS0_14default_configENS1_22reduce_config_selectorIN6thrust23THRUST_200600_302600_NS5tupleIblNS6_9null_typeES8_S8_S8_S8_S8_S8_S8_EEEEZNS1_11reduce_implILb1ES3_NS6_12zip_iteratorINS7_INS6_11hip_rocprim26transform_input_iterator_tIbNSD_35transform_pair_of_input_iterators_tIbNS6_6detail15normal_iteratorINS6_10device_ptrIKyEEEESL_NS6_8equal_toIyEEEENSG_9not_fun_tINSD_8identityEEEEENSD_19counting_iterator_tIlEES8_S8_S8_S8_S8_S8_S8_S8_EEEEPS9_S9_NSD_9__find_if7functorIS9_EEEE10hipError_tPvRmT1_T2_T3_mT4_P12ihipStream_tbEUlT_E0_NS1_11comp_targetILNS1_3genE10ELNS1_11target_archE1201ELNS1_3gpuE5ELNS1_3repE0EEENS1_30default_config_static_selectorELNS0_4arch9wavefront6targetE1EEEvS14_
                                        ; -- End function
	.section	.AMDGPU.csdata,"",@progbits
; Kernel info:
; codeLenInByte = 0
; NumSgprs: 4
; NumVgprs: 0
; NumAgprs: 0
; TotalNumVgprs: 0
; ScratchSize: 0
; MemoryBound: 0
; FloatMode: 240
; IeeeMode: 1
; LDSByteSize: 0 bytes/workgroup (compile time only)
; SGPRBlocks: 0
; VGPRBlocks: 0
; NumSGPRsForWavesPerEU: 4
; NumVGPRsForWavesPerEU: 1
; AccumOffset: 4
; Occupancy: 8
; WaveLimiterHint : 0
; COMPUTE_PGM_RSRC2:SCRATCH_EN: 0
; COMPUTE_PGM_RSRC2:USER_SGPR: 6
; COMPUTE_PGM_RSRC2:TRAP_HANDLER: 0
; COMPUTE_PGM_RSRC2:TGID_X_EN: 1
; COMPUTE_PGM_RSRC2:TGID_Y_EN: 0
; COMPUTE_PGM_RSRC2:TGID_Z_EN: 0
; COMPUTE_PGM_RSRC2:TIDIG_COMP_CNT: 0
; COMPUTE_PGM_RSRC3_GFX90A:ACCUM_OFFSET: 0
; COMPUTE_PGM_RSRC3_GFX90A:TG_SPLIT: 0
	.section	.text._ZN7rocprim17ROCPRIM_400000_NS6detail17trampoline_kernelINS0_14default_configENS1_22reduce_config_selectorIN6thrust23THRUST_200600_302600_NS5tupleIblNS6_9null_typeES8_S8_S8_S8_S8_S8_S8_EEEEZNS1_11reduce_implILb1ES3_NS6_12zip_iteratorINS7_INS6_11hip_rocprim26transform_input_iterator_tIbNSD_35transform_pair_of_input_iterators_tIbNS6_6detail15normal_iteratorINS6_10device_ptrIKyEEEESL_NS6_8equal_toIyEEEENSG_9not_fun_tINSD_8identityEEEEENSD_19counting_iterator_tIlEES8_S8_S8_S8_S8_S8_S8_S8_EEEEPS9_S9_NSD_9__find_if7functorIS9_EEEE10hipError_tPvRmT1_T2_T3_mT4_P12ihipStream_tbEUlT_E0_NS1_11comp_targetILNS1_3genE10ELNS1_11target_archE1200ELNS1_3gpuE4ELNS1_3repE0EEENS1_30default_config_static_selectorELNS0_4arch9wavefront6targetE1EEEvS14_,"axG",@progbits,_ZN7rocprim17ROCPRIM_400000_NS6detail17trampoline_kernelINS0_14default_configENS1_22reduce_config_selectorIN6thrust23THRUST_200600_302600_NS5tupleIblNS6_9null_typeES8_S8_S8_S8_S8_S8_S8_EEEEZNS1_11reduce_implILb1ES3_NS6_12zip_iteratorINS7_INS6_11hip_rocprim26transform_input_iterator_tIbNSD_35transform_pair_of_input_iterators_tIbNS6_6detail15normal_iteratorINS6_10device_ptrIKyEEEESL_NS6_8equal_toIyEEEENSG_9not_fun_tINSD_8identityEEEEENSD_19counting_iterator_tIlEES8_S8_S8_S8_S8_S8_S8_S8_EEEEPS9_S9_NSD_9__find_if7functorIS9_EEEE10hipError_tPvRmT1_T2_T3_mT4_P12ihipStream_tbEUlT_E0_NS1_11comp_targetILNS1_3genE10ELNS1_11target_archE1200ELNS1_3gpuE4ELNS1_3repE0EEENS1_30default_config_static_selectorELNS0_4arch9wavefront6targetE1EEEvS14_,comdat
	.protected	_ZN7rocprim17ROCPRIM_400000_NS6detail17trampoline_kernelINS0_14default_configENS1_22reduce_config_selectorIN6thrust23THRUST_200600_302600_NS5tupleIblNS6_9null_typeES8_S8_S8_S8_S8_S8_S8_EEEEZNS1_11reduce_implILb1ES3_NS6_12zip_iteratorINS7_INS6_11hip_rocprim26transform_input_iterator_tIbNSD_35transform_pair_of_input_iterators_tIbNS6_6detail15normal_iteratorINS6_10device_ptrIKyEEEESL_NS6_8equal_toIyEEEENSG_9not_fun_tINSD_8identityEEEEENSD_19counting_iterator_tIlEES8_S8_S8_S8_S8_S8_S8_S8_EEEEPS9_S9_NSD_9__find_if7functorIS9_EEEE10hipError_tPvRmT1_T2_T3_mT4_P12ihipStream_tbEUlT_E0_NS1_11comp_targetILNS1_3genE10ELNS1_11target_archE1200ELNS1_3gpuE4ELNS1_3repE0EEENS1_30default_config_static_selectorELNS0_4arch9wavefront6targetE1EEEvS14_ ; -- Begin function _ZN7rocprim17ROCPRIM_400000_NS6detail17trampoline_kernelINS0_14default_configENS1_22reduce_config_selectorIN6thrust23THRUST_200600_302600_NS5tupleIblNS6_9null_typeES8_S8_S8_S8_S8_S8_S8_EEEEZNS1_11reduce_implILb1ES3_NS6_12zip_iteratorINS7_INS6_11hip_rocprim26transform_input_iterator_tIbNSD_35transform_pair_of_input_iterators_tIbNS6_6detail15normal_iteratorINS6_10device_ptrIKyEEEESL_NS6_8equal_toIyEEEENSG_9not_fun_tINSD_8identityEEEEENSD_19counting_iterator_tIlEES8_S8_S8_S8_S8_S8_S8_S8_EEEEPS9_S9_NSD_9__find_if7functorIS9_EEEE10hipError_tPvRmT1_T2_T3_mT4_P12ihipStream_tbEUlT_E0_NS1_11comp_targetILNS1_3genE10ELNS1_11target_archE1200ELNS1_3gpuE4ELNS1_3repE0EEENS1_30default_config_static_selectorELNS0_4arch9wavefront6targetE1EEEvS14_
	.globl	_ZN7rocprim17ROCPRIM_400000_NS6detail17trampoline_kernelINS0_14default_configENS1_22reduce_config_selectorIN6thrust23THRUST_200600_302600_NS5tupleIblNS6_9null_typeES8_S8_S8_S8_S8_S8_S8_EEEEZNS1_11reduce_implILb1ES3_NS6_12zip_iteratorINS7_INS6_11hip_rocprim26transform_input_iterator_tIbNSD_35transform_pair_of_input_iterators_tIbNS6_6detail15normal_iteratorINS6_10device_ptrIKyEEEESL_NS6_8equal_toIyEEEENSG_9not_fun_tINSD_8identityEEEEENSD_19counting_iterator_tIlEES8_S8_S8_S8_S8_S8_S8_S8_EEEEPS9_S9_NSD_9__find_if7functorIS9_EEEE10hipError_tPvRmT1_T2_T3_mT4_P12ihipStream_tbEUlT_E0_NS1_11comp_targetILNS1_3genE10ELNS1_11target_archE1200ELNS1_3gpuE4ELNS1_3repE0EEENS1_30default_config_static_selectorELNS0_4arch9wavefront6targetE1EEEvS14_
	.p2align	8
	.type	_ZN7rocprim17ROCPRIM_400000_NS6detail17trampoline_kernelINS0_14default_configENS1_22reduce_config_selectorIN6thrust23THRUST_200600_302600_NS5tupleIblNS6_9null_typeES8_S8_S8_S8_S8_S8_S8_EEEEZNS1_11reduce_implILb1ES3_NS6_12zip_iteratorINS7_INS6_11hip_rocprim26transform_input_iterator_tIbNSD_35transform_pair_of_input_iterators_tIbNS6_6detail15normal_iteratorINS6_10device_ptrIKyEEEESL_NS6_8equal_toIyEEEENSG_9not_fun_tINSD_8identityEEEEENSD_19counting_iterator_tIlEES8_S8_S8_S8_S8_S8_S8_S8_EEEEPS9_S9_NSD_9__find_if7functorIS9_EEEE10hipError_tPvRmT1_T2_T3_mT4_P12ihipStream_tbEUlT_E0_NS1_11comp_targetILNS1_3genE10ELNS1_11target_archE1200ELNS1_3gpuE4ELNS1_3repE0EEENS1_30default_config_static_selectorELNS0_4arch9wavefront6targetE1EEEvS14_,@function
_ZN7rocprim17ROCPRIM_400000_NS6detail17trampoline_kernelINS0_14default_configENS1_22reduce_config_selectorIN6thrust23THRUST_200600_302600_NS5tupleIblNS6_9null_typeES8_S8_S8_S8_S8_S8_S8_EEEEZNS1_11reduce_implILb1ES3_NS6_12zip_iteratorINS7_INS6_11hip_rocprim26transform_input_iterator_tIbNSD_35transform_pair_of_input_iterators_tIbNS6_6detail15normal_iteratorINS6_10device_ptrIKyEEEESL_NS6_8equal_toIyEEEENSG_9not_fun_tINSD_8identityEEEEENSD_19counting_iterator_tIlEES8_S8_S8_S8_S8_S8_S8_S8_EEEEPS9_S9_NSD_9__find_if7functorIS9_EEEE10hipError_tPvRmT1_T2_T3_mT4_P12ihipStream_tbEUlT_E0_NS1_11comp_targetILNS1_3genE10ELNS1_11target_archE1200ELNS1_3gpuE4ELNS1_3repE0EEENS1_30default_config_static_selectorELNS0_4arch9wavefront6targetE1EEEvS14_: ; @_ZN7rocprim17ROCPRIM_400000_NS6detail17trampoline_kernelINS0_14default_configENS1_22reduce_config_selectorIN6thrust23THRUST_200600_302600_NS5tupleIblNS6_9null_typeES8_S8_S8_S8_S8_S8_S8_EEEEZNS1_11reduce_implILb1ES3_NS6_12zip_iteratorINS7_INS6_11hip_rocprim26transform_input_iterator_tIbNSD_35transform_pair_of_input_iterators_tIbNS6_6detail15normal_iteratorINS6_10device_ptrIKyEEEESL_NS6_8equal_toIyEEEENSG_9not_fun_tINSD_8identityEEEEENSD_19counting_iterator_tIlEES8_S8_S8_S8_S8_S8_S8_S8_EEEEPS9_S9_NSD_9__find_if7functorIS9_EEEE10hipError_tPvRmT1_T2_T3_mT4_P12ihipStream_tbEUlT_E0_NS1_11comp_targetILNS1_3genE10ELNS1_11target_archE1200ELNS1_3gpuE4ELNS1_3repE0EEENS1_30default_config_static_selectorELNS0_4arch9wavefront6targetE1EEEvS14_
; %bb.0:
	.section	.rodata,"a",@progbits
	.p2align	6, 0x0
	.amdhsa_kernel _ZN7rocprim17ROCPRIM_400000_NS6detail17trampoline_kernelINS0_14default_configENS1_22reduce_config_selectorIN6thrust23THRUST_200600_302600_NS5tupleIblNS6_9null_typeES8_S8_S8_S8_S8_S8_S8_EEEEZNS1_11reduce_implILb1ES3_NS6_12zip_iteratorINS7_INS6_11hip_rocprim26transform_input_iterator_tIbNSD_35transform_pair_of_input_iterators_tIbNS6_6detail15normal_iteratorINS6_10device_ptrIKyEEEESL_NS6_8equal_toIyEEEENSG_9not_fun_tINSD_8identityEEEEENSD_19counting_iterator_tIlEES8_S8_S8_S8_S8_S8_S8_S8_EEEEPS9_S9_NSD_9__find_if7functorIS9_EEEE10hipError_tPvRmT1_T2_T3_mT4_P12ihipStream_tbEUlT_E0_NS1_11comp_targetILNS1_3genE10ELNS1_11target_archE1200ELNS1_3gpuE4ELNS1_3repE0EEENS1_30default_config_static_selectorELNS0_4arch9wavefront6targetE1EEEvS14_
		.amdhsa_group_segment_fixed_size 0
		.amdhsa_private_segment_fixed_size 0
		.amdhsa_kernarg_size 104
		.amdhsa_user_sgpr_count 6
		.amdhsa_user_sgpr_private_segment_buffer 1
		.amdhsa_user_sgpr_dispatch_ptr 0
		.amdhsa_user_sgpr_queue_ptr 0
		.amdhsa_user_sgpr_kernarg_segment_ptr 1
		.amdhsa_user_sgpr_dispatch_id 0
		.amdhsa_user_sgpr_flat_scratch_init 0
		.amdhsa_user_sgpr_kernarg_preload_length 0
		.amdhsa_user_sgpr_kernarg_preload_offset 0
		.amdhsa_user_sgpr_private_segment_size 0
		.amdhsa_uses_dynamic_stack 0
		.amdhsa_system_sgpr_private_segment_wavefront_offset 0
		.amdhsa_system_sgpr_workgroup_id_x 1
		.amdhsa_system_sgpr_workgroup_id_y 0
		.amdhsa_system_sgpr_workgroup_id_z 0
		.amdhsa_system_sgpr_workgroup_info 0
		.amdhsa_system_vgpr_workitem_id 0
		.amdhsa_next_free_vgpr 1
		.amdhsa_next_free_sgpr 0
		.amdhsa_accum_offset 4
		.amdhsa_reserve_vcc 0
		.amdhsa_reserve_flat_scratch 0
		.amdhsa_float_round_mode_32 0
		.amdhsa_float_round_mode_16_64 0
		.amdhsa_float_denorm_mode_32 3
		.amdhsa_float_denorm_mode_16_64 3
		.amdhsa_dx10_clamp 1
		.amdhsa_ieee_mode 1
		.amdhsa_fp16_overflow 0
		.amdhsa_tg_split 0
		.amdhsa_exception_fp_ieee_invalid_op 0
		.amdhsa_exception_fp_denorm_src 0
		.amdhsa_exception_fp_ieee_div_zero 0
		.amdhsa_exception_fp_ieee_overflow 0
		.amdhsa_exception_fp_ieee_underflow 0
		.amdhsa_exception_fp_ieee_inexact 0
		.amdhsa_exception_int_div_zero 0
	.end_amdhsa_kernel
	.section	.text._ZN7rocprim17ROCPRIM_400000_NS6detail17trampoline_kernelINS0_14default_configENS1_22reduce_config_selectorIN6thrust23THRUST_200600_302600_NS5tupleIblNS6_9null_typeES8_S8_S8_S8_S8_S8_S8_EEEEZNS1_11reduce_implILb1ES3_NS6_12zip_iteratorINS7_INS6_11hip_rocprim26transform_input_iterator_tIbNSD_35transform_pair_of_input_iterators_tIbNS6_6detail15normal_iteratorINS6_10device_ptrIKyEEEESL_NS6_8equal_toIyEEEENSG_9not_fun_tINSD_8identityEEEEENSD_19counting_iterator_tIlEES8_S8_S8_S8_S8_S8_S8_S8_EEEEPS9_S9_NSD_9__find_if7functorIS9_EEEE10hipError_tPvRmT1_T2_T3_mT4_P12ihipStream_tbEUlT_E0_NS1_11comp_targetILNS1_3genE10ELNS1_11target_archE1200ELNS1_3gpuE4ELNS1_3repE0EEENS1_30default_config_static_selectorELNS0_4arch9wavefront6targetE1EEEvS14_,"axG",@progbits,_ZN7rocprim17ROCPRIM_400000_NS6detail17trampoline_kernelINS0_14default_configENS1_22reduce_config_selectorIN6thrust23THRUST_200600_302600_NS5tupleIblNS6_9null_typeES8_S8_S8_S8_S8_S8_S8_EEEEZNS1_11reduce_implILb1ES3_NS6_12zip_iteratorINS7_INS6_11hip_rocprim26transform_input_iterator_tIbNSD_35transform_pair_of_input_iterators_tIbNS6_6detail15normal_iteratorINS6_10device_ptrIKyEEEESL_NS6_8equal_toIyEEEENSG_9not_fun_tINSD_8identityEEEEENSD_19counting_iterator_tIlEES8_S8_S8_S8_S8_S8_S8_S8_EEEEPS9_S9_NSD_9__find_if7functorIS9_EEEE10hipError_tPvRmT1_T2_T3_mT4_P12ihipStream_tbEUlT_E0_NS1_11comp_targetILNS1_3genE10ELNS1_11target_archE1200ELNS1_3gpuE4ELNS1_3repE0EEENS1_30default_config_static_selectorELNS0_4arch9wavefront6targetE1EEEvS14_,comdat
.Lfunc_end120:
	.size	_ZN7rocprim17ROCPRIM_400000_NS6detail17trampoline_kernelINS0_14default_configENS1_22reduce_config_selectorIN6thrust23THRUST_200600_302600_NS5tupleIblNS6_9null_typeES8_S8_S8_S8_S8_S8_S8_EEEEZNS1_11reduce_implILb1ES3_NS6_12zip_iteratorINS7_INS6_11hip_rocprim26transform_input_iterator_tIbNSD_35transform_pair_of_input_iterators_tIbNS6_6detail15normal_iteratorINS6_10device_ptrIKyEEEESL_NS6_8equal_toIyEEEENSG_9not_fun_tINSD_8identityEEEEENSD_19counting_iterator_tIlEES8_S8_S8_S8_S8_S8_S8_S8_EEEEPS9_S9_NSD_9__find_if7functorIS9_EEEE10hipError_tPvRmT1_T2_T3_mT4_P12ihipStream_tbEUlT_E0_NS1_11comp_targetILNS1_3genE10ELNS1_11target_archE1200ELNS1_3gpuE4ELNS1_3repE0EEENS1_30default_config_static_selectorELNS0_4arch9wavefront6targetE1EEEvS14_, .Lfunc_end120-_ZN7rocprim17ROCPRIM_400000_NS6detail17trampoline_kernelINS0_14default_configENS1_22reduce_config_selectorIN6thrust23THRUST_200600_302600_NS5tupleIblNS6_9null_typeES8_S8_S8_S8_S8_S8_S8_EEEEZNS1_11reduce_implILb1ES3_NS6_12zip_iteratorINS7_INS6_11hip_rocprim26transform_input_iterator_tIbNSD_35transform_pair_of_input_iterators_tIbNS6_6detail15normal_iteratorINS6_10device_ptrIKyEEEESL_NS6_8equal_toIyEEEENSG_9not_fun_tINSD_8identityEEEEENSD_19counting_iterator_tIlEES8_S8_S8_S8_S8_S8_S8_S8_EEEEPS9_S9_NSD_9__find_if7functorIS9_EEEE10hipError_tPvRmT1_T2_T3_mT4_P12ihipStream_tbEUlT_E0_NS1_11comp_targetILNS1_3genE10ELNS1_11target_archE1200ELNS1_3gpuE4ELNS1_3repE0EEENS1_30default_config_static_selectorELNS0_4arch9wavefront6targetE1EEEvS14_
                                        ; -- End function
	.section	.AMDGPU.csdata,"",@progbits
; Kernel info:
; codeLenInByte = 0
; NumSgprs: 4
; NumVgprs: 0
; NumAgprs: 0
; TotalNumVgprs: 0
; ScratchSize: 0
; MemoryBound: 0
; FloatMode: 240
; IeeeMode: 1
; LDSByteSize: 0 bytes/workgroup (compile time only)
; SGPRBlocks: 0
; VGPRBlocks: 0
; NumSGPRsForWavesPerEU: 4
; NumVGPRsForWavesPerEU: 1
; AccumOffset: 4
; Occupancy: 8
; WaveLimiterHint : 0
; COMPUTE_PGM_RSRC2:SCRATCH_EN: 0
; COMPUTE_PGM_RSRC2:USER_SGPR: 6
; COMPUTE_PGM_RSRC2:TRAP_HANDLER: 0
; COMPUTE_PGM_RSRC2:TGID_X_EN: 1
; COMPUTE_PGM_RSRC2:TGID_Y_EN: 0
; COMPUTE_PGM_RSRC2:TGID_Z_EN: 0
; COMPUTE_PGM_RSRC2:TIDIG_COMP_CNT: 0
; COMPUTE_PGM_RSRC3_GFX90A:ACCUM_OFFSET: 0
; COMPUTE_PGM_RSRC3_GFX90A:TG_SPLIT: 0
	.section	.text._ZN7rocprim17ROCPRIM_400000_NS6detail17trampoline_kernelINS0_14default_configENS1_22reduce_config_selectorIN6thrust23THRUST_200600_302600_NS5tupleIblNS6_9null_typeES8_S8_S8_S8_S8_S8_S8_EEEEZNS1_11reduce_implILb1ES3_NS6_12zip_iteratorINS7_INS6_11hip_rocprim26transform_input_iterator_tIbNSD_35transform_pair_of_input_iterators_tIbNS6_6detail15normal_iteratorINS6_10device_ptrIKyEEEESL_NS6_8equal_toIyEEEENSG_9not_fun_tINSD_8identityEEEEENSD_19counting_iterator_tIlEES8_S8_S8_S8_S8_S8_S8_S8_EEEEPS9_S9_NSD_9__find_if7functorIS9_EEEE10hipError_tPvRmT1_T2_T3_mT4_P12ihipStream_tbEUlT_E0_NS1_11comp_targetILNS1_3genE9ELNS1_11target_archE1100ELNS1_3gpuE3ELNS1_3repE0EEENS1_30default_config_static_selectorELNS0_4arch9wavefront6targetE1EEEvS14_,"axG",@progbits,_ZN7rocprim17ROCPRIM_400000_NS6detail17trampoline_kernelINS0_14default_configENS1_22reduce_config_selectorIN6thrust23THRUST_200600_302600_NS5tupleIblNS6_9null_typeES8_S8_S8_S8_S8_S8_S8_EEEEZNS1_11reduce_implILb1ES3_NS6_12zip_iteratorINS7_INS6_11hip_rocprim26transform_input_iterator_tIbNSD_35transform_pair_of_input_iterators_tIbNS6_6detail15normal_iteratorINS6_10device_ptrIKyEEEESL_NS6_8equal_toIyEEEENSG_9not_fun_tINSD_8identityEEEEENSD_19counting_iterator_tIlEES8_S8_S8_S8_S8_S8_S8_S8_EEEEPS9_S9_NSD_9__find_if7functorIS9_EEEE10hipError_tPvRmT1_T2_T3_mT4_P12ihipStream_tbEUlT_E0_NS1_11comp_targetILNS1_3genE9ELNS1_11target_archE1100ELNS1_3gpuE3ELNS1_3repE0EEENS1_30default_config_static_selectorELNS0_4arch9wavefront6targetE1EEEvS14_,comdat
	.protected	_ZN7rocprim17ROCPRIM_400000_NS6detail17trampoline_kernelINS0_14default_configENS1_22reduce_config_selectorIN6thrust23THRUST_200600_302600_NS5tupleIblNS6_9null_typeES8_S8_S8_S8_S8_S8_S8_EEEEZNS1_11reduce_implILb1ES3_NS6_12zip_iteratorINS7_INS6_11hip_rocprim26transform_input_iterator_tIbNSD_35transform_pair_of_input_iterators_tIbNS6_6detail15normal_iteratorINS6_10device_ptrIKyEEEESL_NS6_8equal_toIyEEEENSG_9not_fun_tINSD_8identityEEEEENSD_19counting_iterator_tIlEES8_S8_S8_S8_S8_S8_S8_S8_EEEEPS9_S9_NSD_9__find_if7functorIS9_EEEE10hipError_tPvRmT1_T2_T3_mT4_P12ihipStream_tbEUlT_E0_NS1_11comp_targetILNS1_3genE9ELNS1_11target_archE1100ELNS1_3gpuE3ELNS1_3repE0EEENS1_30default_config_static_selectorELNS0_4arch9wavefront6targetE1EEEvS14_ ; -- Begin function _ZN7rocprim17ROCPRIM_400000_NS6detail17trampoline_kernelINS0_14default_configENS1_22reduce_config_selectorIN6thrust23THRUST_200600_302600_NS5tupleIblNS6_9null_typeES8_S8_S8_S8_S8_S8_S8_EEEEZNS1_11reduce_implILb1ES3_NS6_12zip_iteratorINS7_INS6_11hip_rocprim26transform_input_iterator_tIbNSD_35transform_pair_of_input_iterators_tIbNS6_6detail15normal_iteratorINS6_10device_ptrIKyEEEESL_NS6_8equal_toIyEEEENSG_9not_fun_tINSD_8identityEEEEENSD_19counting_iterator_tIlEES8_S8_S8_S8_S8_S8_S8_S8_EEEEPS9_S9_NSD_9__find_if7functorIS9_EEEE10hipError_tPvRmT1_T2_T3_mT4_P12ihipStream_tbEUlT_E0_NS1_11comp_targetILNS1_3genE9ELNS1_11target_archE1100ELNS1_3gpuE3ELNS1_3repE0EEENS1_30default_config_static_selectorELNS0_4arch9wavefront6targetE1EEEvS14_
	.globl	_ZN7rocprim17ROCPRIM_400000_NS6detail17trampoline_kernelINS0_14default_configENS1_22reduce_config_selectorIN6thrust23THRUST_200600_302600_NS5tupleIblNS6_9null_typeES8_S8_S8_S8_S8_S8_S8_EEEEZNS1_11reduce_implILb1ES3_NS6_12zip_iteratorINS7_INS6_11hip_rocprim26transform_input_iterator_tIbNSD_35transform_pair_of_input_iterators_tIbNS6_6detail15normal_iteratorINS6_10device_ptrIKyEEEESL_NS6_8equal_toIyEEEENSG_9not_fun_tINSD_8identityEEEEENSD_19counting_iterator_tIlEES8_S8_S8_S8_S8_S8_S8_S8_EEEEPS9_S9_NSD_9__find_if7functorIS9_EEEE10hipError_tPvRmT1_T2_T3_mT4_P12ihipStream_tbEUlT_E0_NS1_11comp_targetILNS1_3genE9ELNS1_11target_archE1100ELNS1_3gpuE3ELNS1_3repE0EEENS1_30default_config_static_selectorELNS0_4arch9wavefront6targetE1EEEvS14_
	.p2align	8
	.type	_ZN7rocprim17ROCPRIM_400000_NS6detail17trampoline_kernelINS0_14default_configENS1_22reduce_config_selectorIN6thrust23THRUST_200600_302600_NS5tupleIblNS6_9null_typeES8_S8_S8_S8_S8_S8_S8_EEEEZNS1_11reduce_implILb1ES3_NS6_12zip_iteratorINS7_INS6_11hip_rocprim26transform_input_iterator_tIbNSD_35transform_pair_of_input_iterators_tIbNS6_6detail15normal_iteratorINS6_10device_ptrIKyEEEESL_NS6_8equal_toIyEEEENSG_9not_fun_tINSD_8identityEEEEENSD_19counting_iterator_tIlEES8_S8_S8_S8_S8_S8_S8_S8_EEEEPS9_S9_NSD_9__find_if7functorIS9_EEEE10hipError_tPvRmT1_T2_T3_mT4_P12ihipStream_tbEUlT_E0_NS1_11comp_targetILNS1_3genE9ELNS1_11target_archE1100ELNS1_3gpuE3ELNS1_3repE0EEENS1_30default_config_static_selectorELNS0_4arch9wavefront6targetE1EEEvS14_,@function
_ZN7rocprim17ROCPRIM_400000_NS6detail17trampoline_kernelINS0_14default_configENS1_22reduce_config_selectorIN6thrust23THRUST_200600_302600_NS5tupleIblNS6_9null_typeES8_S8_S8_S8_S8_S8_S8_EEEEZNS1_11reduce_implILb1ES3_NS6_12zip_iteratorINS7_INS6_11hip_rocprim26transform_input_iterator_tIbNSD_35transform_pair_of_input_iterators_tIbNS6_6detail15normal_iteratorINS6_10device_ptrIKyEEEESL_NS6_8equal_toIyEEEENSG_9not_fun_tINSD_8identityEEEEENSD_19counting_iterator_tIlEES8_S8_S8_S8_S8_S8_S8_S8_EEEEPS9_S9_NSD_9__find_if7functorIS9_EEEE10hipError_tPvRmT1_T2_T3_mT4_P12ihipStream_tbEUlT_E0_NS1_11comp_targetILNS1_3genE9ELNS1_11target_archE1100ELNS1_3gpuE3ELNS1_3repE0EEENS1_30default_config_static_selectorELNS0_4arch9wavefront6targetE1EEEvS14_: ; @_ZN7rocprim17ROCPRIM_400000_NS6detail17trampoline_kernelINS0_14default_configENS1_22reduce_config_selectorIN6thrust23THRUST_200600_302600_NS5tupleIblNS6_9null_typeES8_S8_S8_S8_S8_S8_S8_EEEEZNS1_11reduce_implILb1ES3_NS6_12zip_iteratorINS7_INS6_11hip_rocprim26transform_input_iterator_tIbNSD_35transform_pair_of_input_iterators_tIbNS6_6detail15normal_iteratorINS6_10device_ptrIKyEEEESL_NS6_8equal_toIyEEEENSG_9not_fun_tINSD_8identityEEEEENSD_19counting_iterator_tIlEES8_S8_S8_S8_S8_S8_S8_S8_EEEEPS9_S9_NSD_9__find_if7functorIS9_EEEE10hipError_tPvRmT1_T2_T3_mT4_P12ihipStream_tbEUlT_E0_NS1_11comp_targetILNS1_3genE9ELNS1_11target_archE1100ELNS1_3gpuE3ELNS1_3repE0EEENS1_30default_config_static_selectorELNS0_4arch9wavefront6targetE1EEEvS14_
; %bb.0:
	.section	.rodata,"a",@progbits
	.p2align	6, 0x0
	.amdhsa_kernel _ZN7rocprim17ROCPRIM_400000_NS6detail17trampoline_kernelINS0_14default_configENS1_22reduce_config_selectorIN6thrust23THRUST_200600_302600_NS5tupleIblNS6_9null_typeES8_S8_S8_S8_S8_S8_S8_EEEEZNS1_11reduce_implILb1ES3_NS6_12zip_iteratorINS7_INS6_11hip_rocprim26transform_input_iterator_tIbNSD_35transform_pair_of_input_iterators_tIbNS6_6detail15normal_iteratorINS6_10device_ptrIKyEEEESL_NS6_8equal_toIyEEEENSG_9not_fun_tINSD_8identityEEEEENSD_19counting_iterator_tIlEES8_S8_S8_S8_S8_S8_S8_S8_EEEEPS9_S9_NSD_9__find_if7functorIS9_EEEE10hipError_tPvRmT1_T2_T3_mT4_P12ihipStream_tbEUlT_E0_NS1_11comp_targetILNS1_3genE9ELNS1_11target_archE1100ELNS1_3gpuE3ELNS1_3repE0EEENS1_30default_config_static_selectorELNS0_4arch9wavefront6targetE1EEEvS14_
		.amdhsa_group_segment_fixed_size 0
		.amdhsa_private_segment_fixed_size 0
		.amdhsa_kernarg_size 104
		.amdhsa_user_sgpr_count 6
		.amdhsa_user_sgpr_private_segment_buffer 1
		.amdhsa_user_sgpr_dispatch_ptr 0
		.amdhsa_user_sgpr_queue_ptr 0
		.amdhsa_user_sgpr_kernarg_segment_ptr 1
		.amdhsa_user_sgpr_dispatch_id 0
		.amdhsa_user_sgpr_flat_scratch_init 0
		.amdhsa_user_sgpr_kernarg_preload_length 0
		.amdhsa_user_sgpr_kernarg_preload_offset 0
		.amdhsa_user_sgpr_private_segment_size 0
		.amdhsa_uses_dynamic_stack 0
		.amdhsa_system_sgpr_private_segment_wavefront_offset 0
		.amdhsa_system_sgpr_workgroup_id_x 1
		.amdhsa_system_sgpr_workgroup_id_y 0
		.amdhsa_system_sgpr_workgroup_id_z 0
		.amdhsa_system_sgpr_workgroup_info 0
		.amdhsa_system_vgpr_workitem_id 0
		.amdhsa_next_free_vgpr 1
		.amdhsa_next_free_sgpr 0
		.amdhsa_accum_offset 4
		.amdhsa_reserve_vcc 0
		.amdhsa_reserve_flat_scratch 0
		.amdhsa_float_round_mode_32 0
		.amdhsa_float_round_mode_16_64 0
		.amdhsa_float_denorm_mode_32 3
		.amdhsa_float_denorm_mode_16_64 3
		.amdhsa_dx10_clamp 1
		.amdhsa_ieee_mode 1
		.amdhsa_fp16_overflow 0
		.amdhsa_tg_split 0
		.amdhsa_exception_fp_ieee_invalid_op 0
		.amdhsa_exception_fp_denorm_src 0
		.amdhsa_exception_fp_ieee_div_zero 0
		.amdhsa_exception_fp_ieee_overflow 0
		.amdhsa_exception_fp_ieee_underflow 0
		.amdhsa_exception_fp_ieee_inexact 0
		.amdhsa_exception_int_div_zero 0
	.end_amdhsa_kernel
	.section	.text._ZN7rocprim17ROCPRIM_400000_NS6detail17trampoline_kernelINS0_14default_configENS1_22reduce_config_selectorIN6thrust23THRUST_200600_302600_NS5tupleIblNS6_9null_typeES8_S8_S8_S8_S8_S8_S8_EEEEZNS1_11reduce_implILb1ES3_NS6_12zip_iteratorINS7_INS6_11hip_rocprim26transform_input_iterator_tIbNSD_35transform_pair_of_input_iterators_tIbNS6_6detail15normal_iteratorINS6_10device_ptrIKyEEEESL_NS6_8equal_toIyEEEENSG_9not_fun_tINSD_8identityEEEEENSD_19counting_iterator_tIlEES8_S8_S8_S8_S8_S8_S8_S8_EEEEPS9_S9_NSD_9__find_if7functorIS9_EEEE10hipError_tPvRmT1_T2_T3_mT4_P12ihipStream_tbEUlT_E0_NS1_11comp_targetILNS1_3genE9ELNS1_11target_archE1100ELNS1_3gpuE3ELNS1_3repE0EEENS1_30default_config_static_selectorELNS0_4arch9wavefront6targetE1EEEvS14_,"axG",@progbits,_ZN7rocprim17ROCPRIM_400000_NS6detail17trampoline_kernelINS0_14default_configENS1_22reduce_config_selectorIN6thrust23THRUST_200600_302600_NS5tupleIblNS6_9null_typeES8_S8_S8_S8_S8_S8_S8_EEEEZNS1_11reduce_implILb1ES3_NS6_12zip_iteratorINS7_INS6_11hip_rocprim26transform_input_iterator_tIbNSD_35transform_pair_of_input_iterators_tIbNS6_6detail15normal_iteratorINS6_10device_ptrIKyEEEESL_NS6_8equal_toIyEEEENSG_9not_fun_tINSD_8identityEEEEENSD_19counting_iterator_tIlEES8_S8_S8_S8_S8_S8_S8_S8_EEEEPS9_S9_NSD_9__find_if7functorIS9_EEEE10hipError_tPvRmT1_T2_T3_mT4_P12ihipStream_tbEUlT_E0_NS1_11comp_targetILNS1_3genE9ELNS1_11target_archE1100ELNS1_3gpuE3ELNS1_3repE0EEENS1_30default_config_static_selectorELNS0_4arch9wavefront6targetE1EEEvS14_,comdat
.Lfunc_end121:
	.size	_ZN7rocprim17ROCPRIM_400000_NS6detail17trampoline_kernelINS0_14default_configENS1_22reduce_config_selectorIN6thrust23THRUST_200600_302600_NS5tupleIblNS6_9null_typeES8_S8_S8_S8_S8_S8_S8_EEEEZNS1_11reduce_implILb1ES3_NS6_12zip_iteratorINS7_INS6_11hip_rocprim26transform_input_iterator_tIbNSD_35transform_pair_of_input_iterators_tIbNS6_6detail15normal_iteratorINS6_10device_ptrIKyEEEESL_NS6_8equal_toIyEEEENSG_9not_fun_tINSD_8identityEEEEENSD_19counting_iterator_tIlEES8_S8_S8_S8_S8_S8_S8_S8_EEEEPS9_S9_NSD_9__find_if7functorIS9_EEEE10hipError_tPvRmT1_T2_T3_mT4_P12ihipStream_tbEUlT_E0_NS1_11comp_targetILNS1_3genE9ELNS1_11target_archE1100ELNS1_3gpuE3ELNS1_3repE0EEENS1_30default_config_static_selectorELNS0_4arch9wavefront6targetE1EEEvS14_, .Lfunc_end121-_ZN7rocprim17ROCPRIM_400000_NS6detail17trampoline_kernelINS0_14default_configENS1_22reduce_config_selectorIN6thrust23THRUST_200600_302600_NS5tupleIblNS6_9null_typeES8_S8_S8_S8_S8_S8_S8_EEEEZNS1_11reduce_implILb1ES3_NS6_12zip_iteratorINS7_INS6_11hip_rocprim26transform_input_iterator_tIbNSD_35transform_pair_of_input_iterators_tIbNS6_6detail15normal_iteratorINS6_10device_ptrIKyEEEESL_NS6_8equal_toIyEEEENSG_9not_fun_tINSD_8identityEEEEENSD_19counting_iterator_tIlEES8_S8_S8_S8_S8_S8_S8_S8_EEEEPS9_S9_NSD_9__find_if7functorIS9_EEEE10hipError_tPvRmT1_T2_T3_mT4_P12ihipStream_tbEUlT_E0_NS1_11comp_targetILNS1_3genE9ELNS1_11target_archE1100ELNS1_3gpuE3ELNS1_3repE0EEENS1_30default_config_static_selectorELNS0_4arch9wavefront6targetE1EEEvS14_
                                        ; -- End function
	.section	.AMDGPU.csdata,"",@progbits
; Kernel info:
; codeLenInByte = 0
; NumSgprs: 4
; NumVgprs: 0
; NumAgprs: 0
; TotalNumVgprs: 0
; ScratchSize: 0
; MemoryBound: 0
; FloatMode: 240
; IeeeMode: 1
; LDSByteSize: 0 bytes/workgroup (compile time only)
; SGPRBlocks: 0
; VGPRBlocks: 0
; NumSGPRsForWavesPerEU: 4
; NumVGPRsForWavesPerEU: 1
; AccumOffset: 4
; Occupancy: 8
; WaveLimiterHint : 0
; COMPUTE_PGM_RSRC2:SCRATCH_EN: 0
; COMPUTE_PGM_RSRC2:USER_SGPR: 6
; COMPUTE_PGM_RSRC2:TRAP_HANDLER: 0
; COMPUTE_PGM_RSRC2:TGID_X_EN: 1
; COMPUTE_PGM_RSRC2:TGID_Y_EN: 0
; COMPUTE_PGM_RSRC2:TGID_Z_EN: 0
; COMPUTE_PGM_RSRC2:TIDIG_COMP_CNT: 0
; COMPUTE_PGM_RSRC3_GFX90A:ACCUM_OFFSET: 0
; COMPUTE_PGM_RSRC3_GFX90A:TG_SPLIT: 0
	.section	.text._ZN7rocprim17ROCPRIM_400000_NS6detail17trampoline_kernelINS0_14default_configENS1_22reduce_config_selectorIN6thrust23THRUST_200600_302600_NS5tupleIblNS6_9null_typeES8_S8_S8_S8_S8_S8_S8_EEEEZNS1_11reduce_implILb1ES3_NS6_12zip_iteratorINS7_INS6_11hip_rocprim26transform_input_iterator_tIbNSD_35transform_pair_of_input_iterators_tIbNS6_6detail15normal_iteratorINS6_10device_ptrIKyEEEESL_NS6_8equal_toIyEEEENSG_9not_fun_tINSD_8identityEEEEENSD_19counting_iterator_tIlEES8_S8_S8_S8_S8_S8_S8_S8_EEEEPS9_S9_NSD_9__find_if7functorIS9_EEEE10hipError_tPvRmT1_T2_T3_mT4_P12ihipStream_tbEUlT_E0_NS1_11comp_targetILNS1_3genE8ELNS1_11target_archE1030ELNS1_3gpuE2ELNS1_3repE0EEENS1_30default_config_static_selectorELNS0_4arch9wavefront6targetE1EEEvS14_,"axG",@progbits,_ZN7rocprim17ROCPRIM_400000_NS6detail17trampoline_kernelINS0_14default_configENS1_22reduce_config_selectorIN6thrust23THRUST_200600_302600_NS5tupleIblNS6_9null_typeES8_S8_S8_S8_S8_S8_S8_EEEEZNS1_11reduce_implILb1ES3_NS6_12zip_iteratorINS7_INS6_11hip_rocprim26transform_input_iterator_tIbNSD_35transform_pair_of_input_iterators_tIbNS6_6detail15normal_iteratorINS6_10device_ptrIKyEEEESL_NS6_8equal_toIyEEEENSG_9not_fun_tINSD_8identityEEEEENSD_19counting_iterator_tIlEES8_S8_S8_S8_S8_S8_S8_S8_EEEEPS9_S9_NSD_9__find_if7functorIS9_EEEE10hipError_tPvRmT1_T2_T3_mT4_P12ihipStream_tbEUlT_E0_NS1_11comp_targetILNS1_3genE8ELNS1_11target_archE1030ELNS1_3gpuE2ELNS1_3repE0EEENS1_30default_config_static_selectorELNS0_4arch9wavefront6targetE1EEEvS14_,comdat
	.protected	_ZN7rocprim17ROCPRIM_400000_NS6detail17trampoline_kernelINS0_14default_configENS1_22reduce_config_selectorIN6thrust23THRUST_200600_302600_NS5tupleIblNS6_9null_typeES8_S8_S8_S8_S8_S8_S8_EEEEZNS1_11reduce_implILb1ES3_NS6_12zip_iteratorINS7_INS6_11hip_rocprim26transform_input_iterator_tIbNSD_35transform_pair_of_input_iterators_tIbNS6_6detail15normal_iteratorINS6_10device_ptrIKyEEEESL_NS6_8equal_toIyEEEENSG_9not_fun_tINSD_8identityEEEEENSD_19counting_iterator_tIlEES8_S8_S8_S8_S8_S8_S8_S8_EEEEPS9_S9_NSD_9__find_if7functorIS9_EEEE10hipError_tPvRmT1_T2_T3_mT4_P12ihipStream_tbEUlT_E0_NS1_11comp_targetILNS1_3genE8ELNS1_11target_archE1030ELNS1_3gpuE2ELNS1_3repE0EEENS1_30default_config_static_selectorELNS0_4arch9wavefront6targetE1EEEvS14_ ; -- Begin function _ZN7rocprim17ROCPRIM_400000_NS6detail17trampoline_kernelINS0_14default_configENS1_22reduce_config_selectorIN6thrust23THRUST_200600_302600_NS5tupleIblNS6_9null_typeES8_S8_S8_S8_S8_S8_S8_EEEEZNS1_11reduce_implILb1ES3_NS6_12zip_iteratorINS7_INS6_11hip_rocprim26transform_input_iterator_tIbNSD_35transform_pair_of_input_iterators_tIbNS6_6detail15normal_iteratorINS6_10device_ptrIKyEEEESL_NS6_8equal_toIyEEEENSG_9not_fun_tINSD_8identityEEEEENSD_19counting_iterator_tIlEES8_S8_S8_S8_S8_S8_S8_S8_EEEEPS9_S9_NSD_9__find_if7functorIS9_EEEE10hipError_tPvRmT1_T2_T3_mT4_P12ihipStream_tbEUlT_E0_NS1_11comp_targetILNS1_3genE8ELNS1_11target_archE1030ELNS1_3gpuE2ELNS1_3repE0EEENS1_30default_config_static_selectorELNS0_4arch9wavefront6targetE1EEEvS14_
	.globl	_ZN7rocprim17ROCPRIM_400000_NS6detail17trampoline_kernelINS0_14default_configENS1_22reduce_config_selectorIN6thrust23THRUST_200600_302600_NS5tupleIblNS6_9null_typeES8_S8_S8_S8_S8_S8_S8_EEEEZNS1_11reduce_implILb1ES3_NS6_12zip_iteratorINS7_INS6_11hip_rocprim26transform_input_iterator_tIbNSD_35transform_pair_of_input_iterators_tIbNS6_6detail15normal_iteratorINS6_10device_ptrIKyEEEESL_NS6_8equal_toIyEEEENSG_9not_fun_tINSD_8identityEEEEENSD_19counting_iterator_tIlEES8_S8_S8_S8_S8_S8_S8_S8_EEEEPS9_S9_NSD_9__find_if7functorIS9_EEEE10hipError_tPvRmT1_T2_T3_mT4_P12ihipStream_tbEUlT_E0_NS1_11comp_targetILNS1_3genE8ELNS1_11target_archE1030ELNS1_3gpuE2ELNS1_3repE0EEENS1_30default_config_static_selectorELNS0_4arch9wavefront6targetE1EEEvS14_
	.p2align	8
	.type	_ZN7rocprim17ROCPRIM_400000_NS6detail17trampoline_kernelINS0_14default_configENS1_22reduce_config_selectorIN6thrust23THRUST_200600_302600_NS5tupleIblNS6_9null_typeES8_S8_S8_S8_S8_S8_S8_EEEEZNS1_11reduce_implILb1ES3_NS6_12zip_iteratorINS7_INS6_11hip_rocprim26transform_input_iterator_tIbNSD_35transform_pair_of_input_iterators_tIbNS6_6detail15normal_iteratorINS6_10device_ptrIKyEEEESL_NS6_8equal_toIyEEEENSG_9not_fun_tINSD_8identityEEEEENSD_19counting_iterator_tIlEES8_S8_S8_S8_S8_S8_S8_S8_EEEEPS9_S9_NSD_9__find_if7functorIS9_EEEE10hipError_tPvRmT1_T2_T3_mT4_P12ihipStream_tbEUlT_E0_NS1_11comp_targetILNS1_3genE8ELNS1_11target_archE1030ELNS1_3gpuE2ELNS1_3repE0EEENS1_30default_config_static_selectorELNS0_4arch9wavefront6targetE1EEEvS14_,@function
_ZN7rocprim17ROCPRIM_400000_NS6detail17trampoline_kernelINS0_14default_configENS1_22reduce_config_selectorIN6thrust23THRUST_200600_302600_NS5tupleIblNS6_9null_typeES8_S8_S8_S8_S8_S8_S8_EEEEZNS1_11reduce_implILb1ES3_NS6_12zip_iteratorINS7_INS6_11hip_rocprim26transform_input_iterator_tIbNSD_35transform_pair_of_input_iterators_tIbNS6_6detail15normal_iteratorINS6_10device_ptrIKyEEEESL_NS6_8equal_toIyEEEENSG_9not_fun_tINSD_8identityEEEEENSD_19counting_iterator_tIlEES8_S8_S8_S8_S8_S8_S8_S8_EEEEPS9_S9_NSD_9__find_if7functorIS9_EEEE10hipError_tPvRmT1_T2_T3_mT4_P12ihipStream_tbEUlT_E0_NS1_11comp_targetILNS1_3genE8ELNS1_11target_archE1030ELNS1_3gpuE2ELNS1_3repE0EEENS1_30default_config_static_selectorELNS0_4arch9wavefront6targetE1EEEvS14_: ; @_ZN7rocprim17ROCPRIM_400000_NS6detail17trampoline_kernelINS0_14default_configENS1_22reduce_config_selectorIN6thrust23THRUST_200600_302600_NS5tupleIblNS6_9null_typeES8_S8_S8_S8_S8_S8_S8_EEEEZNS1_11reduce_implILb1ES3_NS6_12zip_iteratorINS7_INS6_11hip_rocprim26transform_input_iterator_tIbNSD_35transform_pair_of_input_iterators_tIbNS6_6detail15normal_iteratorINS6_10device_ptrIKyEEEESL_NS6_8equal_toIyEEEENSG_9not_fun_tINSD_8identityEEEEENSD_19counting_iterator_tIlEES8_S8_S8_S8_S8_S8_S8_S8_EEEEPS9_S9_NSD_9__find_if7functorIS9_EEEE10hipError_tPvRmT1_T2_T3_mT4_P12ihipStream_tbEUlT_E0_NS1_11comp_targetILNS1_3genE8ELNS1_11target_archE1030ELNS1_3gpuE2ELNS1_3repE0EEENS1_30default_config_static_selectorELNS0_4arch9wavefront6targetE1EEEvS14_
; %bb.0:
	.section	.rodata,"a",@progbits
	.p2align	6, 0x0
	.amdhsa_kernel _ZN7rocprim17ROCPRIM_400000_NS6detail17trampoline_kernelINS0_14default_configENS1_22reduce_config_selectorIN6thrust23THRUST_200600_302600_NS5tupleIblNS6_9null_typeES8_S8_S8_S8_S8_S8_S8_EEEEZNS1_11reduce_implILb1ES3_NS6_12zip_iteratorINS7_INS6_11hip_rocprim26transform_input_iterator_tIbNSD_35transform_pair_of_input_iterators_tIbNS6_6detail15normal_iteratorINS6_10device_ptrIKyEEEESL_NS6_8equal_toIyEEEENSG_9not_fun_tINSD_8identityEEEEENSD_19counting_iterator_tIlEES8_S8_S8_S8_S8_S8_S8_S8_EEEEPS9_S9_NSD_9__find_if7functorIS9_EEEE10hipError_tPvRmT1_T2_T3_mT4_P12ihipStream_tbEUlT_E0_NS1_11comp_targetILNS1_3genE8ELNS1_11target_archE1030ELNS1_3gpuE2ELNS1_3repE0EEENS1_30default_config_static_selectorELNS0_4arch9wavefront6targetE1EEEvS14_
		.amdhsa_group_segment_fixed_size 0
		.amdhsa_private_segment_fixed_size 0
		.amdhsa_kernarg_size 104
		.amdhsa_user_sgpr_count 6
		.amdhsa_user_sgpr_private_segment_buffer 1
		.amdhsa_user_sgpr_dispatch_ptr 0
		.amdhsa_user_sgpr_queue_ptr 0
		.amdhsa_user_sgpr_kernarg_segment_ptr 1
		.amdhsa_user_sgpr_dispatch_id 0
		.amdhsa_user_sgpr_flat_scratch_init 0
		.amdhsa_user_sgpr_kernarg_preload_length 0
		.amdhsa_user_sgpr_kernarg_preload_offset 0
		.amdhsa_user_sgpr_private_segment_size 0
		.amdhsa_uses_dynamic_stack 0
		.amdhsa_system_sgpr_private_segment_wavefront_offset 0
		.amdhsa_system_sgpr_workgroup_id_x 1
		.amdhsa_system_sgpr_workgroup_id_y 0
		.amdhsa_system_sgpr_workgroup_id_z 0
		.amdhsa_system_sgpr_workgroup_info 0
		.amdhsa_system_vgpr_workitem_id 0
		.amdhsa_next_free_vgpr 1
		.amdhsa_next_free_sgpr 0
		.amdhsa_accum_offset 4
		.amdhsa_reserve_vcc 0
		.amdhsa_reserve_flat_scratch 0
		.amdhsa_float_round_mode_32 0
		.amdhsa_float_round_mode_16_64 0
		.amdhsa_float_denorm_mode_32 3
		.amdhsa_float_denorm_mode_16_64 3
		.amdhsa_dx10_clamp 1
		.amdhsa_ieee_mode 1
		.amdhsa_fp16_overflow 0
		.amdhsa_tg_split 0
		.amdhsa_exception_fp_ieee_invalid_op 0
		.amdhsa_exception_fp_denorm_src 0
		.amdhsa_exception_fp_ieee_div_zero 0
		.amdhsa_exception_fp_ieee_overflow 0
		.amdhsa_exception_fp_ieee_underflow 0
		.amdhsa_exception_fp_ieee_inexact 0
		.amdhsa_exception_int_div_zero 0
	.end_amdhsa_kernel
	.section	.text._ZN7rocprim17ROCPRIM_400000_NS6detail17trampoline_kernelINS0_14default_configENS1_22reduce_config_selectorIN6thrust23THRUST_200600_302600_NS5tupleIblNS6_9null_typeES8_S8_S8_S8_S8_S8_S8_EEEEZNS1_11reduce_implILb1ES3_NS6_12zip_iteratorINS7_INS6_11hip_rocprim26transform_input_iterator_tIbNSD_35transform_pair_of_input_iterators_tIbNS6_6detail15normal_iteratorINS6_10device_ptrIKyEEEESL_NS6_8equal_toIyEEEENSG_9not_fun_tINSD_8identityEEEEENSD_19counting_iterator_tIlEES8_S8_S8_S8_S8_S8_S8_S8_EEEEPS9_S9_NSD_9__find_if7functorIS9_EEEE10hipError_tPvRmT1_T2_T3_mT4_P12ihipStream_tbEUlT_E0_NS1_11comp_targetILNS1_3genE8ELNS1_11target_archE1030ELNS1_3gpuE2ELNS1_3repE0EEENS1_30default_config_static_selectorELNS0_4arch9wavefront6targetE1EEEvS14_,"axG",@progbits,_ZN7rocprim17ROCPRIM_400000_NS6detail17trampoline_kernelINS0_14default_configENS1_22reduce_config_selectorIN6thrust23THRUST_200600_302600_NS5tupleIblNS6_9null_typeES8_S8_S8_S8_S8_S8_S8_EEEEZNS1_11reduce_implILb1ES3_NS6_12zip_iteratorINS7_INS6_11hip_rocprim26transform_input_iterator_tIbNSD_35transform_pair_of_input_iterators_tIbNS6_6detail15normal_iteratorINS6_10device_ptrIKyEEEESL_NS6_8equal_toIyEEEENSG_9not_fun_tINSD_8identityEEEEENSD_19counting_iterator_tIlEES8_S8_S8_S8_S8_S8_S8_S8_EEEEPS9_S9_NSD_9__find_if7functorIS9_EEEE10hipError_tPvRmT1_T2_T3_mT4_P12ihipStream_tbEUlT_E0_NS1_11comp_targetILNS1_3genE8ELNS1_11target_archE1030ELNS1_3gpuE2ELNS1_3repE0EEENS1_30default_config_static_selectorELNS0_4arch9wavefront6targetE1EEEvS14_,comdat
.Lfunc_end122:
	.size	_ZN7rocprim17ROCPRIM_400000_NS6detail17trampoline_kernelINS0_14default_configENS1_22reduce_config_selectorIN6thrust23THRUST_200600_302600_NS5tupleIblNS6_9null_typeES8_S8_S8_S8_S8_S8_S8_EEEEZNS1_11reduce_implILb1ES3_NS6_12zip_iteratorINS7_INS6_11hip_rocprim26transform_input_iterator_tIbNSD_35transform_pair_of_input_iterators_tIbNS6_6detail15normal_iteratorINS6_10device_ptrIKyEEEESL_NS6_8equal_toIyEEEENSG_9not_fun_tINSD_8identityEEEEENSD_19counting_iterator_tIlEES8_S8_S8_S8_S8_S8_S8_S8_EEEEPS9_S9_NSD_9__find_if7functorIS9_EEEE10hipError_tPvRmT1_T2_T3_mT4_P12ihipStream_tbEUlT_E0_NS1_11comp_targetILNS1_3genE8ELNS1_11target_archE1030ELNS1_3gpuE2ELNS1_3repE0EEENS1_30default_config_static_selectorELNS0_4arch9wavefront6targetE1EEEvS14_, .Lfunc_end122-_ZN7rocprim17ROCPRIM_400000_NS6detail17trampoline_kernelINS0_14default_configENS1_22reduce_config_selectorIN6thrust23THRUST_200600_302600_NS5tupleIblNS6_9null_typeES8_S8_S8_S8_S8_S8_S8_EEEEZNS1_11reduce_implILb1ES3_NS6_12zip_iteratorINS7_INS6_11hip_rocprim26transform_input_iterator_tIbNSD_35transform_pair_of_input_iterators_tIbNS6_6detail15normal_iteratorINS6_10device_ptrIKyEEEESL_NS6_8equal_toIyEEEENSG_9not_fun_tINSD_8identityEEEEENSD_19counting_iterator_tIlEES8_S8_S8_S8_S8_S8_S8_S8_EEEEPS9_S9_NSD_9__find_if7functorIS9_EEEE10hipError_tPvRmT1_T2_T3_mT4_P12ihipStream_tbEUlT_E0_NS1_11comp_targetILNS1_3genE8ELNS1_11target_archE1030ELNS1_3gpuE2ELNS1_3repE0EEENS1_30default_config_static_selectorELNS0_4arch9wavefront6targetE1EEEvS14_
                                        ; -- End function
	.section	.AMDGPU.csdata,"",@progbits
; Kernel info:
; codeLenInByte = 0
; NumSgprs: 4
; NumVgprs: 0
; NumAgprs: 0
; TotalNumVgprs: 0
; ScratchSize: 0
; MemoryBound: 0
; FloatMode: 240
; IeeeMode: 1
; LDSByteSize: 0 bytes/workgroup (compile time only)
; SGPRBlocks: 0
; VGPRBlocks: 0
; NumSGPRsForWavesPerEU: 4
; NumVGPRsForWavesPerEU: 1
; AccumOffset: 4
; Occupancy: 8
; WaveLimiterHint : 0
; COMPUTE_PGM_RSRC2:SCRATCH_EN: 0
; COMPUTE_PGM_RSRC2:USER_SGPR: 6
; COMPUTE_PGM_RSRC2:TRAP_HANDLER: 0
; COMPUTE_PGM_RSRC2:TGID_X_EN: 1
; COMPUTE_PGM_RSRC2:TGID_Y_EN: 0
; COMPUTE_PGM_RSRC2:TGID_Z_EN: 0
; COMPUTE_PGM_RSRC2:TIDIG_COMP_CNT: 0
; COMPUTE_PGM_RSRC3_GFX90A:ACCUM_OFFSET: 0
; COMPUTE_PGM_RSRC3_GFX90A:TG_SPLIT: 0
	.section	.text._ZN7rocprim17ROCPRIM_400000_NS6detail17trampoline_kernelINS0_14default_configENS1_22reduce_config_selectorIN6thrust23THRUST_200600_302600_NS5tupleIblNS6_9null_typeES8_S8_S8_S8_S8_S8_S8_EEEEZNS1_11reduce_implILb1ES3_NS6_12zip_iteratorINS7_INS6_11hip_rocprim26transform_input_iterator_tIbNSD_35transform_pair_of_input_iterators_tIbNS6_6detail15normal_iteratorINS6_10device_ptrIKyEEEESL_NS6_8equal_toIyEEEENSG_9not_fun_tINSD_8identityEEEEENSD_19counting_iterator_tIlEES8_S8_S8_S8_S8_S8_S8_S8_EEEEPS9_S9_NSD_9__find_if7functorIS9_EEEE10hipError_tPvRmT1_T2_T3_mT4_P12ihipStream_tbEUlT_E1_NS1_11comp_targetILNS1_3genE0ELNS1_11target_archE4294967295ELNS1_3gpuE0ELNS1_3repE0EEENS1_30default_config_static_selectorELNS0_4arch9wavefront6targetE1EEEvS14_,"axG",@progbits,_ZN7rocprim17ROCPRIM_400000_NS6detail17trampoline_kernelINS0_14default_configENS1_22reduce_config_selectorIN6thrust23THRUST_200600_302600_NS5tupleIblNS6_9null_typeES8_S8_S8_S8_S8_S8_S8_EEEEZNS1_11reduce_implILb1ES3_NS6_12zip_iteratorINS7_INS6_11hip_rocprim26transform_input_iterator_tIbNSD_35transform_pair_of_input_iterators_tIbNS6_6detail15normal_iteratorINS6_10device_ptrIKyEEEESL_NS6_8equal_toIyEEEENSG_9not_fun_tINSD_8identityEEEEENSD_19counting_iterator_tIlEES8_S8_S8_S8_S8_S8_S8_S8_EEEEPS9_S9_NSD_9__find_if7functorIS9_EEEE10hipError_tPvRmT1_T2_T3_mT4_P12ihipStream_tbEUlT_E1_NS1_11comp_targetILNS1_3genE0ELNS1_11target_archE4294967295ELNS1_3gpuE0ELNS1_3repE0EEENS1_30default_config_static_selectorELNS0_4arch9wavefront6targetE1EEEvS14_,comdat
	.protected	_ZN7rocprim17ROCPRIM_400000_NS6detail17trampoline_kernelINS0_14default_configENS1_22reduce_config_selectorIN6thrust23THRUST_200600_302600_NS5tupleIblNS6_9null_typeES8_S8_S8_S8_S8_S8_S8_EEEEZNS1_11reduce_implILb1ES3_NS6_12zip_iteratorINS7_INS6_11hip_rocprim26transform_input_iterator_tIbNSD_35transform_pair_of_input_iterators_tIbNS6_6detail15normal_iteratorINS6_10device_ptrIKyEEEESL_NS6_8equal_toIyEEEENSG_9not_fun_tINSD_8identityEEEEENSD_19counting_iterator_tIlEES8_S8_S8_S8_S8_S8_S8_S8_EEEEPS9_S9_NSD_9__find_if7functorIS9_EEEE10hipError_tPvRmT1_T2_T3_mT4_P12ihipStream_tbEUlT_E1_NS1_11comp_targetILNS1_3genE0ELNS1_11target_archE4294967295ELNS1_3gpuE0ELNS1_3repE0EEENS1_30default_config_static_selectorELNS0_4arch9wavefront6targetE1EEEvS14_ ; -- Begin function _ZN7rocprim17ROCPRIM_400000_NS6detail17trampoline_kernelINS0_14default_configENS1_22reduce_config_selectorIN6thrust23THRUST_200600_302600_NS5tupleIblNS6_9null_typeES8_S8_S8_S8_S8_S8_S8_EEEEZNS1_11reduce_implILb1ES3_NS6_12zip_iteratorINS7_INS6_11hip_rocprim26transform_input_iterator_tIbNSD_35transform_pair_of_input_iterators_tIbNS6_6detail15normal_iteratorINS6_10device_ptrIKyEEEESL_NS6_8equal_toIyEEEENSG_9not_fun_tINSD_8identityEEEEENSD_19counting_iterator_tIlEES8_S8_S8_S8_S8_S8_S8_S8_EEEEPS9_S9_NSD_9__find_if7functorIS9_EEEE10hipError_tPvRmT1_T2_T3_mT4_P12ihipStream_tbEUlT_E1_NS1_11comp_targetILNS1_3genE0ELNS1_11target_archE4294967295ELNS1_3gpuE0ELNS1_3repE0EEENS1_30default_config_static_selectorELNS0_4arch9wavefront6targetE1EEEvS14_
	.globl	_ZN7rocprim17ROCPRIM_400000_NS6detail17trampoline_kernelINS0_14default_configENS1_22reduce_config_selectorIN6thrust23THRUST_200600_302600_NS5tupleIblNS6_9null_typeES8_S8_S8_S8_S8_S8_S8_EEEEZNS1_11reduce_implILb1ES3_NS6_12zip_iteratorINS7_INS6_11hip_rocprim26transform_input_iterator_tIbNSD_35transform_pair_of_input_iterators_tIbNS6_6detail15normal_iteratorINS6_10device_ptrIKyEEEESL_NS6_8equal_toIyEEEENSG_9not_fun_tINSD_8identityEEEEENSD_19counting_iterator_tIlEES8_S8_S8_S8_S8_S8_S8_S8_EEEEPS9_S9_NSD_9__find_if7functorIS9_EEEE10hipError_tPvRmT1_T2_T3_mT4_P12ihipStream_tbEUlT_E1_NS1_11comp_targetILNS1_3genE0ELNS1_11target_archE4294967295ELNS1_3gpuE0ELNS1_3repE0EEENS1_30default_config_static_selectorELNS0_4arch9wavefront6targetE1EEEvS14_
	.p2align	8
	.type	_ZN7rocprim17ROCPRIM_400000_NS6detail17trampoline_kernelINS0_14default_configENS1_22reduce_config_selectorIN6thrust23THRUST_200600_302600_NS5tupleIblNS6_9null_typeES8_S8_S8_S8_S8_S8_S8_EEEEZNS1_11reduce_implILb1ES3_NS6_12zip_iteratorINS7_INS6_11hip_rocprim26transform_input_iterator_tIbNSD_35transform_pair_of_input_iterators_tIbNS6_6detail15normal_iteratorINS6_10device_ptrIKyEEEESL_NS6_8equal_toIyEEEENSG_9not_fun_tINSD_8identityEEEEENSD_19counting_iterator_tIlEES8_S8_S8_S8_S8_S8_S8_S8_EEEEPS9_S9_NSD_9__find_if7functorIS9_EEEE10hipError_tPvRmT1_T2_T3_mT4_P12ihipStream_tbEUlT_E1_NS1_11comp_targetILNS1_3genE0ELNS1_11target_archE4294967295ELNS1_3gpuE0ELNS1_3repE0EEENS1_30default_config_static_selectorELNS0_4arch9wavefront6targetE1EEEvS14_,@function
_ZN7rocprim17ROCPRIM_400000_NS6detail17trampoline_kernelINS0_14default_configENS1_22reduce_config_selectorIN6thrust23THRUST_200600_302600_NS5tupleIblNS6_9null_typeES8_S8_S8_S8_S8_S8_S8_EEEEZNS1_11reduce_implILb1ES3_NS6_12zip_iteratorINS7_INS6_11hip_rocprim26transform_input_iterator_tIbNSD_35transform_pair_of_input_iterators_tIbNS6_6detail15normal_iteratorINS6_10device_ptrIKyEEEESL_NS6_8equal_toIyEEEENSG_9not_fun_tINSD_8identityEEEEENSD_19counting_iterator_tIlEES8_S8_S8_S8_S8_S8_S8_S8_EEEEPS9_S9_NSD_9__find_if7functorIS9_EEEE10hipError_tPvRmT1_T2_T3_mT4_P12ihipStream_tbEUlT_E1_NS1_11comp_targetILNS1_3genE0ELNS1_11target_archE4294967295ELNS1_3gpuE0ELNS1_3repE0EEENS1_30default_config_static_selectorELNS0_4arch9wavefront6targetE1EEEvS14_: ; @_ZN7rocprim17ROCPRIM_400000_NS6detail17trampoline_kernelINS0_14default_configENS1_22reduce_config_selectorIN6thrust23THRUST_200600_302600_NS5tupleIblNS6_9null_typeES8_S8_S8_S8_S8_S8_S8_EEEEZNS1_11reduce_implILb1ES3_NS6_12zip_iteratorINS7_INS6_11hip_rocprim26transform_input_iterator_tIbNSD_35transform_pair_of_input_iterators_tIbNS6_6detail15normal_iteratorINS6_10device_ptrIKyEEEESL_NS6_8equal_toIyEEEENSG_9not_fun_tINSD_8identityEEEEENSD_19counting_iterator_tIlEES8_S8_S8_S8_S8_S8_S8_S8_EEEEPS9_S9_NSD_9__find_if7functorIS9_EEEE10hipError_tPvRmT1_T2_T3_mT4_P12ihipStream_tbEUlT_E1_NS1_11comp_targetILNS1_3genE0ELNS1_11target_archE4294967295ELNS1_3gpuE0ELNS1_3repE0EEENS1_30default_config_static_selectorELNS0_4arch9wavefront6targetE1EEEvS14_
; %bb.0:
	.section	.rodata,"a",@progbits
	.p2align	6, 0x0
	.amdhsa_kernel _ZN7rocprim17ROCPRIM_400000_NS6detail17trampoline_kernelINS0_14default_configENS1_22reduce_config_selectorIN6thrust23THRUST_200600_302600_NS5tupleIblNS6_9null_typeES8_S8_S8_S8_S8_S8_S8_EEEEZNS1_11reduce_implILb1ES3_NS6_12zip_iteratorINS7_INS6_11hip_rocprim26transform_input_iterator_tIbNSD_35transform_pair_of_input_iterators_tIbNS6_6detail15normal_iteratorINS6_10device_ptrIKyEEEESL_NS6_8equal_toIyEEEENSG_9not_fun_tINSD_8identityEEEEENSD_19counting_iterator_tIlEES8_S8_S8_S8_S8_S8_S8_S8_EEEEPS9_S9_NSD_9__find_if7functorIS9_EEEE10hipError_tPvRmT1_T2_T3_mT4_P12ihipStream_tbEUlT_E1_NS1_11comp_targetILNS1_3genE0ELNS1_11target_archE4294967295ELNS1_3gpuE0ELNS1_3repE0EEENS1_30default_config_static_selectorELNS0_4arch9wavefront6targetE1EEEvS14_
		.amdhsa_group_segment_fixed_size 0
		.amdhsa_private_segment_fixed_size 0
		.amdhsa_kernarg_size 88
		.amdhsa_user_sgpr_count 6
		.amdhsa_user_sgpr_private_segment_buffer 1
		.amdhsa_user_sgpr_dispatch_ptr 0
		.amdhsa_user_sgpr_queue_ptr 0
		.amdhsa_user_sgpr_kernarg_segment_ptr 1
		.amdhsa_user_sgpr_dispatch_id 0
		.amdhsa_user_sgpr_flat_scratch_init 0
		.amdhsa_user_sgpr_kernarg_preload_length 0
		.amdhsa_user_sgpr_kernarg_preload_offset 0
		.amdhsa_user_sgpr_private_segment_size 0
		.amdhsa_uses_dynamic_stack 0
		.amdhsa_system_sgpr_private_segment_wavefront_offset 0
		.amdhsa_system_sgpr_workgroup_id_x 1
		.amdhsa_system_sgpr_workgroup_id_y 0
		.amdhsa_system_sgpr_workgroup_id_z 0
		.amdhsa_system_sgpr_workgroup_info 0
		.amdhsa_system_vgpr_workitem_id 0
		.amdhsa_next_free_vgpr 1
		.amdhsa_next_free_sgpr 0
		.amdhsa_accum_offset 4
		.amdhsa_reserve_vcc 0
		.amdhsa_reserve_flat_scratch 0
		.amdhsa_float_round_mode_32 0
		.amdhsa_float_round_mode_16_64 0
		.amdhsa_float_denorm_mode_32 3
		.amdhsa_float_denorm_mode_16_64 3
		.amdhsa_dx10_clamp 1
		.amdhsa_ieee_mode 1
		.amdhsa_fp16_overflow 0
		.amdhsa_tg_split 0
		.amdhsa_exception_fp_ieee_invalid_op 0
		.amdhsa_exception_fp_denorm_src 0
		.amdhsa_exception_fp_ieee_div_zero 0
		.amdhsa_exception_fp_ieee_overflow 0
		.amdhsa_exception_fp_ieee_underflow 0
		.amdhsa_exception_fp_ieee_inexact 0
		.amdhsa_exception_int_div_zero 0
	.end_amdhsa_kernel
	.section	.text._ZN7rocprim17ROCPRIM_400000_NS6detail17trampoline_kernelINS0_14default_configENS1_22reduce_config_selectorIN6thrust23THRUST_200600_302600_NS5tupleIblNS6_9null_typeES8_S8_S8_S8_S8_S8_S8_EEEEZNS1_11reduce_implILb1ES3_NS6_12zip_iteratorINS7_INS6_11hip_rocprim26transform_input_iterator_tIbNSD_35transform_pair_of_input_iterators_tIbNS6_6detail15normal_iteratorINS6_10device_ptrIKyEEEESL_NS6_8equal_toIyEEEENSG_9not_fun_tINSD_8identityEEEEENSD_19counting_iterator_tIlEES8_S8_S8_S8_S8_S8_S8_S8_EEEEPS9_S9_NSD_9__find_if7functorIS9_EEEE10hipError_tPvRmT1_T2_T3_mT4_P12ihipStream_tbEUlT_E1_NS1_11comp_targetILNS1_3genE0ELNS1_11target_archE4294967295ELNS1_3gpuE0ELNS1_3repE0EEENS1_30default_config_static_selectorELNS0_4arch9wavefront6targetE1EEEvS14_,"axG",@progbits,_ZN7rocprim17ROCPRIM_400000_NS6detail17trampoline_kernelINS0_14default_configENS1_22reduce_config_selectorIN6thrust23THRUST_200600_302600_NS5tupleIblNS6_9null_typeES8_S8_S8_S8_S8_S8_S8_EEEEZNS1_11reduce_implILb1ES3_NS6_12zip_iteratorINS7_INS6_11hip_rocprim26transform_input_iterator_tIbNSD_35transform_pair_of_input_iterators_tIbNS6_6detail15normal_iteratorINS6_10device_ptrIKyEEEESL_NS6_8equal_toIyEEEENSG_9not_fun_tINSD_8identityEEEEENSD_19counting_iterator_tIlEES8_S8_S8_S8_S8_S8_S8_S8_EEEEPS9_S9_NSD_9__find_if7functorIS9_EEEE10hipError_tPvRmT1_T2_T3_mT4_P12ihipStream_tbEUlT_E1_NS1_11comp_targetILNS1_3genE0ELNS1_11target_archE4294967295ELNS1_3gpuE0ELNS1_3repE0EEENS1_30default_config_static_selectorELNS0_4arch9wavefront6targetE1EEEvS14_,comdat
.Lfunc_end123:
	.size	_ZN7rocprim17ROCPRIM_400000_NS6detail17trampoline_kernelINS0_14default_configENS1_22reduce_config_selectorIN6thrust23THRUST_200600_302600_NS5tupleIblNS6_9null_typeES8_S8_S8_S8_S8_S8_S8_EEEEZNS1_11reduce_implILb1ES3_NS6_12zip_iteratorINS7_INS6_11hip_rocprim26transform_input_iterator_tIbNSD_35transform_pair_of_input_iterators_tIbNS6_6detail15normal_iteratorINS6_10device_ptrIKyEEEESL_NS6_8equal_toIyEEEENSG_9not_fun_tINSD_8identityEEEEENSD_19counting_iterator_tIlEES8_S8_S8_S8_S8_S8_S8_S8_EEEEPS9_S9_NSD_9__find_if7functorIS9_EEEE10hipError_tPvRmT1_T2_T3_mT4_P12ihipStream_tbEUlT_E1_NS1_11comp_targetILNS1_3genE0ELNS1_11target_archE4294967295ELNS1_3gpuE0ELNS1_3repE0EEENS1_30default_config_static_selectorELNS0_4arch9wavefront6targetE1EEEvS14_, .Lfunc_end123-_ZN7rocprim17ROCPRIM_400000_NS6detail17trampoline_kernelINS0_14default_configENS1_22reduce_config_selectorIN6thrust23THRUST_200600_302600_NS5tupleIblNS6_9null_typeES8_S8_S8_S8_S8_S8_S8_EEEEZNS1_11reduce_implILb1ES3_NS6_12zip_iteratorINS7_INS6_11hip_rocprim26transform_input_iterator_tIbNSD_35transform_pair_of_input_iterators_tIbNS6_6detail15normal_iteratorINS6_10device_ptrIKyEEEESL_NS6_8equal_toIyEEEENSG_9not_fun_tINSD_8identityEEEEENSD_19counting_iterator_tIlEES8_S8_S8_S8_S8_S8_S8_S8_EEEEPS9_S9_NSD_9__find_if7functorIS9_EEEE10hipError_tPvRmT1_T2_T3_mT4_P12ihipStream_tbEUlT_E1_NS1_11comp_targetILNS1_3genE0ELNS1_11target_archE4294967295ELNS1_3gpuE0ELNS1_3repE0EEENS1_30default_config_static_selectorELNS0_4arch9wavefront6targetE1EEEvS14_
                                        ; -- End function
	.section	.AMDGPU.csdata,"",@progbits
; Kernel info:
; codeLenInByte = 0
; NumSgprs: 4
; NumVgprs: 0
; NumAgprs: 0
; TotalNumVgprs: 0
; ScratchSize: 0
; MemoryBound: 0
; FloatMode: 240
; IeeeMode: 1
; LDSByteSize: 0 bytes/workgroup (compile time only)
; SGPRBlocks: 0
; VGPRBlocks: 0
; NumSGPRsForWavesPerEU: 4
; NumVGPRsForWavesPerEU: 1
; AccumOffset: 4
; Occupancy: 8
; WaveLimiterHint : 0
; COMPUTE_PGM_RSRC2:SCRATCH_EN: 0
; COMPUTE_PGM_RSRC2:USER_SGPR: 6
; COMPUTE_PGM_RSRC2:TRAP_HANDLER: 0
; COMPUTE_PGM_RSRC2:TGID_X_EN: 1
; COMPUTE_PGM_RSRC2:TGID_Y_EN: 0
; COMPUTE_PGM_RSRC2:TGID_Z_EN: 0
; COMPUTE_PGM_RSRC2:TIDIG_COMP_CNT: 0
; COMPUTE_PGM_RSRC3_GFX90A:ACCUM_OFFSET: 0
; COMPUTE_PGM_RSRC3_GFX90A:TG_SPLIT: 0
	.section	.text._ZN7rocprim17ROCPRIM_400000_NS6detail17trampoline_kernelINS0_14default_configENS1_22reduce_config_selectorIN6thrust23THRUST_200600_302600_NS5tupleIblNS6_9null_typeES8_S8_S8_S8_S8_S8_S8_EEEEZNS1_11reduce_implILb1ES3_NS6_12zip_iteratorINS7_INS6_11hip_rocprim26transform_input_iterator_tIbNSD_35transform_pair_of_input_iterators_tIbNS6_6detail15normal_iteratorINS6_10device_ptrIKyEEEESL_NS6_8equal_toIyEEEENSG_9not_fun_tINSD_8identityEEEEENSD_19counting_iterator_tIlEES8_S8_S8_S8_S8_S8_S8_S8_EEEEPS9_S9_NSD_9__find_if7functorIS9_EEEE10hipError_tPvRmT1_T2_T3_mT4_P12ihipStream_tbEUlT_E1_NS1_11comp_targetILNS1_3genE5ELNS1_11target_archE942ELNS1_3gpuE9ELNS1_3repE0EEENS1_30default_config_static_selectorELNS0_4arch9wavefront6targetE1EEEvS14_,"axG",@progbits,_ZN7rocprim17ROCPRIM_400000_NS6detail17trampoline_kernelINS0_14default_configENS1_22reduce_config_selectorIN6thrust23THRUST_200600_302600_NS5tupleIblNS6_9null_typeES8_S8_S8_S8_S8_S8_S8_EEEEZNS1_11reduce_implILb1ES3_NS6_12zip_iteratorINS7_INS6_11hip_rocprim26transform_input_iterator_tIbNSD_35transform_pair_of_input_iterators_tIbNS6_6detail15normal_iteratorINS6_10device_ptrIKyEEEESL_NS6_8equal_toIyEEEENSG_9not_fun_tINSD_8identityEEEEENSD_19counting_iterator_tIlEES8_S8_S8_S8_S8_S8_S8_S8_EEEEPS9_S9_NSD_9__find_if7functorIS9_EEEE10hipError_tPvRmT1_T2_T3_mT4_P12ihipStream_tbEUlT_E1_NS1_11comp_targetILNS1_3genE5ELNS1_11target_archE942ELNS1_3gpuE9ELNS1_3repE0EEENS1_30default_config_static_selectorELNS0_4arch9wavefront6targetE1EEEvS14_,comdat
	.protected	_ZN7rocprim17ROCPRIM_400000_NS6detail17trampoline_kernelINS0_14default_configENS1_22reduce_config_selectorIN6thrust23THRUST_200600_302600_NS5tupleIblNS6_9null_typeES8_S8_S8_S8_S8_S8_S8_EEEEZNS1_11reduce_implILb1ES3_NS6_12zip_iteratorINS7_INS6_11hip_rocprim26transform_input_iterator_tIbNSD_35transform_pair_of_input_iterators_tIbNS6_6detail15normal_iteratorINS6_10device_ptrIKyEEEESL_NS6_8equal_toIyEEEENSG_9not_fun_tINSD_8identityEEEEENSD_19counting_iterator_tIlEES8_S8_S8_S8_S8_S8_S8_S8_EEEEPS9_S9_NSD_9__find_if7functorIS9_EEEE10hipError_tPvRmT1_T2_T3_mT4_P12ihipStream_tbEUlT_E1_NS1_11comp_targetILNS1_3genE5ELNS1_11target_archE942ELNS1_3gpuE9ELNS1_3repE0EEENS1_30default_config_static_selectorELNS0_4arch9wavefront6targetE1EEEvS14_ ; -- Begin function _ZN7rocprim17ROCPRIM_400000_NS6detail17trampoline_kernelINS0_14default_configENS1_22reduce_config_selectorIN6thrust23THRUST_200600_302600_NS5tupleIblNS6_9null_typeES8_S8_S8_S8_S8_S8_S8_EEEEZNS1_11reduce_implILb1ES3_NS6_12zip_iteratorINS7_INS6_11hip_rocprim26transform_input_iterator_tIbNSD_35transform_pair_of_input_iterators_tIbNS6_6detail15normal_iteratorINS6_10device_ptrIKyEEEESL_NS6_8equal_toIyEEEENSG_9not_fun_tINSD_8identityEEEEENSD_19counting_iterator_tIlEES8_S8_S8_S8_S8_S8_S8_S8_EEEEPS9_S9_NSD_9__find_if7functorIS9_EEEE10hipError_tPvRmT1_T2_T3_mT4_P12ihipStream_tbEUlT_E1_NS1_11comp_targetILNS1_3genE5ELNS1_11target_archE942ELNS1_3gpuE9ELNS1_3repE0EEENS1_30default_config_static_selectorELNS0_4arch9wavefront6targetE1EEEvS14_
	.globl	_ZN7rocprim17ROCPRIM_400000_NS6detail17trampoline_kernelINS0_14default_configENS1_22reduce_config_selectorIN6thrust23THRUST_200600_302600_NS5tupleIblNS6_9null_typeES8_S8_S8_S8_S8_S8_S8_EEEEZNS1_11reduce_implILb1ES3_NS6_12zip_iteratorINS7_INS6_11hip_rocprim26transform_input_iterator_tIbNSD_35transform_pair_of_input_iterators_tIbNS6_6detail15normal_iteratorINS6_10device_ptrIKyEEEESL_NS6_8equal_toIyEEEENSG_9not_fun_tINSD_8identityEEEEENSD_19counting_iterator_tIlEES8_S8_S8_S8_S8_S8_S8_S8_EEEEPS9_S9_NSD_9__find_if7functorIS9_EEEE10hipError_tPvRmT1_T2_T3_mT4_P12ihipStream_tbEUlT_E1_NS1_11comp_targetILNS1_3genE5ELNS1_11target_archE942ELNS1_3gpuE9ELNS1_3repE0EEENS1_30default_config_static_selectorELNS0_4arch9wavefront6targetE1EEEvS14_
	.p2align	8
	.type	_ZN7rocprim17ROCPRIM_400000_NS6detail17trampoline_kernelINS0_14default_configENS1_22reduce_config_selectorIN6thrust23THRUST_200600_302600_NS5tupleIblNS6_9null_typeES8_S8_S8_S8_S8_S8_S8_EEEEZNS1_11reduce_implILb1ES3_NS6_12zip_iteratorINS7_INS6_11hip_rocprim26transform_input_iterator_tIbNSD_35transform_pair_of_input_iterators_tIbNS6_6detail15normal_iteratorINS6_10device_ptrIKyEEEESL_NS6_8equal_toIyEEEENSG_9not_fun_tINSD_8identityEEEEENSD_19counting_iterator_tIlEES8_S8_S8_S8_S8_S8_S8_S8_EEEEPS9_S9_NSD_9__find_if7functorIS9_EEEE10hipError_tPvRmT1_T2_T3_mT4_P12ihipStream_tbEUlT_E1_NS1_11comp_targetILNS1_3genE5ELNS1_11target_archE942ELNS1_3gpuE9ELNS1_3repE0EEENS1_30default_config_static_selectorELNS0_4arch9wavefront6targetE1EEEvS14_,@function
_ZN7rocprim17ROCPRIM_400000_NS6detail17trampoline_kernelINS0_14default_configENS1_22reduce_config_selectorIN6thrust23THRUST_200600_302600_NS5tupleIblNS6_9null_typeES8_S8_S8_S8_S8_S8_S8_EEEEZNS1_11reduce_implILb1ES3_NS6_12zip_iteratorINS7_INS6_11hip_rocprim26transform_input_iterator_tIbNSD_35transform_pair_of_input_iterators_tIbNS6_6detail15normal_iteratorINS6_10device_ptrIKyEEEESL_NS6_8equal_toIyEEEENSG_9not_fun_tINSD_8identityEEEEENSD_19counting_iterator_tIlEES8_S8_S8_S8_S8_S8_S8_S8_EEEEPS9_S9_NSD_9__find_if7functorIS9_EEEE10hipError_tPvRmT1_T2_T3_mT4_P12ihipStream_tbEUlT_E1_NS1_11comp_targetILNS1_3genE5ELNS1_11target_archE942ELNS1_3gpuE9ELNS1_3repE0EEENS1_30default_config_static_selectorELNS0_4arch9wavefront6targetE1EEEvS14_: ; @_ZN7rocprim17ROCPRIM_400000_NS6detail17trampoline_kernelINS0_14default_configENS1_22reduce_config_selectorIN6thrust23THRUST_200600_302600_NS5tupleIblNS6_9null_typeES8_S8_S8_S8_S8_S8_S8_EEEEZNS1_11reduce_implILb1ES3_NS6_12zip_iteratorINS7_INS6_11hip_rocprim26transform_input_iterator_tIbNSD_35transform_pair_of_input_iterators_tIbNS6_6detail15normal_iteratorINS6_10device_ptrIKyEEEESL_NS6_8equal_toIyEEEENSG_9not_fun_tINSD_8identityEEEEENSD_19counting_iterator_tIlEES8_S8_S8_S8_S8_S8_S8_S8_EEEEPS9_S9_NSD_9__find_if7functorIS9_EEEE10hipError_tPvRmT1_T2_T3_mT4_P12ihipStream_tbEUlT_E1_NS1_11comp_targetILNS1_3genE5ELNS1_11target_archE942ELNS1_3gpuE9ELNS1_3repE0EEENS1_30default_config_static_selectorELNS0_4arch9wavefront6targetE1EEEvS14_
; %bb.0:
	.section	.rodata,"a",@progbits
	.p2align	6, 0x0
	.amdhsa_kernel _ZN7rocprim17ROCPRIM_400000_NS6detail17trampoline_kernelINS0_14default_configENS1_22reduce_config_selectorIN6thrust23THRUST_200600_302600_NS5tupleIblNS6_9null_typeES8_S8_S8_S8_S8_S8_S8_EEEEZNS1_11reduce_implILb1ES3_NS6_12zip_iteratorINS7_INS6_11hip_rocprim26transform_input_iterator_tIbNSD_35transform_pair_of_input_iterators_tIbNS6_6detail15normal_iteratorINS6_10device_ptrIKyEEEESL_NS6_8equal_toIyEEEENSG_9not_fun_tINSD_8identityEEEEENSD_19counting_iterator_tIlEES8_S8_S8_S8_S8_S8_S8_S8_EEEEPS9_S9_NSD_9__find_if7functorIS9_EEEE10hipError_tPvRmT1_T2_T3_mT4_P12ihipStream_tbEUlT_E1_NS1_11comp_targetILNS1_3genE5ELNS1_11target_archE942ELNS1_3gpuE9ELNS1_3repE0EEENS1_30default_config_static_selectorELNS0_4arch9wavefront6targetE1EEEvS14_
		.amdhsa_group_segment_fixed_size 0
		.amdhsa_private_segment_fixed_size 0
		.amdhsa_kernarg_size 88
		.amdhsa_user_sgpr_count 6
		.amdhsa_user_sgpr_private_segment_buffer 1
		.amdhsa_user_sgpr_dispatch_ptr 0
		.amdhsa_user_sgpr_queue_ptr 0
		.amdhsa_user_sgpr_kernarg_segment_ptr 1
		.amdhsa_user_sgpr_dispatch_id 0
		.amdhsa_user_sgpr_flat_scratch_init 0
		.amdhsa_user_sgpr_kernarg_preload_length 0
		.amdhsa_user_sgpr_kernarg_preload_offset 0
		.amdhsa_user_sgpr_private_segment_size 0
		.amdhsa_uses_dynamic_stack 0
		.amdhsa_system_sgpr_private_segment_wavefront_offset 0
		.amdhsa_system_sgpr_workgroup_id_x 1
		.amdhsa_system_sgpr_workgroup_id_y 0
		.amdhsa_system_sgpr_workgroup_id_z 0
		.amdhsa_system_sgpr_workgroup_info 0
		.amdhsa_system_vgpr_workitem_id 0
		.amdhsa_next_free_vgpr 1
		.amdhsa_next_free_sgpr 0
		.amdhsa_accum_offset 4
		.amdhsa_reserve_vcc 0
		.amdhsa_reserve_flat_scratch 0
		.amdhsa_float_round_mode_32 0
		.amdhsa_float_round_mode_16_64 0
		.amdhsa_float_denorm_mode_32 3
		.amdhsa_float_denorm_mode_16_64 3
		.amdhsa_dx10_clamp 1
		.amdhsa_ieee_mode 1
		.amdhsa_fp16_overflow 0
		.amdhsa_tg_split 0
		.amdhsa_exception_fp_ieee_invalid_op 0
		.amdhsa_exception_fp_denorm_src 0
		.amdhsa_exception_fp_ieee_div_zero 0
		.amdhsa_exception_fp_ieee_overflow 0
		.amdhsa_exception_fp_ieee_underflow 0
		.amdhsa_exception_fp_ieee_inexact 0
		.amdhsa_exception_int_div_zero 0
	.end_amdhsa_kernel
	.section	.text._ZN7rocprim17ROCPRIM_400000_NS6detail17trampoline_kernelINS0_14default_configENS1_22reduce_config_selectorIN6thrust23THRUST_200600_302600_NS5tupleIblNS6_9null_typeES8_S8_S8_S8_S8_S8_S8_EEEEZNS1_11reduce_implILb1ES3_NS6_12zip_iteratorINS7_INS6_11hip_rocprim26transform_input_iterator_tIbNSD_35transform_pair_of_input_iterators_tIbNS6_6detail15normal_iteratorINS6_10device_ptrIKyEEEESL_NS6_8equal_toIyEEEENSG_9not_fun_tINSD_8identityEEEEENSD_19counting_iterator_tIlEES8_S8_S8_S8_S8_S8_S8_S8_EEEEPS9_S9_NSD_9__find_if7functorIS9_EEEE10hipError_tPvRmT1_T2_T3_mT4_P12ihipStream_tbEUlT_E1_NS1_11comp_targetILNS1_3genE5ELNS1_11target_archE942ELNS1_3gpuE9ELNS1_3repE0EEENS1_30default_config_static_selectorELNS0_4arch9wavefront6targetE1EEEvS14_,"axG",@progbits,_ZN7rocprim17ROCPRIM_400000_NS6detail17trampoline_kernelINS0_14default_configENS1_22reduce_config_selectorIN6thrust23THRUST_200600_302600_NS5tupleIblNS6_9null_typeES8_S8_S8_S8_S8_S8_S8_EEEEZNS1_11reduce_implILb1ES3_NS6_12zip_iteratorINS7_INS6_11hip_rocprim26transform_input_iterator_tIbNSD_35transform_pair_of_input_iterators_tIbNS6_6detail15normal_iteratorINS6_10device_ptrIKyEEEESL_NS6_8equal_toIyEEEENSG_9not_fun_tINSD_8identityEEEEENSD_19counting_iterator_tIlEES8_S8_S8_S8_S8_S8_S8_S8_EEEEPS9_S9_NSD_9__find_if7functorIS9_EEEE10hipError_tPvRmT1_T2_T3_mT4_P12ihipStream_tbEUlT_E1_NS1_11comp_targetILNS1_3genE5ELNS1_11target_archE942ELNS1_3gpuE9ELNS1_3repE0EEENS1_30default_config_static_selectorELNS0_4arch9wavefront6targetE1EEEvS14_,comdat
.Lfunc_end124:
	.size	_ZN7rocprim17ROCPRIM_400000_NS6detail17trampoline_kernelINS0_14default_configENS1_22reduce_config_selectorIN6thrust23THRUST_200600_302600_NS5tupleIblNS6_9null_typeES8_S8_S8_S8_S8_S8_S8_EEEEZNS1_11reduce_implILb1ES3_NS6_12zip_iteratorINS7_INS6_11hip_rocprim26transform_input_iterator_tIbNSD_35transform_pair_of_input_iterators_tIbNS6_6detail15normal_iteratorINS6_10device_ptrIKyEEEESL_NS6_8equal_toIyEEEENSG_9not_fun_tINSD_8identityEEEEENSD_19counting_iterator_tIlEES8_S8_S8_S8_S8_S8_S8_S8_EEEEPS9_S9_NSD_9__find_if7functorIS9_EEEE10hipError_tPvRmT1_T2_T3_mT4_P12ihipStream_tbEUlT_E1_NS1_11comp_targetILNS1_3genE5ELNS1_11target_archE942ELNS1_3gpuE9ELNS1_3repE0EEENS1_30default_config_static_selectorELNS0_4arch9wavefront6targetE1EEEvS14_, .Lfunc_end124-_ZN7rocprim17ROCPRIM_400000_NS6detail17trampoline_kernelINS0_14default_configENS1_22reduce_config_selectorIN6thrust23THRUST_200600_302600_NS5tupleIblNS6_9null_typeES8_S8_S8_S8_S8_S8_S8_EEEEZNS1_11reduce_implILb1ES3_NS6_12zip_iteratorINS7_INS6_11hip_rocprim26transform_input_iterator_tIbNSD_35transform_pair_of_input_iterators_tIbNS6_6detail15normal_iteratorINS6_10device_ptrIKyEEEESL_NS6_8equal_toIyEEEENSG_9not_fun_tINSD_8identityEEEEENSD_19counting_iterator_tIlEES8_S8_S8_S8_S8_S8_S8_S8_EEEEPS9_S9_NSD_9__find_if7functorIS9_EEEE10hipError_tPvRmT1_T2_T3_mT4_P12ihipStream_tbEUlT_E1_NS1_11comp_targetILNS1_3genE5ELNS1_11target_archE942ELNS1_3gpuE9ELNS1_3repE0EEENS1_30default_config_static_selectorELNS0_4arch9wavefront6targetE1EEEvS14_
                                        ; -- End function
	.section	.AMDGPU.csdata,"",@progbits
; Kernel info:
; codeLenInByte = 0
; NumSgprs: 4
; NumVgprs: 0
; NumAgprs: 0
; TotalNumVgprs: 0
; ScratchSize: 0
; MemoryBound: 0
; FloatMode: 240
; IeeeMode: 1
; LDSByteSize: 0 bytes/workgroup (compile time only)
; SGPRBlocks: 0
; VGPRBlocks: 0
; NumSGPRsForWavesPerEU: 4
; NumVGPRsForWavesPerEU: 1
; AccumOffset: 4
; Occupancy: 8
; WaveLimiterHint : 0
; COMPUTE_PGM_RSRC2:SCRATCH_EN: 0
; COMPUTE_PGM_RSRC2:USER_SGPR: 6
; COMPUTE_PGM_RSRC2:TRAP_HANDLER: 0
; COMPUTE_PGM_RSRC2:TGID_X_EN: 1
; COMPUTE_PGM_RSRC2:TGID_Y_EN: 0
; COMPUTE_PGM_RSRC2:TGID_Z_EN: 0
; COMPUTE_PGM_RSRC2:TIDIG_COMP_CNT: 0
; COMPUTE_PGM_RSRC3_GFX90A:ACCUM_OFFSET: 0
; COMPUTE_PGM_RSRC3_GFX90A:TG_SPLIT: 0
	.section	.text._ZN7rocprim17ROCPRIM_400000_NS6detail17trampoline_kernelINS0_14default_configENS1_22reduce_config_selectorIN6thrust23THRUST_200600_302600_NS5tupleIblNS6_9null_typeES8_S8_S8_S8_S8_S8_S8_EEEEZNS1_11reduce_implILb1ES3_NS6_12zip_iteratorINS7_INS6_11hip_rocprim26transform_input_iterator_tIbNSD_35transform_pair_of_input_iterators_tIbNS6_6detail15normal_iteratorINS6_10device_ptrIKyEEEESL_NS6_8equal_toIyEEEENSG_9not_fun_tINSD_8identityEEEEENSD_19counting_iterator_tIlEES8_S8_S8_S8_S8_S8_S8_S8_EEEEPS9_S9_NSD_9__find_if7functorIS9_EEEE10hipError_tPvRmT1_T2_T3_mT4_P12ihipStream_tbEUlT_E1_NS1_11comp_targetILNS1_3genE4ELNS1_11target_archE910ELNS1_3gpuE8ELNS1_3repE0EEENS1_30default_config_static_selectorELNS0_4arch9wavefront6targetE1EEEvS14_,"axG",@progbits,_ZN7rocprim17ROCPRIM_400000_NS6detail17trampoline_kernelINS0_14default_configENS1_22reduce_config_selectorIN6thrust23THRUST_200600_302600_NS5tupleIblNS6_9null_typeES8_S8_S8_S8_S8_S8_S8_EEEEZNS1_11reduce_implILb1ES3_NS6_12zip_iteratorINS7_INS6_11hip_rocprim26transform_input_iterator_tIbNSD_35transform_pair_of_input_iterators_tIbNS6_6detail15normal_iteratorINS6_10device_ptrIKyEEEESL_NS6_8equal_toIyEEEENSG_9not_fun_tINSD_8identityEEEEENSD_19counting_iterator_tIlEES8_S8_S8_S8_S8_S8_S8_S8_EEEEPS9_S9_NSD_9__find_if7functorIS9_EEEE10hipError_tPvRmT1_T2_T3_mT4_P12ihipStream_tbEUlT_E1_NS1_11comp_targetILNS1_3genE4ELNS1_11target_archE910ELNS1_3gpuE8ELNS1_3repE0EEENS1_30default_config_static_selectorELNS0_4arch9wavefront6targetE1EEEvS14_,comdat
	.protected	_ZN7rocprim17ROCPRIM_400000_NS6detail17trampoline_kernelINS0_14default_configENS1_22reduce_config_selectorIN6thrust23THRUST_200600_302600_NS5tupleIblNS6_9null_typeES8_S8_S8_S8_S8_S8_S8_EEEEZNS1_11reduce_implILb1ES3_NS6_12zip_iteratorINS7_INS6_11hip_rocprim26transform_input_iterator_tIbNSD_35transform_pair_of_input_iterators_tIbNS6_6detail15normal_iteratorINS6_10device_ptrIKyEEEESL_NS6_8equal_toIyEEEENSG_9not_fun_tINSD_8identityEEEEENSD_19counting_iterator_tIlEES8_S8_S8_S8_S8_S8_S8_S8_EEEEPS9_S9_NSD_9__find_if7functorIS9_EEEE10hipError_tPvRmT1_T2_T3_mT4_P12ihipStream_tbEUlT_E1_NS1_11comp_targetILNS1_3genE4ELNS1_11target_archE910ELNS1_3gpuE8ELNS1_3repE0EEENS1_30default_config_static_selectorELNS0_4arch9wavefront6targetE1EEEvS14_ ; -- Begin function _ZN7rocprim17ROCPRIM_400000_NS6detail17trampoline_kernelINS0_14default_configENS1_22reduce_config_selectorIN6thrust23THRUST_200600_302600_NS5tupleIblNS6_9null_typeES8_S8_S8_S8_S8_S8_S8_EEEEZNS1_11reduce_implILb1ES3_NS6_12zip_iteratorINS7_INS6_11hip_rocprim26transform_input_iterator_tIbNSD_35transform_pair_of_input_iterators_tIbNS6_6detail15normal_iteratorINS6_10device_ptrIKyEEEESL_NS6_8equal_toIyEEEENSG_9not_fun_tINSD_8identityEEEEENSD_19counting_iterator_tIlEES8_S8_S8_S8_S8_S8_S8_S8_EEEEPS9_S9_NSD_9__find_if7functorIS9_EEEE10hipError_tPvRmT1_T2_T3_mT4_P12ihipStream_tbEUlT_E1_NS1_11comp_targetILNS1_3genE4ELNS1_11target_archE910ELNS1_3gpuE8ELNS1_3repE0EEENS1_30default_config_static_selectorELNS0_4arch9wavefront6targetE1EEEvS14_
	.globl	_ZN7rocprim17ROCPRIM_400000_NS6detail17trampoline_kernelINS0_14default_configENS1_22reduce_config_selectorIN6thrust23THRUST_200600_302600_NS5tupleIblNS6_9null_typeES8_S8_S8_S8_S8_S8_S8_EEEEZNS1_11reduce_implILb1ES3_NS6_12zip_iteratorINS7_INS6_11hip_rocprim26transform_input_iterator_tIbNSD_35transform_pair_of_input_iterators_tIbNS6_6detail15normal_iteratorINS6_10device_ptrIKyEEEESL_NS6_8equal_toIyEEEENSG_9not_fun_tINSD_8identityEEEEENSD_19counting_iterator_tIlEES8_S8_S8_S8_S8_S8_S8_S8_EEEEPS9_S9_NSD_9__find_if7functorIS9_EEEE10hipError_tPvRmT1_T2_T3_mT4_P12ihipStream_tbEUlT_E1_NS1_11comp_targetILNS1_3genE4ELNS1_11target_archE910ELNS1_3gpuE8ELNS1_3repE0EEENS1_30default_config_static_selectorELNS0_4arch9wavefront6targetE1EEEvS14_
	.p2align	8
	.type	_ZN7rocprim17ROCPRIM_400000_NS6detail17trampoline_kernelINS0_14default_configENS1_22reduce_config_selectorIN6thrust23THRUST_200600_302600_NS5tupleIblNS6_9null_typeES8_S8_S8_S8_S8_S8_S8_EEEEZNS1_11reduce_implILb1ES3_NS6_12zip_iteratorINS7_INS6_11hip_rocprim26transform_input_iterator_tIbNSD_35transform_pair_of_input_iterators_tIbNS6_6detail15normal_iteratorINS6_10device_ptrIKyEEEESL_NS6_8equal_toIyEEEENSG_9not_fun_tINSD_8identityEEEEENSD_19counting_iterator_tIlEES8_S8_S8_S8_S8_S8_S8_S8_EEEEPS9_S9_NSD_9__find_if7functorIS9_EEEE10hipError_tPvRmT1_T2_T3_mT4_P12ihipStream_tbEUlT_E1_NS1_11comp_targetILNS1_3genE4ELNS1_11target_archE910ELNS1_3gpuE8ELNS1_3repE0EEENS1_30default_config_static_selectorELNS0_4arch9wavefront6targetE1EEEvS14_,@function
_ZN7rocprim17ROCPRIM_400000_NS6detail17trampoline_kernelINS0_14default_configENS1_22reduce_config_selectorIN6thrust23THRUST_200600_302600_NS5tupleIblNS6_9null_typeES8_S8_S8_S8_S8_S8_S8_EEEEZNS1_11reduce_implILb1ES3_NS6_12zip_iteratorINS7_INS6_11hip_rocprim26transform_input_iterator_tIbNSD_35transform_pair_of_input_iterators_tIbNS6_6detail15normal_iteratorINS6_10device_ptrIKyEEEESL_NS6_8equal_toIyEEEENSG_9not_fun_tINSD_8identityEEEEENSD_19counting_iterator_tIlEES8_S8_S8_S8_S8_S8_S8_S8_EEEEPS9_S9_NSD_9__find_if7functorIS9_EEEE10hipError_tPvRmT1_T2_T3_mT4_P12ihipStream_tbEUlT_E1_NS1_11comp_targetILNS1_3genE4ELNS1_11target_archE910ELNS1_3gpuE8ELNS1_3repE0EEENS1_30default_config_static_selectorELNS0_4arch9wavefront6targetE1EEEvS14_: ; @_ZN7rocprim17ROCPRIM_400000_NS6detail17trampoline_kernelINS0_14default_configENS1_22reduce_config_selectorIN6thrust23THRUST_200600_302600_NS5tupleIblNS6_9null_typeES8_S8_S8_S8_S8_S8_S8_EEEEZNS1_11reduce_implILb1ES3_NS6_12zip_iteratorINS7_INS6_11hip_rocprim26transform_input_iterator_tIbNSD_35transform_pair_of_input_iterators_tIbNS6_6detail15normal_iteratorINS6_10device_ptrIKyEEEESL_NS6_8equal_toIyEEEENSG_9not_fun_tINSD_8identityEEEEENSD_19counting_iterator_tIlEES8_S8_S8_S8_S8_S8_S8_S8_EEEEPS9_S9_NSD_9__find_if7functorIS9_EEEE10hipError_tPvRmT1_T2_T3_mT4_P12ihipStream_tbEUlT_E1_NS1_11comp_targetILNS1_3genE4ELNS1_11target_archE910ELNS1_3gpuE8ELNS1_3repE0EEENS1_30default_config_static_selectorELNS0_4arch9wavefront6targetE1EEEvS14_
; %bb.0:
	s_load_dword s36, s[4:5], 0x4
	s_load_dwordx4 s[24:27], s[4:5], 0x8
	s_load_dwordx4 s[20:23], s[4:5], 0x28
	s_load_dword s33, s[4:5], 0x40
	s_load_dwordx2 s[18:19], s[4:5], 0x48
	s_waitcnt lgkmcnt(0)
	s_cmp_lt_i32 s36, 4
	s_cbranch_scc1 .LBB125_21
; %bb.1:
	s_cmp_gt_i32 s36, 7
	s_cbranch_scc0 .LBB125_22
; %bb.2:
	s_cmp_eq_u32 s36, 8
	s_mov_b64 s[28:29], 0
	s_cbranch_scc0 .LBB125_23
; %bb.3:
	s_mov_b32 s7, 0
	s_lshl_b32 s14, s6, 11
	s_mov_b32 s15, s7
	s_lshr_b64 s[0:1], s[22:23], 11
	s_lshl_b64 s[2:3], s[14:15], 3
	s_add_u32 s16, s24, s2
	s_addc_u32 s17, s25, s3
	s_add_u32 s30, s26, s2
	s_addc_u32 s31, s27, s3
	;; [unrolled: 2-line block ×3, first 2 shown]
	s_cmp_lg_u64 s[0:1], s[6:7]
	s_cbranch_scc0 .LBB125_44
; %bb.4:
	v_lshlrev_b32_e32 v1, 3, v0
	v_mov_b32_e32 v2, s17
	v_add_co_u32_e32 v28, vcc, s16, v1
	v_addc_co_u32_e32 v29, vcc, 0, v2, vcc
	v_mov_b32_e32 v2, s31
	v_add_co_u32_e32 v30, vcc, s30, v1
	v_addc_co_u32_e32 v31, vcc, 0, v2, vcc
	s_movk_i32 s0, 0x1000
	v_add_co_u32_e32 v10, vcc, s0, v28
	v_addc_co_u32_e32 v11, vcc, 0, v29, vcc
	s_movk_i32 s1, 0x2000
	v_add_co_u32_e32 v12, vcc, s1, v28
	v_addc_co_u32_e32 v13, vcc, 0, v29, vcc
	v_add_co_u32_e32 v14, vcc, s0, v30
	v_addc_co_u32_e32 v15, vcc, 0, v31, vcc
	v_add_co_u32_e32 v16, vcc, s1, v30
	global_load_dwordx2 v[2:3], v1, s[16:17]
	global_load_dwordx2 v[4:5], v1, s[30:31] offset:2048
	global_load_dwordx2 v[6:7], v1, s[30:31]
	global_load_dwordx2 v[8:9], v1, s[16:17] offset:2048
	v_addc_co_u32_e32 v17, vcc, 0, v31, vcc
	s_movk_i32 s0, 0x3000
	global_load_dwordx2 v[18:19], v[10:11], off offset:2048
	global_load_dwordx2 v[20:21], v[12:13], off offset:-4096
	global_load_dwordx2 v[22:23], v[12:13], off
	global_load_dwordx2 v[24:25], v[16:17], off offset:-4096
	global_load_dwordx2 v[26:27], v[16:17], off
	v_add_co_u32_e32 v10, vcc, s0, v28
	v_addc_co_u32_e32 v11, vcc, 0, v29, vcc
	v_add_co_u32_e32 v28, vcc, s0, v30
	v_addc_co_u32_e32 v29, vcc, 0, v31, vcc
	global_load_dwordx2 v[30:31], v[10:11], off
	global_load_dwordx2 v[32:33], v[10:11], off offset:2048
	global_load_dwordx2 v[34:35], v[28:29], off
	global_load_dwordx2 v[36:37], v[28:29], off offset:2048
	global_load_dwordx2 v[38:39], v[14:15], off offset:2048
	;; [unrolled: 1-line block ×4, first 2 shown]
	v_mov_b32_e32 v1, s38
	v_add_co_u32_e32 v17, vcc, s37, v0
	v_addc_co_u32_e32 v1, vcc, 0, v1, vcc
	v_mov_b32_e32 v10, 0x200
	v_mov_b32_e32 v11, 0x100
	;; [unrolled: 1-line block ×7, first 2 shown]
	s_waitcnt vmcnt(13)
	v_cmp_ne_u64_e64 s[0:1], v[2:3], v[6:7]
	s_waitcnt vmcnt(12)
	v_cmp_ne_u64_e32 vcc, v[8:9], v[4:5]
	v_cndmask_b32_e32 v4, v10, v11, vcc
	s_or_b64 s[34:35], s[0:1], vcc
	s_waitcnt vmcnt(8)
	v_cmp_ne_u64_e32 vcc, v[20:21], v[24:25]
	s_or_b64 vcc, s[34:35], vcc
	v_cndmask_b32_e64 v2, v4, 0, s[0:1]
	s_waitcnt vmcnt(7)
	v_cmp_ne_u64_e64 s[0:1], v[22:23], v[26:27]
	s_waitcnt vmcnt(4)
	v_cmp_ne_u64_e64 s[2:3], v[30:31], v[34:35]
	;; [unrolled: 2-line block ×4, first 2 shown]
	v_cndmask_b32_e64 v3, v12, v13, s[10:11]
	s_or_b64 s[10:11], vcc, s[10:11]
	s_waitcnt vmcnt(0)
	v_cmp_ne_u64_e64 s[12:13], v[40:41], v[42:43]
	v_cndmask_b32_e32 v2, v3, v2, vcc
	s_or_b64 vcc, s[10:11], s[0:1]
	v_cndmask_b32_e64 v4, v14, v15, s[12:13]
	s_or_b64 s[0:1], vcc, s[12:13]
	v_cndmask_b32_e32 v2, v4, v2, vcc
	s_or_b64 vcc, s[0:1], s[2:3]
	v_cndmask_b32_e32 v2, v16, v2, vcc
	v_add_co_u32_e64 v2, s[0:1], v17, v2
	v_addc_co_u32_e64 v3, s[0:1], 0, v1, s[0:1]
	s_or_b64 s[0:1], vcc, s[8:9]
	v_cndmask_b32_e64 v1, 0, 1, s[0:1]
	v_mov_b32_dpp v4, v2 quad_perm:[1,0,3,2] row_mask:0xf bank_mask:0xf bound_ctrl:1
	v_mov_b32_dpp v5, v3 quad_perm:[1,0,3,2] row_mask:0xf bank_mask:0xf bound_ctrl:1
	;; [unrolled: 1-line block ×3, first 2 shown]
	v_and_b32_e32 v7, 1, v6
	v_cmp_eq_u32_e32 vcc, 1, v7
	s_and_saveexec_b64 s[2:3], vcc
; %bb.5:
	v_cmp_lt_i64_e32 vcc, v[2:3], v[4:5]
	v_cndmask_b32_e64 v6, v6, 1, s[0:1]
	s_and_b64 vcc, s[0:1], vcc
	v_cndmask_b32_e32 v2, v4, v2, vcc
	v_and_b32_e32 v4, 1, v6
	v_cndmask_b32_e32 v3, v5, v3, vcc
	v_cmp_eq_u32_e32 vcc, 1, v4
	s_andn2_b64 s[0:1], s[0:1], exec
	s_and_b64 s[8:9], vcc, exec
	v_and_b32_e32 v1, 0xff, v6
	s_or_b64 s[0:1], s[0:1], s[8:9]
; %bb.6:
	s_or_b64 exec, exec, s[2:3]
	v_mov_b32_dpp v6, v1 quad_perm:[2,3,0,1] row_mask:0xf bank_mask:0xf bound_ctrl:1
	v_and_b32_e32 v7, 1, v6
	v_mov_b32_dpp v4, v2 quad_perm:[2,3,0,1] row_mask:0xf bank_mask:0xf bound_ctrl:1
	v_mov_b32_dpp v5, v3 quad_perm:[2,3,0,1] row_mask:0xf bank_mask:0xf bound_ctrl:1
	v_cmp_eq_u32_e32 vcc, 1, v7
	s_and_saveexec_b64 s[2:3], vcc
; %bb.7:
	v_cmp_lt_i64_e32 vcc, v[2:3], v[4:5]
	v_cndmask_b32_e64 v6, v6, 1, s[0:1]
	s_and_b64 vcc, s[0:1], vcc
	v_cndmask_b32_e32 v2, v4, v2, vcc
	v_and_b32_e32 v4, 1, v6
	v_cndmask_b32_e32 v3, v5, v3, vcc
	v_cmp_eq_u32_e32 vcc, 1, v4
	s_andn2_b64 s[0:1], s[0:1], exec
	s_and_b64 s[8:9], vcc, exec
	v_and_b32_e32 v1, 0xff, v6
	s_or_b64 s[0:1], s[0:1], s[8:9]
; %bb.8:
	s_or_b64 exec, exec, s[2:3]
	v_mov_b32_dpp v6, v1 row_ror:4 row_mask:0xf bank_mask:0xf bound_ctrl:1
	v_and_b32_e32 v7, 1, v6
	v_mov_b32_dpp v4, v2 row_ror:4 row_mask:0xf bank_mask:0xf bound_ctrl:1
	v_mov_b32_dpp v5, v3 row_ror:4 row_mask:0xf bank_mask:0xf bound_ctrl:1
	v_cmp_eq_u32_e32 vcc, 1, v7
	s_and_saveexec_b64 s[2:3], vcc
; %bb.9:
	v_cmp_lt_i64_e32 vcc, v[2:3], v[4:5]
	v_cndmask_b32_e64 v6, v6, 1, s[0:1]
	s_and_b64 vcc, s[0:1], vcc
	v_cndmask_b32_e32 v2, v4, v2, vcc
	v_and_b32_e32 v4, 1, v6
	v_cndmask_b32_e32 v3, v5, v3, vcc
	v_cmp_eq_u32_e32 vcc, 1, v4
	s_andn2_b64 s[0:1], s[0:1], exec
	s_and_b64 s[8:9], vcc, exec
	v_and_b32_e32 v1, 0xff, v6
	s_or_b64 s[0:1], s[0:1], s[8:9]
; %bb.10:
	s_or_b64 exec, exec, s[2:3]
	v_mov_b32_dpp v6, v1 row_ror:8 row_mask:0xf bank_mask:0xf bound_ctrl:1
	v_and_b32_e32 v7, 1, v6
	v_mov_b32_dpp v4, v2 row_ror:8 row_mask:0xf bank_mask:0xf bound_ctrl:1
	v_mov_b32_dpp v5, v3 row_ror:8 row_mask:0xf bank_mask:0xf bound_ctrl:1
	v_cmp_eq_u32_e32 vcc, 1, v7
	s_and_saveexec_b64 s[2:3], vcc
; %bb.11:
	v_cmp_lt_i64_e32 vcc, v[2:3], v[4:5]
	v_cndmask_b32_e64 v6, v6, 1, s[0:1]
	s_and_b64 vcc, s[0:1], vcc
	v_cndmask_b32_e32 v2, v4, v2, vcc
	v_and_b32_e32 v4, 1, v6
	v_cndmask_b32_e32 v3, v5, v3, vcc
	v_cmp_eq_u32_e32 vcc, 1, v4
	s_andn2_b64 s[0:1], s[0:1], exec
	s_and_b64 s[8:9], vcc, exec
	v_and_b32_e32 v1, 0xff, v6
	s_or_b64 s[0:1], s[0:1], s[8:9]
; %bb.12:
	s_or_b64 exec, exec, s[2:3]
	v_mov_b32_dpp v6, v1 row_bcast:15 row_mask:0xf bank_mask:0xf bound_ctrl:1
	v_and_b32_e32 v7, 1, v6
	v_mov_b32_dpp v4, v2 row_bcast:15 row_mask:0xf bank_mask:0xf bound_ctrl:1
	v_mov_b32_dpp v5, v3 row_bcast:15 row_mask:0xf bank_mask:0xf bound_ctrl:1
	v_cmp_eq_u32_e32 vcc, 1, v7
	s_and_saveexec_b64 s[2:3], vcc
; %bb.13:
	v_cmp_lt_i64_e32 vcc, v[2:3], v[4:5]
	v_cndmask_b32_e64 v6, v6, 1, s[0:1]
	s_and_b64 vcc, s[0:1], vcc
	v_cndmask_b32_e32 v2, v4, v2, vcc
	v_and_b32_e32 v4, 1, v6
	v_cndmask_b32_e32 v3, v5, v3, vcc
	v_cmp_eq_u32_e32 vcc, 1, v4
	s_andn2_b64 s[0:1], s[0:1], exec
	s_and_b64 s[8:9], vcc, exec
	v_and_b32_e32 v1, 0xff, v6
	s_or_b64 s[0:1], s[0:1], s[8:9]
; %bb.14:
	s_or_b64 exec, exec, s[2:3]
	v_mov_b32_dpp v6, v1 row_bcast:31 row_mask:0xf bank_mask:0xf bound_ctrl:1
	v_and_b32_e32 v7, 1, v6
	v_mov_b32_dpp v4, v2 row_bcast:31 row_mask:0xf bank_mask:0xf bound_ctrl:1
	v_mov_b32_dpp v5, v3 row_bcast:31 row_mask:0xf bank_mask:0xf bound_ctrl:1
	v_cmp_eq_u32_e32 vcc, 1, v7
	s_and_saveexec_b64 s[2:3], vcc
; %bb.15:
	v_cmp_lt_i64_e32 vcc, v[2:3], v[4:5]
	v_and_b32_e32 v1, 0xff, v6
	s_and_b64 vcc, s[0:1], vcc
	v_cndmask_b32_e32 v2, v4, v2, vcc
	v_cndmask_b32_e32 v3, v5, v3, vcc
	v_cndmask_b32_e64 v1, v1, 1, s[0:1]
; %bb.16:
	s_or_b64 exec, exec, s[2:3]
	v_mbcnt_lo_u32_b32 v4, -1, 0
	v_mbcnt_hi_u32_b32 v4, -1, v4
	v_bfrev_b32_e32 v5, 0.5
	v_lshl_or_b32 v5, v4, 2, v5
	ds_bpermute_b32 v7, v5, v1
	ds_bpermute_b32 v2, v5, v2
	;; [unrolled: 1-line block ×3, first 2 shown]
	v_cmp_eq_u32_e32 vcc, 0, v4
	s_and_saveexec_b64 s[0:1], vcc
	s_cbranch_execz .LBB125_18
; %bb.17:
	v_lshrrev_b32_e32 v1, 2, v0
	v_and_b32_e32 v1, 48, v1
	s_waitcnt lgkmcnt(2)
	ds_write_b8 v1, v7 offset:192
	s_waitcnt lgkmcnt(1)
	ds_write_b64 v1, v[2:3] offset:200
.LBB125_18:
	s_or_b64 exec, exec, s[0:1]
	v_cmp_gt_u32_e32 vcc, 64, v0
	s_waitcnt lgkmcnt(0)
	s_barrier
	s_and_saveexec_b64 s[2:3], vcc
	s_cbranch_execz .LBB125_20
; %bb.19:
	v_and_b32_e32 v1, 3, v4
	v_lshlrev_b32_e32 v2, 4, v1
	ds_read_u8 v5, v2 offset:192
	ds_read_b64 v[2:3], v2 offset:200
	v_cmp_ne_u32_e32 vcc, 3, v1
	v_addc_co_u32_e32 v6, vcc, 0, v4, vcc
	s_waitcnt lgkmcnt(1)
	v_and_b32_e32 v7, 0xff, v5
	v_lshlrev_b32_e32 v8, 2, v6
	ds_bpermute_b32 v9, v8, v7
	s_waitcnt lgkmcnt(1)
	ds_bpermute_b32 v6, v8, v2
	ds_bpermute_b32 v7, v8, v3
	v_and_b32_e32 v8, 1, v5
	s_waitcnt lgkmcnt(2)
	v_and_b32_e32 v10, 1, v9
	v_cmp_eq_u32_e64 s[0:1], 1, v10
	s_waitcnt lgkmcnt(0)
	v_cmp_lt_i64_e32 vcc, v[6:7], v[2:3]
	s_and_b64 vcc, s[0:1], vcc
	v_cndmask_b32_e64 v5, v5, 1, s[0:1]
	v_cndmask_b32_e32 v2, v2, v6, vcc
	v_cndmask_b32_e32 v3, v3, v7, vcc
	v_cmp_eq_u32_e32 vcc, 1, v8
	v_cndmask_b32_e32 v8, v9, v5, vcc
	v_cndmask_b32_e32 v3, v7, v3, vcc
	;; [unrolled: 1-line block ×3, first 2 shown]
	v_cmp_gt_u32_e32 vcc, 2, v1
	v_cndmask_b32_e64 v1, 0, 1, vcc
	v_lshlrev_b32_e32 v1, 1, v1
	v_and_b32_e32 v5, 0xff, v8
	v_add_lshl_u32 v1, v1, v4, 2
	ds_bpermute_b32 v6, v1, v5
	ds_bpermute_b32 v4, v1, v2
	;; [unrolled: 1-line block ×3, first 2 shown]
	v_and_b32_e32 v1, 1, v8
	s_waitcnt lgkmcnt(2)
	v_and_b32_e32 v7, 1, v6
	v_cmp_eq_u32_e64 s[0:1], 1, v7
	s_waitcnt lgkmcnt(0)
	v_cmp_lt_i64_e32 vcc, v[4:5], v[2:3]
	s_and_b64 vcc, s[0:1], vcc
	v_cndmask_b32_e64 v7, v8, 1, s[0:1]
	v_cndmask_b32_e32 v2, v2, v4, vcc
	v_cndmask_b32_e32 v3, v3, v5, vcc
	v_cmp_eq_u32_e32 vcc, 1, v1
	v_cndmask_b32_e32 v1, v6, v7, vcc
	v_cndmask_b32_e32 v3, v5, v3, vcc
	;; [unrolled: 1-line block ×3, first 2 shown]
	v_and_b32_e32 v7, 0xff, v1
.LBB125_20:
	s_or_b64 exec, exec, s[2:3]
	s_branch .LBB125_89
.LBB125_21:
	s_mov_b64 s[10:11], 0
                                        ; implicit-def: $vgpr4_vgpr5
                                        ; implicit-def: $vgpr1
	s_cbranch_execnz .LBB125_133
	s_branch .LBB125_208
.LBB125_22:
	s_mov_b64 s[28:29], -1
.LBB125_23:
	s_mov_b64 s[10:11], 0
                                        ; implicit-def: $vgpr4_vgpr5
                                        ; implicit-def: $vgpr1
	s_and_b64 vcc, exec, s[28:29]
	s_cbranch_vccz .LBB125_94
.LBB125_24:
	s_cmp_eq_u32 s36, 4
	s_cbranch_scc0 .LBB125_43
; %bb.25:
	s_mov_b32 s7, 0
	s_lshl_b32 s14, s6, 10
	s_mov_b32 s15, s7
	s_lshr_b64 s[0:1], s[22:23], 10
	s_lshl_b64 s[2:3], s[14:15], 3
	s_add_u32 s8, s24, s2
	s_addc_u32 s9, s25, s3
	s_add_u32 s12, s26, s2
	s_addc_u32 s13, s27, s3
	s_add_u32 s16, s20, s14
	s_addc_u32 s17, s21, 0
	s_cmp_lg_u64 s[0:1], s[6:7]
	s_cbranch_scc0 .LBB125_95
; %bb.26:
	v_lshlrev_b32_e32 v1, 3, v0
	v_mov_b32_e32 v2, s9
	v_add_co_u32_e32 v10, vcc, s8, v1
	v_addc_co_u32_e32 v11, vcc, 0, v2, vcc
	v_mov_b32_e32 v2, s13
	v_add_co_u32_e32 v12, vcc, s12, v1
	v_addc_co_u32_e32 v13, vcc, 0, v2, vcc
	s_movk_i32 s0, 0x1000
	v_add_co_u32_e32 v10, vcc, s0, v10
	global_load_dwordx2 v[2:3], v1, s[8:9]
	s_waitcnt lgkmcnt(0)
	global_load_dwordx2 v[4:5], v1, s[12:13] offset:2048
	global_load_dwordx2 v[6:7], v1, s[12:13]
	global_load_dwordx2 v[8:9], v1, s[8:9] offset:2048
	v_addc_co_u32_e32 v11, vcc, 0, v11, vcc
	v_add_co_u32_e32 v12, vcc, s0, v12
	v_addc_co_u32_e32 v13, vcc, 0, v13, vcc
	global_load_dwordx2 v[14:15], v[10:11], off
	global_load_dwordx2 v[16:17], v[10:11], off offset:2048
	global_load_dwordx2 v[18:19], v[12:13], off
	global_load_dwordx2 v[20:21], v[12:13], off offset:2048
	v_mov_b32_e32 v1, s17
	v_add_co_u32_e32 v13, vcc, s16, v0
	v_addc_co_u32_e32 v1, vcc, 0, v1, vcc
	v_mov_b32_e32 v10, 0x200
	v_mov_b32_e32 v11, 0x100
	;; [unrolled: 1-line block ×3, first 2 shown]
	s_waitcnt vmcnt(5)
	v_cmp_ne_u64_e64 s[0:1], v[2:3], v[6:7]
	s_waitcnt vmcnt(4)
	v_cmp_ne_u64_e32 vcc, v[8:9], v[4:5]
	v_cndmask_b32_e32 v4, v10, v11, vcc
	s_or_b64 s[2:3], s[0:1], vcc
	v_cndmask_b32_e64 v2, v4, 0, s[0:1]
	s_waitcnt vmcnt(1)
	v_cmp_ne_u64_e32 vcc, v[14:15], v[18:19]
	s_or_b64 vcc, s[2:3], vcc
	s_waitcnt vmcnt(0)
	v_cmp_ne_u64_e64 s[0:1], v[16:17], v[20:21]
	v_cndmask_b32_e32 v2, v12, v2, vcc
	v_add_co_u32_e64 v2, s[2:3], v13, v2
	s_or_b64 s[0:1], vcc, s[0:1]
	v_addc_co_u32_e64 v3, s[2:3], 0, v1, s[2:3]
	v_cndmask_b32_e64 v1, 0, 1, s[0:1]
	v_mov_b32_dpp v4, v2 quad_perm:[1,0,3,2] row_mask:0xf bank_mask:0xf bound_ctrl:1
	v_mov_b32_dpp v5, v3 quad_perm:[1,0,3,2] row_mask:0xf bank_mask:0xf bound_ctrl:1
	;; [unrolled: 1-line block ×3, first 2 shown]
	v_and_b32_e32 v7, 1, v6
	v_cmp_eq_u32_e32 vcc, 1, v7
	s_and_saveexec_b64 s[2:3], vcc
; %bb.27:
	v_cmp_lt_i64_e32 vcc, v[2:3], v[4:5]
	v_cndmask_b32_e64 v6, v6, 1, s[0:1]
	s_and_b64 vcc, s[0:1], vcc
	v_cndmask_b32_e32 v2, v4, v2, vcc
	v_and_b32_e32 v4, 1, v6
	v_cndmask_b32_e32 v3, v5, v3, vcc
	v_cmp_eq_u32_e32 vcc, 1, v4
	s_andn2_b64 s[0:1], s[0:1], exec
	s_and_b64 s[28:29], vcc, exec
	v_and_b32_e32 v1, 0xff, v6
	s_or_b64 s[0:1], s[0:1], s[28:29]
; %bb.28:
	s_or_b64 exec, exec, s[2:3]
	v_mov_b32_dpp v6, v1 quad_perm:[2,3,0,1] row_mask:0xf bank_mask:0xf bound_ctrl:1
	v_and_b32_e32 v7, 1, v6
	v_mov_b32_dpp v4, v2 quad_perm:[2,3,0,1] row_mask:0xf bank_mask:0xf bound_ctrl:1
	v_mov_b32_dpp v5, v3 quad_perm:[2,3,0,1] row_mask:0xf bank_mask:0xf bound_ctrl:1
	v_cmp_eq_u32_e32 vcc, 1, v7
	s_and_saveexec_b64 s[2:3], vcc
; %bb.29:
	v_cmp_lt_i64_e32 vcc, v[2:3], v[4:5]
	v_cndmask_b32_e64 v6, v6, 1, s[0:1]
	s_and_b64 vcc, s[0:1], vcc
	v_cndmask_b32_e32 v2, v4, v2, vcc
	v_and_b32_e32 v4, 1, v6
	v_cndmask_b32_e32 v3, v5, v3, vcc
	v_cmp_eq_u32_e32 vcc, 1, v4
	s_andn2_b64 s[0:1], s[0:1], exec
	s_and_b64 s[28:29], vcc, exec
	v_and_b32_e32 v1, 0xff, v6
	s_or_b64 s[0:1], s[0:1], s[28:29]
; %bb.30:
	s_or_b64 exec, exec, s[2:3]
	v_mov_b32_dpp v6, v1 row_ror:4 row_mask:0xf bank_mask:0xf bound_ctrl:1
	v_and_b32_e32 v7, 1, v6
	v_mov_b32_dpp v4, v2 row_ror:4 row_mask:0xf bank_mask:0xf bound_ctrl:1
	v_mov_b32_dpp v5, v3 row_ror:4 row_mask:0xf bank_mask:0xf bound_ctrl:1
	v_cmp_eq_u32_e32 vcc, 1, v7
	s_and_saveexec_b64 s[2:3], vcc
; %bb.31:
	v_cmp_lt_i64_e32 vcc, v[2:3], v[4:5]
	v_cndmask_b32_e64 v6, v6, 1, s[0:1]
	s_and_b64 vcc, s[0:1], vcc
	v_cndmask_b32_e32 v2, v4, v2, vcc
	v_and_b32_e32 v4, 1, v6
	v_cndmask_b32_e32 v3, v5, v3, vcc
	v_cmp_eq_u32_e32 vcc, 1, v4
	s_andn2_b64 s[0:1], s[0:1], exec
	s_and_b64 s[28:29], vcc, exec
	v_and_b32_e32 v1, 0xff, v6
	s_or_b64 s[0:1], s[0:1], s[28:29]
; %bb.32:
	s_or_b64 exec, exec, s[2:3]
	v_mov_b32_dpp v6, v1 row_ror:8 row_mask:0xf bank_mask:0xf bound_ctrl:1
	v_and_b32_e32 v7, 1, v6
	v_mov_b32_dpp v4, v2 row_ror:8 row_mask:0xf bank_mask:0xf bound_ctrl:1
	v_mov_b32_dpp v5, v3 row_ror:8 row_mask:0xf bank_mask:0xf bound_ctrl:1
	v_cmp_eq_u32_e32 vcc, 1, v7
	s_and_saveexec_b64 s[2:3], vcc
; %bb.33:
	v_cmp_lt_i64_e32 vcc, v[2:3], v[4:5]
	v_cndmask_b32_e64 v6, v6, 1, s[0:1]
	s_and_b64 vcc, s[0:1], vcc
	v_cndmask_b32_e32 v2, v4, v2, vcc
	v_and_b32_e32 v4, 1, v6
	v_cndmask_b32_e32 v3, v5, v3, vcc
	v_cmp_eq_u32_e32 vcc, 1, v4
	s_andn2_b64 s[0:1], s[0:1], exec
	s_and_b64 s[28:29], vcc, exec
	v_and_b32_e32 v1, 0xff, v6
	s_or_b64 s[0:1], s[0:1], s[28:29]
; %bb.34:
	s_or_b64 exec, exec, s[2:3]
	v_mov_b32_dpp v6, v1 row_bcast:15 row_mask:0xf bank_mask:0xf bound_ctrl:1
	v_and_b32_e32 v7, 1, v6
	v_mov_b32_dpp v4, v2 row_bcast:15 row_mask:0xf bank_mask:0xf bound_ctrl:1
	v_mov_b32_dpp v5, v3 row_bcast:15 row_mask:0xf bank_mask:0xf bound_ctrl:1
	v_cmp_eq_u32_e32 vcc, 1, v7
	s_and_saveexec_b64 s[2:3], vcc
; %bb.35:
	v_cmp_lt_i64_e32 vcc, v[2:3], v[4:5]
	v_cndmask_b32_e64 v6, v6, 1, s[0:1]
	s_and_b64 vcc, s[0:1], vcc
	v_cndmask_b32_e32 v2, v4, v2, vcc
	v_and_b32_e32 v4, 1, v6
	v_cndmask_b32_e32 v3, v5, v3, vcc
	v_cmp_eq_u32_e32 vcc, 1, v4
	s_andn2_b64 s[0:1], s[0:1], exec
	s_and_b64 s[28:29], vcc, exec
	v_and_b32_e32 v1, 0xff, v6
	s_or_b64 s[0:1], s[0:1], s[28:29]
; %bb.36:
	s_or_b64 exec, exec, s[2:3]
	v_mov_b32_dpp v6, v1 row_bcast:31 row_mask:0xf bank_mask:0xf bound_ctrl:1
	v_and_b32_e32 v7, 1, v6
	v_mov_b32_dpp v4, v2 row_bcast:31 row_mask:0xf bank_mask:0xf bound_ctrl:1
	v_mov_b32_dpp v5, v3 row_bcast:31 row_mask:0xf bank_mask:0xf bound_ctrl:1
	v_cmp_eq_u32_e32 vcc, 1, v7
	s_and_saveexec_b64 s[2:3], vcc
; %bb.37:
	v_cmp_lt_i64_e32 vcc, v[2:3], v[4:5]
	v_and_b32_e32 v1, 0xff, v6
	s_and_b64 vcc, s[0:1], vcc
	v_cndmask_b32_e32 v2, v4, v2, vcc
	v_cndmask_b32_e32 v3, v5, v3, vcc
	v_cndmask_b32_e64 v1, v1, 1, s[0:1]
; %bb.38:
	s_or_b64 exec, exec, s[2:3]
	v_mbcnt_lo_u32_b32 v4, -1, 0
	v_mbcnt_hi_u32_b32 v4, -1, v4
	v_bfrev_b32_e32 v5, 0.5
	v_lshl_or_b32 v5, v4, 2, v5
	ds_bpermute_b32 v6, v5, v1
	ds_bpermute_b32 v2, v5, v2
	;; [unrolled: 1-line block ×3, first 2 shown]
	v_cmp_eq_u32_e32 vcc, 0, v4
	s_and_saveexec_b64 s[0:1], vcc
	s_cbranch_execz .LBB125_40
; %bb.39:
	v_lshrrev_b32_e32 v1, 2, v0
	v_and_b32_e32 v1, 48, v1
	s_waitcnt lgkmcnt(2)
	ds_write_b8 v1, v6 offset:128
	s_waitcnt lgkmcnt(1)
	ds_write_b64 v1, v[2:3] offset:136
.LBB125_40:
	s_or_b64 exec, exec, s[0:1]
	v_cmp_gt_u32_e32 vcc, 64, v0
	s_waitcnt lgkmcnt(0)
	s_barrier
	s_and_saveexec_b64 s[2:3], vcc
	s_cbranch_execz .LBB125_42
; %bb.41:
	v_and_b32_e32 v1, 3, v4
	v_lshlrev_b32_e32 v2, 4, v1
	ds_read_u8 v5, v2 offset:128
	ds_read_b64 v[2:3], v2 offset:136
	v_cmp_ne_u32_e32 vcc, 3, v1
	v_addc_co_u32_e32 v6, vcc, 0, v4, vcc
	s_waitcnt lgkmcnt(1)
	v_and_b32_e32 v7, 0xff, v5
	v_lshlrev_b32_e32 v8, 2, v6
	ds_bpermute_b32 v9, v8, v7
	s_waitcnt lgkmcnt(1)
	ds_bpermute_b32 v6, v8, v2
	ds_bpermute_b32 v7, v8, v3
	v_and_b32_e32 v8, 1, v5
	s_waitcnt lgkmcnt(2)
	v_and_b32_e32 v10, 1, v9
	v_cmp_eq_u32_e64 s[0:1], 1, v10
	s_waitcnt lgkmcnt(0)
	v_cmp_lt_i64_e32 vcc, v[6:7], v[2:3]
	s_and_b64 vcc, s[0:1], vcc
	v_cndmask_b32_e64 v5, v5, 1, s[0:1]
	v_cndmask_b32_e32 v2, v2, v6, vcc
	v_cndmask_b32_e32 v3, v3, v7, vcc
	v_cmp_eq_u32_e32 vcc, 1, v8
	v_cndmask_b32_e32 v8, v9, v5, vcc
	v_cndmask_b32_e32 v3, v7, v3, vcc
	;; [unrolled: 1-line block ×3, first 2 shown]
	v_cmp_gt_u32_e32 vcc, 2, v1
	v_cndmask_b32_e64 v1, 0, 1, vcc
	v_lshlrev_b32_e32 v1, 1, v1
	v_and_b32_e32 v5, 0xff, v8
	v_add_lshl_u32 v1, v1, v4, 2
	ds_bpermute_b32 v6, v1, v5
	ds_bpermute_b32 v4, v1, v2
	;; [unrolled: 1-line block ×3, first 2 shown]
	v_and_b32_e32 v1, 1, v8
	s_waitcnt lgkmcnt(2)
	v_and_b32_e32 v7, 1, v6
	v_cmp_eq_u32_e64 s[0:1], 1, v7
	s_waitcnt lgkmcnt(0)
	v_cmp_lt_i64_e32 vcc, v[4:5], v[2:3]
	s_and_b64 vcc, s[0:1], vcc
	v_cndmask_b32_e64 v7, v8, 1, s[0:1]
	v_cndmask_b32_e32 v2, v2, v4, vcc
	v_cndmask_b32_e32 v3, v3, v5, vcc
	v_cmp_eq_u32_e32 vcc, 1, v1
	v_cndmask_b32_e32 v1, v6, v7, vcc
	v_cndmask_b32_e32 v3, v5, v3, vcc
	;; [unrolled: 1-line block ×3, first 2 shown]
	v_and_b32_e32 v6, 0xff, v1
.LBB125_42:
	s_or_b64 exec, exec, s[2:3]
	s_branch .LBB125_128
.LBB125_43:
                                        ; implicit-def: $vgpr4_vgpr5
                                        ; implicit-def: $vgpr1
	s_branch .LBB125_208
.LBB125_44:
                                        ; implicit-def: $vgpr2_vgpr3
                                        ; implicit-def: $vgpr7
	s_cbranch_execz .LBB125_89
; %bb.45:
	s_sub_i32 s39, s22, s14
	v_pk_mov_b32 v[4:5], 0, 0
	v_cmp_gt_u32_e32 vcc, s39, v0
	v_mov_b32_e32 v18, 0
	v_pk_mov_b32 v[2:3], v[4:5], v[4:5] op_sel:[0,1]
	v_mov_b32_e32 v1, 0
	s_and_saveexec_b64 s[0:1], vcc
	s_cbranch_execz .LBB125_47
; %bb.46:
	v_lshlrev_b32_e32 v1, 3, v0
	global_load_dwordx2 v[6:7], v1, s[16:17]
	global_load_dwordx2 v[8:9], v1, s[30:31]
	v_mov_b32_e32 v1, s38
	v_add_co_u32_e32 v2, vcc, s37, v0
	v_addc_co_u32_e32 v3, vcc, 0, v1, vcc
	s_waitcnt vmcnt(0)
	v_cmp_ne_u64_e32 vcc, v[6:7], v[8:9]
	v_cndmask_b32_e64 v1, 0, 1, vcc
.LBB125_47:
	s_or_b64 exec, exec, s[0:1]
	v_or_b32_e32 v6, 0x100, v0
	v_cmp_gt_u32_e64 s[8:9], s39, v6
	s_and_saveexec_b64 s[0:1], s[8:9]
	s_cbranch_execz .LBB125_49
; %bb.48:
	v_lshlrev_b32_e32 v4, 3, v0
	global_load_dwordx2 v[8:9], v4, s[16:17] offset:2048
	global_load_dwordx2 v[10:11], v4, s[30:31] offset:2048
	v_mov_b32_e32 v5, s38
	v_add_co_u32_e32 v4, vcc, s37, v6
	v_addc_co_u32_e32 v5, vcc, 0, v5, vcc
	s_waitcnt vmcnt(0)
	v_cmp_ne_u64_e32 vcc, v[8:9], v[10:11]
	v_cndmask_b32_e64 v18, 0, 1, vcc
.LBB125_49:
	s_or_b64 exec, exec, s[0:1]
	v_or_b32_e32 v8, 0x200, v0
	v_pk_mov_b32 v[6:7], 0, 0
	v_cmp_gt_u32_e32 vcc, s39, v8
	v_mov_b32_e32 v19, 0
	v_pk_mov_b32 v[12:13], v[6:7], v[6:7] op_sel:[0,1]
	v_mov_b32_e32 v23, 0
	s_and_saveexec_b64 s[2:3], vcc
	s_cbranch_execz .LBB125_51
; %bb.50:
	v_lshlrev_b32_e32 v9, 3, v8
	global_load_dwordx2 v[10:11], v9, s[16:17]
	global_load_dwordx2 v[14:15], v9, s[30:31]
	v_mov_b32_e32 v9, s38
	v_add_co_u32_e64 v12, s[0:1], s37, v8
	v_addc_co_u32_e64 v13, s[0:1], 0, v9, s[0:1]
	s_waitcnt vmcnt(0)
	v_cmp_ne_u64_e64 s[0:1], v[10:11], v[14:15]
	v_cndmask_b32_e64 v23, 0, 1, s[0:1]
.LBB125_51:
	s_or_b64 exec, exec, s[2:3]
	v_or_b32_e32 v8, 0x300, v0
	v_cmp_gt_u32_e64 s[10:11], s39, v8
	s_and_saveexec_b64 s[2:3], s[10:11]
	s_cbranch_execz .LBB125_53
; %bb.52:
	v_lshlrev_b32_e32 v6, 3, v8
	global_load_dwordx2 v[10:11], v6, s[16:17]
	global_load_dwordx2 v[14:15], v6, s[30:31]
	v_mov_b32_e32 v7, s38
	v_add_co_u32_e64 v6, s[0:1], s37, v8
	v_addc_co_u32_e64 v7, s[0:1], 0, v7, s[0:1]
	s_waitcnt vmcnt(0)
	v_cmp_ne_u64_e64 s[0:1], v[10:11], v[14:15]
	v_cndmask_b32_e64 v19, 0, 1, s[0:1]
.LBB125_53:
	s_or_b64 exec, exec, s[2:3]
	v_or_b32_e32 v10, 0x400, v0
	v_pk_mov_b32 v[8:9], 0, 0
	v_cmp_gt_u32_e64 s[0:1], s39, v10
	v_mov_b32_e32 v20, 0
	v_pk_mov_b32 v[14:15], v[8:9], v[8:9] op_sel:[0,1]
	v_mov_b32_e32 v24, 0
	s_and_saveexec_b64 s[12:13], s[0:1]
	s_cbranch_execz .LBB125_55
; %bb.54:
	v_lshlrev_b32_e32 v11, 3, v10
	global_load_dwordx2 v[16:17], v11, s[16:17]
	global_load_dwordx2 v[24:25], v11, s[30:31]
	v_mov_b32_e32 v11, s38
	v_add_co_u32_e64 v14, s[2:3], s37, v10
	v_addc_co_u32_e64 v15, s[2:3], 0, v11, s[2:3]
	s_waitcnt vmcnt(0)
	v_cmp_ne_u64_e64 s[2:3], v[16:17], v[24:25]
	v_cndmask_b32_e64 v24, 0, 1, s[2:3]
.LBB125_55:
	s_or_b64 exec, exec, s[12:13]
	v_or_b32_e32 v10, 0x500, v0
	v_cmp_gt_u32_e64 s[12:13], s39, v10
	s_and_saveexec_b64 s[14:15], s[12:13]
	s_cbranch_execz .LBB125_57
; %bb.56:
	v_lshlrev_b32_e32 v8, 3, v10
	global_load_dwordx2 v[16:17], v8, s[16:17]
	global_load_dwordx2 v[20:21], v8, s[30:31]
	v_mov_b32_e32 v9, s38
	v_add_co_u32_e64 v8, s[2:3], s37, v10
	v_addc_co_u32_e64 v9, s[2:3], 0, v9, s[2:3]
	s_waitcnt vmcnt(0)
	v_cmp_ne_u64_e64 s[2:3], v[16:17], v[20:21]
	v_cndmask_b32_e64 v20, 0, 1, s[2:3]
.LBB125_57:
	s_or_b64 exec, exec, s[14:15]
	v_or_b32_e32 v25, 0x600, v0
	v_pk_mov_b32 v[10:11], 0, 0
	v_cmp_gt_u32_e64 s[2:3], s39, v25
	v_mov_b32_e32 v21, 0
	v_mov_b32_e32 v22, 0
	v_pk_mov_b32 v[16:17], v[10:11], v[10:11] op_sel:[0,1]
	s_and_saveexec_b64 s[34:35], s[2:3]
	s_cbranch_execz .LBB125_59
; %bb.58:
	v_lshlrev_b32_e32 v16, 3, v25
	global_load_dwordx2 v[26:27], v16, s[16:17]
	global_load_dwordx2 v[28:29], v16, s[30:31]
	v_mov_b32_e32 v17, s38
	v_add_co_u32_e64 v16, s[14:15], s37, v25
	v_addc_co_u32_e64 v17, s[14:15], 0, v17, s[14:15]
	s_waitcnt vmcnt(0)
	v_cmp_ne_u64_e64 s[14:15], v[26:27], v[28:29]
	v_cndmask_b32_e64 v22, 0, 1, s[14:15]
.LBB125_59:
	s_or_b64 exec, exec, s[34:35]
	v_or_b32_e32 v25, 0x700, v0
	v_cmp_gt_u32_e64 s[14:15], s39, v25
	s_and_saveexec_b64 s[34:35], s[14:15]
	s_cbranch_execnz .LBB125_240
; %bb.60:
	s_or_b64 exec, exec, s[34:35]
	s_and_saveexec_b64 s[30:31], s[8:9]
	s_cbranch_execnz .LBB125_241
.LBB125_61:
	s_or_b64 exec, exec, s[30:31]
	s_and_saveexec_b64 s[16:17], vcc
	s_cbranch_execnz .LBB125_242
.LBB125_62:
	s_or_b64 exec, exec, s[16:17]
	s_and_saveexec_b64 s[16:17], s[10:11]
	s_cbranch_execnz .LBB125_243
.LBB125_63:
	s_or_b64 exec, exec, s[16:17]
	s_and_saveexec_b64 s[8:9], s[0:1]
	s_cbranch_execnz .LBB125_244
.LBB125_64:
	s_or_b64 exec, exec, s[8:9]
	s_and_saveexec_b64 s[8:9], s[12:13]
	s_cbranch_execnz .LBB125_245
.LBB125_65:
	s_or_b64 exec, exec, s[8:9]
	s_and_saveexec_b64 s[8:9], s[2:3]
	s_cbranch_execnz .LBB125_246
.LBB125_66:
	s_or_b64 exec, exec, s[8:9]
	s_and_saveexec_b64 s[2:3], s[14:15]
	s_cbranch_execz .LBB125_68
.LBB125_67:
	v_and_b32_e32 v5, 1, v21
	v_cmp_lt_i64_e32 vcc, v[10:11], v[2:3]
	v_cmp_eq_u32_e64 s[0:1], 1, v5
	v_and_b32_e32 v4, 1, v1
	s_and_b64 vcc, s[0:1], vcc
	v_cndmask_b32_e64 v1, v1, 1, s[0:1]
	v_cndmask_b32_e32 v2, v2, v10, vcc
	v_cndmask_b32_e32 v3, v3, v11, vcc
	v_cmp_eq_u32_e32 vcc, 1, v4
	v_cndmask_b32_e32 v1, v21, v1, vcc
	v_cndmask_b32_e32 v3, v11, v3, vcc
	;; [unrolled: 1-line block ×3, first 2 shown]
.LBB125_68:
	s_or_b64 exec, exec, s[2:3]
	v_mbcnt_lo_u32_b32 v4, -1, 0
	v_mbcnt_hi_u32_b32 v6, -1, v4
	v_and_b32_e32 v8, 63, v6
	v_cmp_ne_u32_e32 vcc, 63, v8
	v_addc_co_u32_e32 v4, vcc, 0, v6, vcc
	v_and_b32_e32 v7, 0xffff, v1
	v_lshlrev_b32_e32 v5, 2, v4
	ds_bpermute_b32 v11, v5, v7
	ds_bpermute_b32 v4, v5, v2
	ds_bpermute_b32 v5, v5, v3
	s_min_u32 s8, s39, 0x100
	v_and_b32_e32 v9, 0xc0, v0
	v_sub_u32_e64 v10, s8, v9 clamp
	v_add_u32_e32 v9, 1, v8
	v_cmp_lt_u32_e32 vcc, v9, v10
	v_mov_b32_e32 v9, v7
	s_and_saveexec_b64 s[0:1], vcc
	s_xor_b64 s[2:3], exec, s[0:1]
	s_cbranch_execz .LBB125_70
; %bb.69:
	s_waitcnt lgkmcnt(2)
	v_and_b32_e32 v9, 1, v11
	s_waitcnt lgkmcnt(0)
	v_cmp_lt_i64_e32 vcc, v[4:5], v[2:3]
	v_cmp_eq_u32_e64 s[0:1], 1, v9
	v_and_b32_e32 v1, 1, v1
	s_and_b64 vcc, s[0:1], vcc
	v_cndmask_b32_e64 v7, v7, 1, s[0:1]
	v_cndmask_b32_e32 v2, v2, v4, vcc
	v_cndmask_b32_e32 v3, v3, v5, vcc
	v_cmp_eq_u32_e32 vcc, 1, v1
	v_cndmask_b32_e32 v9, v11, v7, vcc
	v_cndmask_b32_e32 v3, v5, v3, vcc
	;; [unrolled: 1-line block ×3, first 2 shown]
	v_and_b32_e32 v7, 0xff, v9
.LBB125_70:
	s_or_b64 exec, exec, s[2:3]
	v_cmp_gt_u32_e32 vcc, 62, v8
	v_cndmask_b32_e64 v1, 0, 1, vcc
	v_lshlrev_b32_e32 v1, 1, v1
	s_waitcnt lgkmcnt(0)
	v_add_lshl_u32 v5, v1, v6, 2
	ds_bpermute_b32 v1, v5, v7
	ds_bpermute_b32 v4, v5, v2
	ds_bpermute_b32 v5, v5, v3
	v_add_u32_e32 v11, 2, v8
	v_cmp_lt_u32_e32 vcc, v11, v10
	s_and_saveexec_b64 s[2:3], vcc
	s_cbranch_execz .LBB125_72
; %bb.71:
	s_waitcnt lgkmcnt(2)
	v_and_b32_e32 v11, 1, v1
	s_waitcnt lgkmcnt(0)
	v_cmp_lt_i64_e32 vcc, v[4:5], v[2:3]
	v_cmp_eq_u32_e64 s[0:1], 1, v11
	v_and_b32_e32 v7, 1, v9
	s_and_b64 vcc, s[0:1], vcc
	v_cndmask_b32_e64 v9, v9, 1, s[0:1]
	v_cndmask_b32_e32 v2, v2, v4, vcc
	v_cndmask_b32_e32 v3, v3, v5, vcc
	v_cmp_eq_u32_e32 vcc, 1, v7
	v_cndmask_b32_e32 v9, v1, v9, vcc
	v_cndmask_b32_e32 v3, v5, v3, vcc
	v_cndmask_b32_e32 v2, v4, v2, vcc
	v_and_b32_e32 v7, 0xff, v9
.LBB125_72:
	s_or_b64 exec, exec, s[2:3]
	v_cmp_gt_u32_e32 vcc, 60, v8
	s_waitcnt lgkmcnt(2)
	v_cndmask_b32_e64 v1, 0, 1, vcc
	v_lshlrev_b32_e32 v1, 2, v1
	s_waitcnt lgkmcnt(0)
	v_add_lshl_u32 v5, v1, v6, 2
	ds_bpermute_b32 v1, v5, v7
	ds_bpermute_b32 v4, v5, v2
	ds_bpermute_b32 v5, v5, v3
	v_add_u32_e32 v11, 4, v8
	v_cmp_lt_u32_e32 vcc, v11, v10
	s_and_saveexec_b64 s[2:3], vcc
	s_cbranch_execz .LBB125_74
; %bb.73:
	s_waitcnt lgkmcnt(2)
	v_and_b32_e32 v11, 1, v1
	s_waitcnt lgkmcnt(0)
	v_cmp_lt_i64_e32 vcc, v[4:5], v[2:3]
	v_cmp_eq_u32_e64 s[0:1], 1, v11
	v_and_b32_e32 v7, 1, v9
	s_and_b64 vcc, s[0:1], vcc
	v_cndmask_b32_e64 v9, v9, 1, s[0:1]
	v_cndmask_b32_e32 v2, v2, v4, vcc
	v_cndmask_b32_e32 v3, v3, v5, vcc
	v_cmp_eq_u32_e32 vcc, 1, v7
	v_cndmask_b32_e32 v9, v1, v9, vcc
	v_cndmask_b32_e32 v3, v5, v3, vcc
	v_cndmask_b32_e32 v2, v4, v2, vcc
	v_and_b32_e32 v7, 0xff, v9
.LBB125_74:
	s_or_b64 exec, exec, s[2:3]
	v_cmp_gt_u32_e32 vcc, 56, v8
	s_waitcnt lgkmcnt(2)
	;; [unrolled: 31-line block ×4, first 2 shown]
	v_cndmask_b32_e64 v1, 0, 1, vcc
	v_lshlrev_b32_e32 v1, 5, v1
	s_waitcnt lgkmcnt(0)
	v_add_lshl_u32 v5, v1, v6, 2
	ds_bpermute_b32 v1, v5, v7
	ds_bpermute_b32 v4, v5, v2
	;; [unrolled: 1-line block ×3, first 2 shown]
	v_add_u32_e32 v8, 32, v8
	v_cmp_lt_u32_e32 vcc, v8, v10
	s_and_saveexec_b64 s[2:3], vcc
	s_cbranch_execz .LBB125_80
; %bb.79:
	s_waitcnt lgkmcnt(2)
	v_and_b32_e32 v8, 1, v1
	s_waitcnt lgkmcnt(0)
	v_cmp_lt_i64_e32 vcc, v[4:5], v[2:3]
	v_cmp_eq_u32_e64 s[0:1], 1, v8
	v_and_b32_e32 v7, 1, v9
	s_and_b64 vcc, s[0:1], vcc
	v_cndmask_b32_e64 v8, v9, 1, s[0:1]
	v_cndmask_b32_e32 v2, v2, v4, vcc
	v_cndmask_b32_e32 v3, v3, v5, vcc
	v_cmp_eq_u32_e32 vcc, 1, v7
	v_cndmask_b32_e32 v9, v1, v8, vcc
	v_cndmask_b32_e32 v3, v5, v3, vcc
	v_cndmask_b32_e32 v2, v4, v2, vcc
	v_and_b32_e32 v7, 0xff, v9
.LBB125_80:
	s_or_b64 exec, exec, s[2:3]
	v_cmp_eq_u32_e32 vcc, 0, v6
	s_and_saveexec_b64 s[0:1], vcc
	s_cbranch_execz .LBB125_82
; %bb.81:
	s_waitcnt lgkmcnt(2)
	v_lshrrev_b32_e32 v1, 2, v0
	v_and_b32_e32 v1, 48, v1
	ds_write_b8 v1, v9 offset:256
	ds_write_b64 v1, v[2:3] offset:264
.LBB125_82:
	s_or_b64 exec, exec, s[0:1]
	v_cmp_gt_u32_e32 vcc, 4, v0
	s_waitcnt lgkmcnt(0)
	s_barrier
	s_and_saveexec_b64 s[2:3], vcc
	s_cbranch_execz .LBB125_88
; %bb.83:
	v_lshlrev_b32_e32 v2, 4, v6
	ds_read_u8 v1, v2 offset:256
	ds_read_b64 v[2:3], v2 offset:264
	v_and_b32_e32 v8, 3, v6
	v_cmp_ne_u32_e32 vcc, 3, v8
	v_addc_co_u32_e32 v4, vcc, 0, v6, vcc
	s_waitcnt lgkmcnt(1)
	v_and_b32_e32 v7, 0xff, v1
	v_lshlrev_b32_e32 v5, 2, v4
	ds_bpermute_b32 v9, v5, v7
	s_waitcnt lgkmcnt(1)
	ds_bpermute_b32 v4, v5, v2
	ds_bpermute_b32 v5, v5, v3
	s_add_i32 s8, s8, 63
	s_lshr_b32 s10, s8, 6
	v_add_u32_e32 v10, 1, v8
	v_cmp_gt_u32_e32 vcc, s10, v10
	s_and_saveexec_b64 s[8:9], vcc
	s_cbranch_execz .LBB125_85
; %bb.84:
	s_waitcnt lgkmcnt(2)
	v_and_b32_e32 v10, 1, v9
	s_waitcnt lgkmcnt(0)
	v_cmp_lt_i64_e32 vcc, v[4:5], v[2:3]
	v_cmp_eq_u32_e64 s[0:1], 1, v10
	v_and_b32_e32 v7, 1, v1
	s_and_b64 vcc, s[0:1], vcc
	v_cndmask_b32_e64 v1, v1, 1, s[0:1]
	v_cndmask_b32_e32 v2, v2, v4, vcc
	v_cndmask_b32_e32 v3, v3, v5, vcc
	v_cmp_eq_u32_e32 vcc, 1, v7
	v_cndmask_b32_e32 v1, v9, v1, vcc
	v_cndmask_b32_e32 v3, v5, v3, vcc
	;; [unrolled: 1-line block ×3, first 2 shown]
	v_and_b32_e32 v7, 0xff, v1
.LBB125_85:
	s_or_b64 exec, exec, s[8:9]
	v_cmp_gt_u32_e32 vcc, 2, v8
	s_waitcnt lgkmcnt(1)
	v_cndmask_b32_e64 v4, 0, 1, vcc
	v_lshlrev_b32_e32 v4, 1, v4
	s_waitcnt lgkmcnt(0)
	v_add_lshl_u32 v5, v4, v6, 2
	ds_bpermute_b32 v6, v5, v7
	ds_bpermute_b32 v4, v5, v2
	;; [unrolled: 1-line block ×3, first 2 shown]
	v_add_u32_e32 v8, 2, v8
	v_cmp_gt_u32_e32 vcc, s10, v8
	s_and_saveexec_b64 s[8:9], vcc
	s_cbranch_execz .LBB125_87
; %bb.86:
	s_waitcnt lgkmcnt(2)
	v_and_b32_e32 v8, 1, v6
	s_waitcnt lgkmcnt(0)
	v_cmp_lt_i64_e32 vcc, v[4:5], v[2:3]
	v_cmp_eq_u32_e64 s[0:1], 1, v8
	v_and_b32_e32 v7, 1, v1
	s_and_b64 vcc, s[0:1], vcc
	v_cndmask_b32_e64 v1, v1, 1, s[0:1]
	v_cndmask_b32_e32 v2, v2, v4, vcc
	v_cndmask_b32_e32 v3, v3, v5, vcc
	v_cmp_eq_u32_e32 vcc, 1, v7
	v_cndmask_b32_e32 v1, v6, v1, vcc
	v_cndmask_b32_e32 v3, v5, v3, vcc
	;; [unrolled: 1-line block ×3, first 2 shown]
	v_and_b32_e32 v7, 0xff, v1
.LBB125_87:
	s_or_b64 exec, exec, s[8:9]
.LBB125_88:
	s_or_b64 exec, exec, s[2:3]
.LBB125_89:
	v_cmp_eq_u32_e32 vcc, 0, v0
	s_mov_b64 s[10:11], 0
                                        ; implicit-def: $vgpr4_vgpr5
                                        ; implicit-def: $vgpr1
	s_and_saveexec_b64 s[0:1], vcc
	s_xor_b64 s[8:9], exec, s[0:1]
	s_cbranch_execz .LBB125_93
; %bb.90:
	s_cmp_eq_u64 s[22:23], 0
	s_waitcnt lgkmcnt(0)
	v_pk_mov_b32 v[4:5], s[18:19], s[18:19] op_sel:[0,1]
	v_mov_b32_e32 v1, s33
	s_cbranch_scc1 .LBB125_92
; %bb.91:
	v_and_b32_e32 v1, 1, v7
	s_bitcmp1_b32 s33, 0
	v_mov_b32_e32 v4, s33
	v_cmp_eq_u32_e32 vcc, 1, v1
	v_cmp_gt_i64_e64 s[2:3], s[18:19], v[2:3]
	v_cndmask_b32_e64 v1, v4, 1, vcc
	s_cselect_b64 s[0:1], -1, 0
	v_mov_b32_e32 v4, s18
	s_and_b64 vcc, vcc, s[2:3]
	v_mov_b32_e32 v5, s19
	v_cndmask_b32_e32 v4, v4, v2, vcc
	v_cndmask_b32_e32 v5, v5, v3, vcc
	v_cndmask_b32_e64 v1, v7, v1, s[0:1]
	v_cndmask_b32_e64 v5, v3, v5, s[0:1]
	;; [unrolled: 1-line block ×3, first 2 shown]
.LBB125_92:
	s_mov_b64 s[10:11], exec
.LBB125_93:
	s_or_b64 exec, exec, s[8:9]
	s_and_b64 vcc, exec, s[28:29]
	s_cbranch_vccnz .LBB125_24
.LBB125_94:
	s_branch .LBB125_208
.LBB125_95:
                                        ; implicit-def: $vgpr2_vgpr3
                                        ; implicit-def: $vgpr6
	s_cbranch_execz .LBB125_128
; %bb.96:
	s_sub_i32 s28, s22, s14
	s_waitcnt lgkmcnt(0)
	v_pk_mov_b32 v[4:5], 0, 0
	v_cmp_gt_u32_e32 vcc, s28, v0
	v_mov_b32_e32 v1, 0
	v_pk_mov_b32 v[2:3], v[4:5], v[4:5] op_sel:[0,1]
	v_mov_b32_e32 v10, 0
	s_and_saveexec_b64 s[0:1], vcc
	s_cbranch_execz .LBB125_98
; %bb.97:
	v_lshlrev_b32_e32 v2, 3, v0
	global_load_dwordx2 v[6:7], v2, s[8:9]
	global_load_dwordx2 v[8:9], v2, s[12:13]
	v_mov_b32_e32 v3, s17
	v_add_co_u32_e32 v2, vcc, s16, v0
	v_addc_co_u32_e32 v3, vcc, 0, v3, vcc
	s_waitcnt vmcnt(0)
	v_cmp_ne_u64_e32 vcc, v[6:7], v[8:9]
	v_cndmask_b32_e64 v10, 0, 1, vcc
.LBB125_98:
	s_or_b64 exec, exec, s[0:1]
	v_or_b32_e32 v6, 0x100, v0
	v_cmp_gt_u32_e64 s[0:1], s28, v6
	s_and_saveexec_b64 s[2:3], s[0:1]
	s_cbranch_execz .LBB125_100
; %bb.99:
	v_lshlrev_b32_e32 v1, 3, v0
	global_load_dwordx2 v[8:9], v1, s[8:9] offset:2048
	global_load_dwordx2 v[12:13], v1, s[12:13] offset:2048
	v_mov_b32_e32 v1, s17
	v_add_co_u32_e32 v4, vcc, s16, v6
	v_addc_co_u32_e32 v5, vcc, 0, v1, vcc
	s_waitcnt vmcnt(0)
	v_cmp_ne_u64_e32 vcc, v[8:9], v[12:13]
	v_cndmask_b32_e64 v1, 0, 1, vcc
.LBB125_100:
	s_or_b64 exec, exec, s[2:3]
	v_or_b32_e32 v13, 0x200, v0
	v_pk_mov_b32 v[6:7], 0, 0
	v_cmp_gt_u32_e32 vcc, s28, v13
	v_mov_b32_e32 v11, 0
	v_pk_mov_b32 v[8:9], v[6:7], v[6:7] op_sel:[0,1]
	v_mov_b32_e32 v12, 0
	s_and_saveexec_b64 s[14:15], vcc
	s_cbranch_execz .LBB125_102
; %bb.101:
	v_lshlrev_b32_e32 v8, 3, v13
	global_load_dwordx2 v[14:15], v8, s[8:9]
	global_load_dwordx2 v[16:17], v8, s[12:13]
	v_mov_b32_e32 v9, s17
	v_add_co_u32_e64 v8, s[2:3], s16, v13
	v_addc_co_u32_e64 v9, s[2:3], 0, v9, s[2:3]
	s_waitcnt vmcnt(0)
	v_cmp_ne_u64_e64 s[2:3], v[14:15], v[16:17]
	v_cndmask_b32_e64 v12, 0, 1, s[2:3]
.LBB125_102:
	s_or_b64 exec, exec, s[14:15]
	v_or_b32_e32 v13, 0x300, v0
	v_cmp_gt_u32_e64 s[2:3], s28, v13
	s_and_saveexec_b64 s[14:15], s[2:3]
	s_cbranch_execnz .LBB125_247
; %bb.103:
	s_or_b64 exec, exec, s[14:15]
	s_and_saveexec_b64 s[12:13], s[0:1]
	s_cbranch_execnz .LBB125_248
.LBB125_104:
	s_or_b64 exec, exec, s[12:13]
	s_and_saveexec_b64 s[8:9], vcc
	s_cbranch_execnz .LBB125_249
.LBB125_105:
	s_or_b64 exec, exec, s[8:9]
	s_and_saveexec_b64 s[8:9], s[2:3]
	s_cbranch_execz .LBB125_107
.LBB125_106:
	v_and_b32_e32 v4, 1, v11
	v_cmp_lt_i64_e32 vcc, v[6:7], v[2:3]
	v_cmp_eq_u32_e64 s[0:1], 1, v4
	v_and_b32_e32 v1, 1, v10
	s_and_b64 vcc, s[0:1], vcc
	v_cndmask_b32_e64 v4, v10, 1, s[0:1]
	v_cndmask_b32_e32 v2, v2, v6, vcc
	v_cndmask_b32_e32 v3, v3, v7, vcc
	v_cmp_eq_u32_e32 vcc, 1, v1
	v_cndmask_b32_e32 v10, v11, v4, vcc
	v_cndmask_b32_e32 v3, v7, v3, vcc
	;; [unrolled: 1-line block ×3, first 2 shown]
.LBB125_107:
	s_or_b64 exec, exec, s[8:9]
	v_mbcnt_lo_u32_b32 v1, -1, 0
	v_mbcnt_hi_u32_b32 v1, -1, v1
	v_and_b32_e32 v7, 63, v1
	v_cmp_ne_u32_e32 vcc, 63, v7
	v_addc_co_u32_e32 v4, vcc, 0, v1, vcc
	v_and_b32_e32 v6, 0xffff, v10
	v_lshlrev_b32_e32 v5, 2, v4
	ds_bpermute_b32 v11, v5, v6
	ds_bpermute_b32 v4, v5, v2
	;; [unrolled: 1-line block ×3, first 2 shown]
	s_min_u32 s8, s28, 0x100
	v_and_b32_e32 v8, 0xc0, v0
	v_sub_u32_e64 v9, s8, v8 clamp
	v_add_u32_e32 v8, 1, v7
	v_cmp_lt_u32_e32 vcc, v8, v9
	v_mov_b32_e32 v8, v6
	s_and_saveexec_b64 s[0:1], vcc
	s_xor_b64 s[2:3], exec, s[0:1]
	s_cbranch_execz .LBB125_109
; %bb.108:
	v_and_b32_e32 v8, 1, v10
	s_waitcnt lgkmcnt(2)
	v_and_b32_e32 v10, 1, v11
	s_waitcnt lgkmcnt(0)
	v_cmp_lt_i64_e32 vcc, v[4:5], v[2:3]
	v_cmp_eq_u32_e64 s[0:1], 1, v10
	s_and_b64 vcc, s[0:1], vcc
	v_cndmask_b32_e64 v6, v6, 1, s[0:1]
	v_cndmask_b32_e32 v2, v2, v4, vcc
	v_cndmask_b32_e32 v3, v3, v5, vcc
	v_cmp_eq_u32_e32 vcc, 1, v8
	v_cndmask_b32_e32 v8, v11, v6, vcc
	v_cndmask_b32_e32 v3, v5, v3, vcc
	;; [unrolled: 1-line block ×3, first 2 shown]
	v_and_b32_e32 v6, 0xff, v8
.LBB125_109:
	s_or_b64 exec, exec, s[2:3]
	v_cmp_gt_u32_e32 vcc, 62, v7
	s_waitcnt lgkmcnt(1)
	v_cndmask_b32_e64 v4, 0, 1, vcc
	v_lshlrev_b32_e32 v4, 1, v4
	s_waitcnt lgkmcnt(0)
	v_add_lshl_u32 v5, v4, v1, 2
	ds_bpermute_b32 v10, v5, v6
	ds_bpermute_b32 v4, v5, v2
	ds_bpermute_b32 v5, v5, v3
	v_add_u32_e32 v11, 2, v7
	v_cmp_lt_u32_e32 vcc, v11, v9
	s_and_saveexec_b64 s[2:3], vcc
	s_cbranch_execz .LBB125_111
; %bb.110:
	s_waitcnt lgkmcnt(2)
	v_and_b32_e32 v11, 1, v10
	s_waitcnt lgkmcnt(0)
	v_cmp_lt_i64_e32 vcc, v[4:5], v[2:3]
	v_cmp_eq_u32_e64 s[0:1], 1, v11
	v_and_b32_e32 v6, 1, v8
	s_and_b64 vcc, s[0:1], vcc
	v_cndmask_b32_e64 v8, v8, 1, s[0:1]
	v_cndmask_b32_e32 v2, v2, v4, vcc
	v_cndmask_b32_e32 v3, v3, v5, vcc
	v_cmp_eq_u32_e32 vcc, 1, v6
	v_cndmask_b32_e32 v8, v10, v8, vcc
	v_cndmask_b32_e32 v3, v5, v3, vcc
	v_cndmask_b32_e32 v2, v4, v2, vcc
	v_and_b32_e32 v6, 0xff, v8
.LBB125_111:
	s_or_b64 exec, exec, s[2:3]
	v_cmp_gt_u32_e32 vcc, 60, v7
	s_waitcnt lgkmcnt(1)
	v_cndmask_b32_e64 v4, 0, 1, vcc
	v_lshlrev_b32_e32 v4, 2, v4
	s_waitcnt lgkmcnt(0)
	v_add_lshl_u32 v5, v4, v1, 2
	ds_bpermute_b32 v10, v5, v6
	ds_bpermute_b32 v4, v5, v2
	ds_bpermute_b32 v5, v5, v3
	v_add_u32_e32 v11, 4, v7
	v_cmp_lt_u32_e32 vcc, v11, v9
	s_and_saveexec_b64 s[2:3], vcc
	s_cbranch_execz .LBB125_113
; %bb.112:
	s_waitcnt lgkmcnt(2)
	v_and_b32_e32 v11, 1, v10
	s_waitcnt lgkmcnt(0)
	v_cmp_lt_i64_e32 vcc, v[4:5], v[2:3]
	v_cmp_eq_u32_e64 s[0:1], 1, v11
	v_and_b32_e32 v6, 1, v8
	s_and_b64 vcc, s[0:1], vcc
	v_cndmask_b32_e64 v8, v8, 1, s[0:1]
	v_cndmask_b32_e32 v2, v2, v4, vcc
	v_cndmask_b32_e32 v3, v3, v5, vcc
	v_cmp_eq_u32_e32 vcc, 1, v6
	v_cndmask_b32_e32 v8, v10, v8, vcc
	v_cndmask_b32_e32 v3, v5, v3, vcc
	v_cndmask_b32_e32 v2, v4, v2, vcc
	v_and_b32_e32 v6, 0xff, v8
.LBB125_113:
	;; [unrolled: 31-line block ×5, first 2 shown]
	s_or_b64 exec, exec, s[2:3]
	v_cmp_eq_u32_e32 vcc, 0, v1
	s_and_saveexec_b64 s[0:1], vcc
	s_cbranch_execz .LBB125_121
; %bb.120:
	s_waitcnt lgkmcnt(1)
	v_lshrrev_b32_e32 v4, 2, v0
	v_and_b32_e32 v4, 48, v4
	ds_write_b8 v4, v8 offset:256
	ds_write_b64 v4, v[2:3] offset:264
.LBB125_121:
	s_or_b64 exec, exec, s[0:1]
	v_cmp_gt_u32_e32 vcc, 4, v0
	s_waitcnt lgkmcnt(0)
	s_barrier
	s_and_saveexec_b64 s[2:3], vcc
	s_cbranch_execz .LBB125_127
; %bb.122:
	v_lshlrev_b32_e32 v2, 4, v1
	ds_read_u8 v7, v2 offset:256
	ds_read_b64 v[2:3], v2 offset:264
	v_and_b32_e32 v8, 3, v1
	v_cmp_ne_u32_e32 vcc, 3, v8
	v_addc_co_u32_e32 v4, vcc, 0, v1, vcc
	s_waitcnt lgkmcnt(1)
	v_and_b32_e32 v6, 0xff, v7
	v_lshlrev_b32_e32 v5, 2, v4
	ds_bpermute_b32 v9, v5, v6
	s_waitcnt lgkmcnt(1)
	ds_bpermute_b32 v4, v5, v2
	ds_bpermute_b32 v5, v5, v3
	s_add_i32 s8, s8, 63
	s_lshr_b32 s12, s8, 6
	v_add_u32_e32 v10, 1, v8
	v_cmp_gt_u32_e32 vcc, s12, v10
	s_and_saveexec_b64 s[8:9], vcc
	s_cbranch_execz .LBB125_124
; %bb.123:
	s_waitcnt lgkmcnt(2)
	v_and_b32_e32 v10, 1, v9
	s_waitcnt lgkmcnt(0)
	v_cmp_lt_i64_e32 vcc, v[4:5], v[2:3]
	v_cmp_eq_u32_e64 s[0:1], 1, v10
	v_and_b32_e32 v6, 1, v7
	s_and_b64 vcc, s[0:1], vcc
	v_cndmask_b32_e64 v7, v7, 1, s[0:1]
	v_cndmask_b32_e32 v2, v2, v4, vcc
	v_cndmask_b32_e32 v3, v3, v5, vcc
	v_cmp_eq_u32_e32 vcc, 1, v6
	v_cndmask_b32_e32 v7, v9, v7, vcc
	v_cndmask_b32_e32 v3, v5, v3, vcc
	;; [unrolled: 1-line block ×3, first 2 shown]
	v_and_b32_e32 v6, 0xff, v7
.LBB125_124:
	s_or_b64 exec, exec, s[8:9]
	v_cmp_gt_u32_e32 vcc, 2, v8
	s_waitcnt lgkmcnt(1)
	v_cndmask_b32_e64 v4, 0, 1, vcc
	v_lshlrev_b32_e32 v4, 1, v4
	s_waitcnt lgkmcnt(0)
	v_add_lshl_u32 v5, v4, v1, 2
	ds_bpermute_b32 v1, v5, v6
	ds_bpermute_b32 v4, v5, v2
	;; [unrolled: 1-line block ×3, first 2 shown]
	v_add_u32_e32 v8, 2, v8
	v_cmp_gt_u32_e32 vcc, s12, v8
	s_and_saveexec_b64 s[8:9], vcc
	s_cbranch_execz .LBB125_126
; %bb.125:
	s_waitcnt lgkmcnt(2)
	v_and_b32_e32 v8, 1, v1
	s_waitcnt lgkmcnt(0)
	v_cmp_lt_i64_e32 vcc, v[4:5], v[2:3]
	v_cmp_eq_u32_e64 s[0:1], 1, v8
	v_and_b32_e32 v6, 1, v7
	s_and_b64 vcc, s[0:1], vcc
	v_cndmask_b32_e64 v7, v7, 1, s[0:1]
	v_cndmask_b32_e32 v2, v2, v4, vcc
	v_cndmask_b32_e32 v3, v3, v5, vcc
	v_cmp_eq_u32_e32 vcc, 1, v6
	v_cndmask_b32_e32 v1, v1, v7, vcc
	v_cndmask_b32_e32 v3, v5, v3, vcc
	;; [unrolled: 1-line block ×3, first 2 shown]
	v_and_b32_e32 v6, 0xff, v1
.LBB125_126:
	s_or_b64 exec, exec, s[8:9]
.LBB125_127:
	s_or_b64 exec, exec, s[2:3]
.LBB125_128:
	v_cmp_eq_u32_e32 vcc, 0, v0
                                        ; implicit-def: $vgpr4_vgpr5
                                        ; implicit-def: $vgpr1
	s_and_saveexec_b64 s[0:1], vcc
	s_xor_b64 s[8:9], exec, s[0:1]
	s_cbranch_execz .LBB125_132
; %bb.129:
	s_cmp_eq_u64 s[22:23], 0
	s_waitcnt lgkmcnt(0)
	v_pk_mov_b32 v[4:5], s[18:19], s[18:19] op_sel:[0,1]
	v_mov_b32_e32 v1, s33
	s_cbranch_scc1 .LBB125_131
; %bb.130:
	v_and_b32_e32 v1, 1, v6
	s_bitcmp1_b32 s33, 0
	v_mov_b32_e32 v4, s33
	v_cmp_eq_u32_e32 vcc, 1, v1
	v_cmp_gt_i64_e64 s[2:3], s[18:19], v[2:3]
	v_cndmask_b32_e64 v1, v4, 1, vcc
	s_cselect_b64 s[0:1], -1, 0
	v_mov_b32_e32 v4, s18
	s_and_b64 vcc, vcc, s[2:3]
	v_mov_b32_e32 v5, s19
	v_cndmask_b32_e32 v4, v4, v2, vcc
	v_cndmask_b32_e32 v5, v5, v3, vcc
	v_cndmask_b32_e64 v1, v6, v1, s[0:1]
	v_cndmask_b32_e64 v5, v3, v5, s[0:1]
	;; [unrolled: 1-line block ×3, first 2 shown]
.LBB125_131:
	s_or_b64 s[10:11], s[10:11], exec
.LBB125_132:
	s_or_b64 exec, exec, s[8:9]
	s_branch .LBB125_208
.LBB125_133:
	s_cmp_gt_i32 s36, 1
	s_cbranch_scc0 .LBB125_153
; %bb.134:
	s_cmp_eq_u32 s36, 2
	s_cbranch_scc0 .LBB125_154
; %bb.135:
	s_mov_b32 s7, 0
	s_lshl_b32 s12, s6, 9
	s_mov_b32 s13, s7
	s_lshr_b64 s[0:1], s[22:23], 9
	s_lshl_b64 s[8:9], s[12:13], 3
	s_add_u32 s2, s24, s8
	s_addc_u32 s3, s25, s9
	s_add_u32 s8, s26, s8
	s_addc_u32 s9, s27, s9
	;; [unrolled: 2-line block ×3, first 2 shown]
	s_cmp_lg_u64 s[0:1], s[6:7]
	s_cbranch_scc0 .LBB125_155
; %bb.136:
	s_waitcnt lgkmcnt(2)
	v_lshlrev_b32_e32 v1, 3, v0
	global_load_dwordx2 v[2:3], v1, s[8:9] offset:2048
	s_waitcnt lgkmcnt(0)
	global_load_dwordx2 v[4:5], v1, s[8:9]
	global_load_dwordx2 v[6:7], v1, s[2:3] offset:2048
	global_load_dwordx2 v[8:9], v1, s[2:3]
	v_mov_b32_e32 v1, s17
	v_add_co_u32_e32 v10, vcc, s16, v0
	v_addc_co_u32_e32 v1, vcc, 0, v1, vcc
	v_add_co_u32_e32 v11, vcc, 0x100, v10
	v_addc_co_u32_e32 v12, vcc, 0, v1, vcc
	s_waitcnt vmcnt(1)
	v_cmp_ne_u64_e32 vcc, v[6:7], v[2:3]
	s_waitcnt vmcnt(0)
	v_cmp_ne_u64_e64 s[0:1], v[8:9], v[4:5]
	v_cndmask_b32_e64 v3, v12, v1, s[0:1]
	v_cndmask_b32_e64 v2, v11, v10, s[0:1]
	s_or_b64 s[0:1], s[0:1], vcc
	v_cndmask_b32_e64 v1, 0, 1, s[0:1]
	v_mov_b32_dpp v4, v2 quad_perm:[1,0,3,2] row_mask:0xf bank_mask:0xf bound_ctrl:1
	v_mov_b32_dpp v5, v3 quad_perm:[1,0,3,2] row_mask:0xf bank_mask:0xf bound_ctrl:1
	;; [unrolled: 1-line block ×3, first 2 shown]
	v_and_b32_e32 v7, 1, v6
	v_cmp_eq_u32_e32 vcc, 1, v7
	s_and_saveexec_b64 s[14:15], vcc
; %bb.137:
	v_cmp_lt_i64_e32 vcc, v[2:3], v[4:5]
	v_cndmask_b32_e64 v6, v6, 1, s[0:1]
	s_and_b64 vcc, s[0:1], vcc
	v_cndmask_b32_e32 v2, v4, v2, vcc
	v_and_b32_e32 v4, 1, v6
	v_cndmask_b32_e32 v3, v5, v3, vcc
	v_cmp_eq_u32_e32 vcc, 1, v4
	s_andn2_b64 s[0:1], s[0:1], exec
	s_and_b64 s[28:29], vcc, exec
	v_and_b32_e32 v1, 0xff, v6
	s_or_b64 s[0:1], s[0:1], s[28:29]
; %bb.138:
	s_or_b64 exec, exec, s[14:15]
	v_mov_b32_dpp v6, v1 quad_perm:[2,3,0,1] row_mask:0xf bank_mask:0xf bound_ctrl:1
	v_and_b32_e32 v7, 1, v6
	v_mov_b32_dpp v4, v2 quad_perm:[2,3,0,1] row_mask:0xf bank_mask:0xf bound_ctrl:1
	v_mov_b32_dpp v5, v3 quad_perm:[2,3,0,1] row_mask:0xf bank_mask:0xf bound_ctrl:1
	v_cmp_eq_u32_e32 vcc, 1, v7
	s_and_saveexec_b64 s[14:15], vcc
; %bb.139:
	v_cmp_lt_i64_e32 vcc, v[2:3], v[4:5]
	v_cndmask_b32_e64 v6, v6, 1, s[0:1]
	s_and_b64 vcc, s[0:1], vcc
	v_cndmask_b32_e32 v2, v4, v2, vcc
	v_and_b32_e32 v4, 1, v6
	v_cndmask_b32_e32 v3, v5, v3, vcc
	v_cmp_eq_u32_e32 vcc, 1, v4
	s_andn2_b64 s[0:1], s[0:1], exec
	s_and_b64 s[28:29], vcc, exec
	v_and_b32_e32 v1, 0xff, v6
	s_or_b64 s[0:1], s[0:1], s[28:29]
; %bb.140:
	s_or_b64 exec, exec, s[14:15]
	v_mov_b32_dpp v6, v1 row_ror:4 row_mask:0xf bank_mask:0xf bound_ctrl:1
	v_and_b32_e32 v7, 1, v6
	v_mov_b32_dpp v4, v2 row_ror:4 row_mask:0xf bank_mask:0xf bound_ctrl:1
	v_mov_b32_dpp v5, v3 row_ror:4 row_mask:0xf bank_mask:0xf bound_ctrl:1
	v_cmp_eq_u32_e32 vcc, 1, v7
	s_and_saveexec_b64 s[14:15], vcc
; %bb.141:
	v_cmp_lt_i64_e32 vcc, v[2:3], v[4:5]
	v_cndmask_b32_e64 v6, v6, 1, s[0:1]
	s_and_b64 vcc, s[0:1], vcc
	v_cndmask_b32_e32 v2, v4, v2, vcc
	v_and_b32_e32 v4, 1, v6
	v_cndmask_b32_e32 v3, v5, v3, vcc
	v_cmp_eq_u32_e32 vcc, 1, v4
	s_andn2_b64 s[0:1], s[0:1], exec
	s_and_b64 s[28:29], vcc, exec
	v_and_b32_e32 v1, 0xff, v6
	s_or_b64 s[0:1], s[0:1], s[28:29]
; %bb.142:
	s_or_b64 exec, exec, s[14:15]
	v_mov_b32_dpp v6, v1 row_ror:8 row_mask:0xf bank_mask:0xf bound_ctrl:1
	v_and_b32_e32 v7, 1, v6
	v_mov_b32_dpp v4, v2 row_ror:8 row_mask:0xf bank_mask:0xf bound_ctrl:1
	v_mov_b32_dpp v5, v3 row_ror:8 row_mask:0xf bank_mask:0xf bound_ctrl:1
	v_cmp_eq_u32_e32 vcc, 1, v7
	s_and_saveexec_b64 s[14:15], vcc
; %bb.143:
	v_cmp_lt_i64_e32 vcc, v[2:3], v[4:5]
	v_cndmask_b32_e64 v6, v6, 1, s[0:1]
	s_and_b64 vcc, s[0:1], vcc
	v_cndmask_b32_e32 v2, v4, v2, vcc
	v_and_b32_e32 v4, 1, v6
	v_cndmask_b32_e32 v3, v5, v3, vcc
	v_cmp_eq_u32_e32 vcc, 1, v4
	s_andn2_b64 s[0:1], s[0:1], exec
	s_and_b64 s[28:29], vcc, exec
	v_and_b32_e32 v1, 0xff, v6
	s_or_b64 s[0:1], s[0:1], s[28:29]
; %bb.144:
	s_or_b64 exec, exec, s[14:15]
	v_mov_b32_dpp v6, v1 row_bcast:15 row_mask:0xf bank_mask:0xf bound_ctrl:1
	v_and_b32_e32 v7, 1, v6
	v_mov_b32_dpp v4, v2 row_bcast:15 row_mask:0xf bank_mask:0xf bound_ctrl:1
	v_mov_b32_dpp v5, v3 row_bcast:15 row_mask:0xf bank_mask:0xf bound_ctrl:1
	v_cmp_eq_u32_e32 vcc, 1, v7
	s_and_saveexec_b64 s[14:15], vcc
; %bb.145:
	v_cmp_lt_i64_e32 vcc, v[2:3], v[4:5]
	v_cndmask_b32_e64 v6, v6, 1, s[0:1]
	s_and_b64 vcc, s[0:1], vcc
	v_cndmask_b32_e32 v2, v4, v2, vcc
	v_and_b32_e32 v4, 1, v6
	v_cndmask_b32_e32 v3, v5, v3, vcc
	v_cmp_eq_u32_e32 vcc, 1, v4
	s_andn2_b64 s[0:1], s[0:1], exec
	s_and_b64 s[28:29], vcc, exec
	v_and_b32_e32 v1, 0xff, v6
	s_or_b64 s[0:1], s[0:1], s[28:29]
; %bb.146:
	s_or_b64 exec, exec, s[14:15]
	v_mov_b32_dpp v6, v1 row_bcast:31 row_mask:0xf bank_mask:0xf bound_ctrl:1
	v_and_b32_e32 v7, 1, v6
	v_mov_b32_dpp v4, v2 row_bcast:31 row_mask:0xf bank_mask:0xf bound_ctrl:1
	v_mov_b32_dpp v5, v3 row_bcast:31 row_mask:0xf bank_mask:0xf bound_ctrl:1
	v_cmp_eq_u32_e32 vcc, 1, v7
	s_and_saveexec_b64 s[14:15], vcc
; %bb.147:
	v_cmp_lt_i64_e32 vcc, v[2:3], v[4:5]
	v_and_b32_e32 v1, 0xff, v6
	s_and_b64 vcc, s[0:1], vcc
	v_cndmask_b32_e32 v2, v4, v2, vcc
	v_cndmask_b32_e32 v3, v5, v3, vcc
	v_cndmask_b32_e64 v1, v1, 1, s[0:1]
; %bb.148:
	s_or_b64 exec, exec, s[14:15]
	v_mbcnt_lo_u32_b32 v4, -1, 0
	v_mbcnt_hi_u32_b32 v4, -1, v4
	v_bfrev_b32_e32 v5, 0.5
	v_lshl_or_b32 v5, v4, 2, v5
	ds_bpermute_b32 v6, v5, v1
	ds_bpermute_b32 v2, v5, v2
	;; [unrolled: 1-line block ×3, first 2 shown]
	v_cmp_eq_u32_e32 vcc, 0, v4
	s_and_saveexec_b64 s[0:1], vcc
	s_cbranch_execz .LBB125_150
; %bb.149:
	v_lshrrev_b32_e32 v1, 2, v0
	v_and_b32_e32 v1, 48, v1
	s_waitcnt lgkmcnt(2)
	ds_write_b8 v1, v6 offset:64
	s_waitcnt lgkmcnt(1)
	ds_write_b64 v1, v[2:3] offset:72
.LBB125_150:
	s_or_b64 exec, exec, s[0:1]
	v_cmp_gt_u32_e32 vcc, 64, v0
	s_waitcnt lgkmcnt(0)
	s_barrier
	s_and_saveexec_b64 s[14:15], vcc
	s_cbranch_execz .LBB125_152
; %bb.151:
	v_and_b32_e32 v1, 3, v4
	v_lshlrev_b32_e32 v2, 4, v1
	ds_read_u8 v5, v2 offset:64
	ds_read_b64 v[2:3], v2 offset:72
	v_cmp_ne_u32_e32 vcc, 3, v1
	v_addc_co_u32_e32 v6, vcc, 0, v4, vcc
	s_waitcnt lgkmcnt(1)
	v_and_b32_e32 v7, 0xff, v5
	v_lshlrev_b32_e32 v8, 2, v6
	ds_bpermute_b32 v9, v8, v7
	s_waitcnt lgkmcnt(1)
	ds_bpermute_b32 v6, v8, v2
	ds_bpermute_b32 v7, v8, v3
	v_and_b32_e32 v8, 1, v5
	s_waitcnt lgkmcnt(2)
	v_and_b32_e32 v10, 1, v9
	v_cmp_eq_u32_e64 s[0:1], 1, v10
	s_waitcnt lgkmcnt(0)
	v_cmp_lt_i64_e32 vcc, v[6:7], v[2:3]
	s_and_b64 vcc, s[0:1], vcc
	v_cndmask_b32_e64 v5, v5, 1, s[0:1]
	v_cndmask_b32_e32 v2, v2, v6, vcc
	v_cndmask_b32_e32 v3, v3, v7, vcc
	v_cmp_eq_u32_e32 vcc, 1, v8
	v_cndmask_b32_e32 v8, v9, v5, vcc
	v_cndmask_b32_e32 v3, v7, v3, vcc
	;; [unrolled: 1-line block ×3, first 2 shown]
	v_cmp_gt_u32_e32 vcc, 2, v1
	v_cndmask_b32_e64 v1, 0, 1, vcc
	v_lshlrev_b32_e32 v1, 1, v1
	v_and_b32_e32 v5, 0xff, v8
	v_add_lshl_u32 v1, v1, v4, 2
	ds_bpermute_b32 v6, v1, v5
	ds_bpermute_b32 v4, v1, v2
	;; [unrolled: 1-line block ×3, first 2 shown]
	v_and_b32_e32 v1, 1, v8
	s_waitcnt lgkmcnt(2)
	v_and_b32_e32 v7, 1, v6
	v_cmp_eq_u32_e64 s[0:1], 1, v7
	s_waitcnt lgkmcnt(0)
	v_cmp_lt_i64_e32 vcc, v[4:5], v[2:3]
	s_and_b64 vcc, s[0:1], vcc
	v_cndmask_b32_e64 v7, v8, 1, s[0:1]
	v_cndmask_b32_e32 v2, v2, v4, vcc
	v_cndmask_b32_e32 v3, v3, v5, vcc
	v_cmp_eq_u32_e32 vcc, 1, v1
	v_cndmask_b32_e32 v1, v6, v7, vcc
	v_cndmask_b32_e32 v3, v5, v3, vcc
	;; [unrolled: 1-line block ×3, first 2 shown]
	v_and_b32_e32 v6, 0xff, v1
.LBB125_152:
	s_or_b64 exec, exec, s[14:15]
	s_branch .LBB125_183
.LBB125_153:
                                        ; implicit-def: $vgpr4_vgpr5
                                        ; implicit-def: $vgpr1
	s_cbranch_execnz .LBB125_188
	s_branch .LBB125_208
.LBB125_154:
                                        ; implicit-def: $vgpr4_vgpr5
                                        ; implicit-def: $vgpr1
	s_branch .LBB125_208
.LBB125_155:
                                        ; implicit-def: $vgpr2_vgpr3
                                        ; implicit-def: $vgpr6
	s_cbranch_execz .LBB125_183
; %bb.156:
	s_sub_i32 s14, s22, s12
	s_waitcnt lgkmcnt(0)
	v_pk_mov_b32 v[4:5], 0, 0
	v_cmp_gt_u32_e32 vcc, s14, v0
	v_mov_b32_e32 v1, 0
	v_pk_mov_b32 v[2:3], v[4:5], v[4:5] op_sel:[0,1]
	v_mov_b32_e32 v7, 0
	s_and_saveexec_b64 s[0:1], vcc
	s_cbranch_execz .LBB125_158
; %bb.157:
	v_lshlrev_b32_e32 v2, 3, v0
	global_load_dwordx2 v[6:7], v2, s[2:3]
	global_load_dwordx2 v[8:9], v2, s[8:9]
	v_mov_b32_e32 v3, s17
	v_add_co_u32_e32 v2, vcc, s16, v0
	v_addc_co_u32_e32 v3, vcc, 0, v3, vcc
	s_waitcnt vmcnt(0)
	v_cmp_ne_u64_e32 vcc, v[6:7], v[8:9]
	v_cndmask_b32_e64 v7, 0, 1, vcc
.LBB125_158:
	s_or_b64 exec, exec, s[0:1]
	v_or_b32_e32 v6, 0x100, v0
	v_cmp_gt_u32_e32 vcc, s14, v6
	s_and_saveexec_b64 s[12:13], vcc
	s_cbranch_execz .LBB125_160
; %bb.159:
	v_lshlrev_b32_e32 v1, 3, v0
	global_load_dwordx2 v[8:9], v1, s[2:3] offset:2048
	global_load_dwordx2 v[10:11], v1, s[8:9] offset:2048
	v_mov_b32_e32 v1, s17
	v_add_co_u32_e64 v4, s[0:1], s16, v6
	v_addc_co_u32_e64 v5, s[0:1], 0, v1, s[0:1]
	s_waitcnt vmcnt(0)
	v_cmp_ne_u64_e64 s[0:1], v[8:9], v[10:11]
	v_cndmask_b32_e64 v1, 0, 1, s[0:1]
.LBB125_160:
	s_or_b64 exec, exec, s[12:13]
	s_and_saveexec_b64 s[2:3], vcc
	s_cbranch_execz .LBB125_162
; %bb.161:
	v_and_b32_e32 v8, 1, v1
	v_cmp_lt_i64_e32 vcc, v[4:5], v[2:3]
	v_cmp_eq_u32_e64 s[0:1], 1, v8
	v_and_b32_e32 v6, 1, v7
	s_and_b64 vcc, s[0:1], vcc
	v_cndmask_b32_e64 v7, v7, 1, s[0:1]
	v_cndmask_b32_e32 v2, v2, v4, vcc
	v_cndmask_b32_e32 v3, v3, v5, vcc
	v_cmp_eq_u32_e32 vcc, 1, v6
	v_cndmask_b32_e32 v7, v1, v7, vcc
	v_cndmask_b32_e32 v3, v5, v3, vcc
	;; [unrolled: 1-line block ×3, first 2 shown]
.LBB125_162:
	s_or_b64 exec, exec, s[2:3]
	v_mbcnt_lo_u32_b32 v1, -1, 0
	v_mbcnt_hi_u32_b32 v1, -1, v1
	v_and_b32_e32 v8, 63, v1
	v_cmp_ne_u32_e32 vcc, 63, v8
	v_addc_co_u32_e32 v4, vcc, 0, v1, vcc
	v_and_b32_e32 v6, 0xffff, v7
	v_lshlrev_b32_e32 v5, 2, v4
	ds_bpermute_b32 v10, v5, v6
	ds_bpermute_b32 v4, v5, v2
	;; [unrolled: 1-line block ×3, first 2 shown]
	s_min_u32 s8, s14, 0x100
	v_and_b32_e32 v9, 0xc0, v0
	v_sub_u32_e64 v9, s8, v9 clamp
	v_add_u32_e32 v11, 1, v8
	v_cmp_lt_u32_e32 vcc, v11, v9
	s_and_saveexec_b64 s[2:3], vcc
	s_cbranch_execz .LBB125_164
; %bb.163:
	s_waitcnt lgkmcnt(2)
	v_and_b32_e32 v11, 1, v10
	s_waitcnt lgkmcnt(0)
	v_cmp_lt_i64_e32 vcc, v[4:5], v[2:3]
	v_cmp_eq_u32_e64 s[0:1], 1, v11
	v_and_b32_e32 v6, 1, v7
	s_and_b64 vcc, s[0:1], vcc
	v_cndmask_b32_e64 v7, v7, 1, s[0:1]
	v_cndmask_b32_e32 v2, v2, v4, vcc
	v_cndmask_b32_e32 v3, v3, v5, vcc
	v_cmp_eq_u32_e32 vcc, 1, v6
	v_cndmask_b32_e32 v7, v10, v7, vcc
	v_cndmask_b32_e32 v3, v5, v3, vcc
	v_cndmask_b32_e32 v2, v4, v2, vcc
	v_and_b32_e32 v6, 0xff, v7
.LBB125_164:
	s_or_b64 exec, exec, s[2:3]
	v_cmp_gt_u32_e32 vcc, 62, v8
	s_waitcnt lgkmcnt(1)
	v_cndmask_b32_e64 v4, 0, 1, vcc
	v_lshlrev_b32_e32 v4, 1, v4
	s_waitcnt lgkmcnt(0)
	v_add_lshl_u32 v5, v4, v1, 2
	ds_bpermute_b32 v10, v5, v6
	ds_bpermute_b32 v4, v5, v2
	ds_bpermute_b32 v5, v5, v3
	v_add_u32_e32 v11, 2, v8
	v_cmp_lt_u32_e32 vcc, v11, v9
	s_and_saveexec_b64 s[2:3], vcc
	s_cbranch_execz .LBB125_166
; %bb.165:
	s_waitcnt lgkmcnt(2)
	v_and_b32_e32 v11, 1, v10
	s_waitcnt lgkmcnt(0)
	v_cmp_lt_i64_e32 vcc, v[4:5], v[2:3]
	v_cmp_eq_u32_e64 s[0:1], 1, v11
	v_and_b32_e32 v6, 1, v7
	s_and_b64 vcc, s[0:1], vcc
	v_cndmask_b32_e64 v7, v7, 1, s[0:1]
	v_cndmask_b32_e32 v2, v2, v4, vcc
	v_cndmask_b32_e32 v3, v3, v5, vcc
	v_cmp_eq_u32_e32 vcc, 1, v6
	v_cndmask_b32_e32 v7, v10, v7, vcc
	v_cndmask_b32_e32 v3, v5, v3, vcc
	v_cndmask_b32_e32 v2, v4, v2, vcc
	v_and_b32_e32 v6, 0xff, v7
.LBB125_166:
	s_or_b64 exec, exec, s[2:3]
	v_cmp_gt_u32_e32 vcc, 60, v8
	s_waitcnt lgkmcnt(1)
	v_cndmask_b32_e64 v4, 0, 1, vcc
	v_lshlrev_b32_e32 v4, 2, v4
	s_waitcnt lgkmcnt(0)
	v_add_lshl_u32 v5, v4, v1, 2
	ds_bpermute_b32 v10, v5, v6
	ds_bpermute_b32 v4, v5, v2
	ds_bpermute_b32 v5, v5, v3
	;; [unrolled: 31-line block ×5, first 2 shown]
	v_add_u32_e32 v8, 32, v8
	v_cmp_lt_u32_e32 vcc, v8, v9
	s_and_saveexec_b64 s[2:3], vcc
	s_cbranch_execz .LBB125_174
; %bb.173:
	s_waitcnt lgkmcnt(2)
	v_and_b32_e32 v8, 1, v10
	s_waitcnt lgkmcnt(0)
	v_cmp_lt_i64_e32 vcc, v[4:5], v[2:3]
	v_cmp_eq_u32_e64 s[0:1], 1, v8
	v_and_b32_e32 v6, 1, v7
	s_and_b64 vcc, s[0:1], vcc
	v_cndmask_b32_e64 v7, v7, 1, s[0:1]
	v_cndmask_b32_e32 v2, v2, v4, vcc
	v_cndmask_b32_e32 v3, v3, v5, vcc
	v_cmp_eq_u32_e32 vcc, 1, v6
	v_cndmask_b32_e32 v7, v10, v7, vcc
	v_cndmask_b32_e32 v3, v5, v3, vcc
	;; [unrolled: 1-line block ×3, first 2 shown]
	v_and_b32_e32 v6, 0xff, v7
.LBB125_174:
	s_or_b64 exec, exec, s[2:3]
	v_cmp_eq_u32_e32 vcc, 0, v1
	s_and_saveexec_b64 s[0:1], vcc
	s_cbranch_execz .LBB125_176
; %bb.175:
	s_waitcnt lgkmcnt(1)
	v_lshrrev_b32_e32 v4, 2, v0
	v_and_b32_e32 v4, 48, v4
	ds_write_b8 v4, v7 offset:256
	ds_write_b64 v4, v[2:3] offset:264
.LBB125_176:
	s_or_b64 exec, exec, s[0:1]
	v_cmp_gt_u32_e32 vcc, 4, v0
	s_waitcnt lgkmcnt(0)
	s_barrier
	s_and_saveexec_b64 s[2:3], vcc
	s_cbranch_execz .LBB125_182
; %bb.177:
	v_lshlrev_b32_e32 v2, 4, v1
	ds_read_u8 v7, v2 offset:256
	ds_read_b64 v[2:3], v2 offset:264
	v_and_b32_e32 v8, 3, v1
	v_cmp_ne_u32_e32 vcc, 3, v8
	v_addc_co_u32_e32 v4, vcc, 0, v1, vcc
	s_waitcnt lgkmcnt(1)
	v_and_b32_e32 v6, 0xff, v7
	v_lshlrev_b32_e32 v5, 2, v4
	ds_bpermute_b32 v9, v5, v6
	s_waitcnt lgkmcnt(1)
	ds_bpermute_b32 v4, v5, v2
	ds_bpermute_b32 v5, v5, v3
	s_add_i32 s8, s8, 63
	s_lshr_b32 s12, s8, 6
	v_add_u32_e32 v10, 1, v8
	v_cmp_gt_u32_e32 vcc, s12, v10
	s_and_saveexec_b64 s[8:9], vcc
	s_cbranch_execz .LBB125_179
; %bb.178:
	s_waitcnt lgkmcnt(2)
	v_and_b32_e32 v10, 1, v9
	s_waitcnt lgkmcnt(0)
	v_cmp_lt_i64_e32 vcc, v[4:5], v[2:3]
	v_cmp_eq_u32_e64 s[0:1], 1, v10
	v_and_b32_e32 v6, 1, v7
	s_and_b64 vcc, s[0:1], vcc
	v_cndmask_b32_e64 v7, v7, 1, s[0:1]
	v_cndmask_b32_e32 v2, v2, v4, vcc
	v_cndmask_b32_e32 v3, v3, v5, vcc
	v_cmp_eq_u32_e32 vcc, 1, v6
	v_cndmask_b32_e32 v7, v9, v7, vcc
	v_cndmask_b32_e32 v3, v5, v3, vcc
	;; [unrolled: 1-line block ×3, first 2 shown]
	v_and_b32_e32 v6, 0xff, v7
.LBB125_179:
	s_or_b64 exec, exec, s[8:9]
	v_cmp_gt_u32_e32 vcc, 2, v8
	s_waitcnt lgkmcnt(1)
	v_cndmask_b32_e64 v4, 0, 1, vcc
	v_lshlrev_b32_e32 v4, 1, v4
	s_waitcnt lgkmcnt(0)
	v_add_lshl_u32 v5, v4, v1, 2
	ds_bpermute_b32 v1, v5, v6
	ds_bpermute_b32 v4, v5, v2
	;; [unrolled: 1-line block ×3, first 2 shown]
	v_add_u32_e32 v8, 2, v8
	v_cmp_gt_u32_e32 vcc, s12, v8
	s_and_saveexec_b64 s[8:9], vcc
	s_cbranch_execz .LBB125_181
; %bb.180:
	s_waitcnt lgkmcnt(2)
	v_and_b32_e32 v8, 1, v1
	s_waitcnt lgkmcnt(0)
	v_cmp_lt_i64_e32 vcc, v[4:5], v[2:3]
	v_cmp_eq_u32_e64 s[0:1], 1, v8
	v_and_b32_e32 v6, 1, v7
	s_and_b64 vcc, s[0:1], vcc
	v_cndmask_b32_e64 v7, v7, 1, s[0:1]
	v_cndmask_b32_e32 v2, v2, v4, vcc
	v_cndmask_b32_e32 v3, v3, v5, vcc
	v_cmp_eq_u32_e32 vcc, 1, v6
	v_cndmask_b32_e32 v1, v1, v7, vcc
	v_cndmask_b32_e32 v3, v5, v3, vcc
	;; [unrolled: 1-line block ×3, first 2 shown]
	v_and_b32_e32 v6, 0xff, v1
.LBB125_181:
	s_or_b64 exec, exec, s[8:9]
.LBB125_182:
	s_or_b64 exec, exec, s[2:3]
.LBB125_183:
	v_cmp_eq_u32_e32 vcc, 0, v0
                                        ; implicit-def: $vgpr4_vgpr5
                                        ; implicit-def: $vgpr1
	s_and_saveexec_b64 s[0:1], vcc
	s_xor_b64 s[8:9], exec, s[0:1]
	s_cbranch_execz .LBB125_187
; %bb.184:
	s_cmp_eq_u64 s[22:23], 0
	s_waitcnt lgkmcnt(0)
	v_pk_mov_b32 v[4:5], s[18:19], s[18:19] op_sel:[0,1]
	v_mov_b32_e32 v1, s33
	s_cbranch_scc1 .LBB125_186
; %bb.185:
	v_and_b32_e32 v1, 1, v6
	s_bitcmp1_b32 s33, 0
	v_mov_b32_e32 v4, s33
	v_cmp_eq_u32_e32 vcc, 1, v1
	v_cmp_gt_i64_e64 s[2:3], s[18:19], v[2:3]
	v_cndmask_b32_e64 v1, v4, 1, vcc
	s_cselect_b64 s[0:1], -1, 0
	v_mov_b32_e32 v4, s18
	s_and_b64 vcc, vcc, s[2:3]
	v_mov_b32_e32 v5, s19
	v_cndmask_b32_e32 v4, v4, v2, vcc
	v_cndmask_b32_e32 v5, v5, v3, vcc
	v_cndmask_b32_e64 v1, v6, v1, s[0:1]
	v_cndmask_b32_e64 v5, v3, v5, s[0:1]
	;; [unrolled: 1-line block ×3, first 2 shown]
.LBB125_186:
	s_or_b64 s[10:11], s[10:11], exec
.LBB125_187:
	s_or_b64 exec, exec, s[8:9]
	s_branch .LBB125_208
.LBB125_188:
	s_cmp_eq_u32 s36, 1
	s_cbranch_scc0 .LBB125_207
; %bb.189:
	s_mov_b32 s3, 0
	s_lshl_b32 s2, s6, 8
	s_mov_b32 s7, s3
	s_lshr_b64 s[0:1], s[22:23], 8
	s_cmp_lg_u64 s[0:1], s[6:7]
	s_cbranch_scc0 .LBB125_211
; %bb.190:
	s_lshl_b64 s[0:1], s[2:3], 3
	s_add_u32 s8, s24, s0
	s_addc_u32 s9, s25, s1
	s_add_u32 s0, s26, s0
	s_waitcnt lgkmcnt(2)
	v_lshlrev_b32_e32 v1, 3, v0
	s_addc_u32 s1, s27, s1
	global_load_dwordx2 v[6:7], v1, s[8:9]
	global_load_dwordx2 v[8:9], v1, s[0:1]
	s_add_u32 s0, s20, s2
	s_addc_u32 s1, s21, 0
	v_mov_b32_e32 v1, s1
	v_add_co_u32_e32 v2, vcc, s0, v0
	v_addc_co_u32_e32 v3, vcc, 0, v1, vcc
	s_waitcnt lgkmcnt(1)
	v_mov_b32_dpp v4, v2 quad_perm:[1,0,3,2] row_mask:0xf bank_mask:0xf bound_ctrl:1
	s_waitcnt lgkmcnt(0)
	v_mov_b32_dpp v5, v3 quad_perm:[1,0,3,2] row_mask:0xf bank_mask:0xf bound_ctrl:1
	s_waitcnt vmcnt(0)
	v_cmp_ne_u64_e32 vcc, v[6:7], v[8:9]
	v_cndmask_b32_e64 v1, 0, 1, vcc
	v_cndmask_b32_e64 v6, 0, 1, vcc
	s_nop 0
	v_mov_b32_dpp v1, v1 quad_perm:[1,0,3,2] row_mask:0xf bank_mask:0xf bound_ctrl:1
	v_and_b32_e32 v7, 1, v1
	v_cmp_eq_u32_e64 s[0:1], 1, v7
	s_and_saveexec_b64 s[8:9], s[0:1]
; %bb.191:
	v_cmp_lt_i64_e64 s[0:1], v[2:3], v[4:5]
	v_cndmask_b32_e64 v6, v1, 1, vcc
	s_and_b64 vcc, vcc, s[0:1]
	v_cndmask_b32_e32 v3, v5, v3, vcc
	v_cndmask_b32_e32 v2, v4, v2, vcc
; %bb.192:
	s_or_b64 exec, exec, s[8:9]
	v_and_b32_e32 v1, 0xff, v6
	v_and_b32_e32 v6, 1, v6
	v_mov_b32_dpp v4, v2 quad_perm:[2,3,0,1] row_mask:0xf bank_mask:0xf bound_ctrl:1
	v_mov_b32_dpp v7, v1 quad_perm:[2,3,0,1] row_mask:0xf bank_mask:0xf bound_ctrl:1
	v_and_b32_e32 v8, 1, v7
	v_mov_b32_dpp v5, v3 quad_perm:[2,3,0,1] row_mask:0xf bank_mask:0xf bound_ctrl:1
	v_cmp_eq_u32_e32 vcc, 1, v8
	v_cmp_eq_u32_e64 s[0:1], 1, v6
	s_and_saveexec_b64 s[8:9], vcc
; %bb.193:
	v_cmp_lt_i64_e32 vcc, v[2:3], v[4:5]
	v_cndmask_b32_e64 v6, v7, 1, s[0:1]
	s_and_b64 vcc, s[0:1], vcc
	v_cndmask_b32_e32 v2, v4, v2, vcc
	v_and_b32_e32 v4, 1, v6
	v_cndmask_b32_e32 v3, v5, v3, vcc
	v_cmp_eq_u32_e32 vcc, 1, v4
	s_andn2_b64 s[0:1], s[0:1], exec
	s_and_b64 s[12:13], vcc, exec
	v_and_b32_e32 v1, 0xff, v6
	s_or_b64 s[0:1], s[0:1], s[12:13]
; %bb.194:
	s_or_b64 exec, exec, s[8:9]
	v_mov_b32_dpp v6, v1 row_ror:4 row_mask:0xf bank_mask:0xf bound_ctrl:1
	v_and_b32_e32 v7, 1, v6
	v_mov_b32_dpp v4, v2 row_ror:4 row_mask:0xf bank_mask:0xf bound_ctrl:1
	v_mov_b32_dpp v5, v3 row_ror:4 row_mask:0xf bank_mask:0xf bound_ctrl:1
	v_cmp_eq_u32_e32 vcc, 1, v7
	s_and_saveexec_b64 s[8:9], vcc
; %bb.195:
	v_cmp_lt_i64_e32 vcc, v[2:3], v[4:5]
	v_cndmask_b32_e64 v6, v6, 1, s[0:1]
	s_and_b64 vcc, s[0:1], vcc
	v_cndmask_b32_e32 v2, v4, v2, vcc
	v_and_b32_e32 v4, 1, v6
	v_cndmask_b32_e32 v3, v5, v3, vcc
	v_cmp_eq_u32_e32 vcc, 1, v4
	s_andn2_b64 s[0:1], s[0:1], exec
	s_and_b64 s[12:13], vcc, exec
	v_and_b32_e32 v1, 0xff, v6
	s_or_b64 s[0:1], s[0:1], s[12:13]
; %bb.196:
	s_or_b64 exec, exec, s[8:9]
	v_mov_b32_dpp v6, v1 row_ror:8 row_mask:0xf bank_mask:0xf bound_ctrl:1
	v_and_b32_e32 v7, 1, v6
	v_mov_b32_dpp v4, v2 row_ror:8 row_mask:0xf bank_mask:0xf bound_ctrl:1
	v_mov_b32_dpp v5, v3 row_ror:8 row_mask:0xf bank_mask:0xf bound_ctrl:1
	v_cmp_eq_u32_e32 vcc, 1, v7
	s_and_saveexec_b64 s[8:9], vcc
; %bb.197:
	v_cmp_lt_i64_e32 vcc, v[2:3], v[4:5]
	v_cndmask_b32_e64 v6, v6, 1, s[0:1]
	s_and_b64 vcc, s[0:1], vcc
	v_cndmask_b32_e32 v2, v4, v2, vcc
	v_and_b32_e32 v4, 1, v6
	v_cndmask_b32_e32 v3, v5, v3, vcc
	v_cmp_eq_u32_e32 vcc, 1, v4
	s_andn2_b64 s[0:1], s[0:1], exec
	s_and_b64 s[12:13], vcc, exec
	v_and_b32_e32 v1, 0xff, v6
	s_or_b64 s[0:1], s[0:1], s[12:13]
; %bb.198:
	s_or_b64 exec, exec, s[8:9]
	v_mov_b32_dpp v6, v1 row_bcast:15 row_mask:0xf bank_mask:0xf bound_ctrl:1
	v_and_b32_e32 v7, 1, v6
	v_mov_b32_dpp v4, v2 row_bcast:15 row_mask:0xf bank_mask:0xf bound_ctrl:1
	v_mov_b32_dpp v5, v3 row_bcast:15 row_mask:0xf bank_mask:0xf bound_ctrl:1
	v_cmp_eq_u32_e32 vcc, 1, v7
	s_and_saveexec_b64 s[8:9], vcc
; %bb.199:
	v_cmp_lt_i64_e32 vcc, v[2:3], v[4:5]
	v_cndmask_b32_e64 v6, v6, 1, s[0:1]
	s_and_b64 vcc, s[0:1], vcc
	v_cndmask_b32_e32 v2, v4, v2, vcc
	v_and_b32_e32 v4, 1, v6
	v_cndmask_b32_e32 v3, v5, v3, vcc
	v_cmp_eq_u32_e32 vcc, 1, v4
	s_andn2_b64 s[0:1], s[0:1], exec
	s_and_b64 s[12:13], vcc, exec
	v_and_b32_e32 v1, 0xff, v6
	s_or_b64 s[0:1], s[0:1], s[12:13]
; %bb.200:
	s_or_b64 exec, exec, s[8:9]
	v_mov_b32_dpp v6, v1 row_bcast:31 row_mask:0xf bank_mask:0xf bound_ctrl:1
	v_and_b32_e32 v7, 1, v6
	v_mov_b32_dpp v4, v2 row_bcast:31 row_mask:0xf bank_mask:0xf bound_ctrl:1
	v_mov_b32_dpp v5, v3 row_bcast:31 row_mask:0xf bank_mask:0xf bound_ctrl:1
	v_cmp_eq_u32_e32 vcc, 1, v7
	s_and_saveexec_b64 s[8:9], vcc
; %bb.201:
	v_cmp_lt_i64_e32 vcc, v[2:3], v[4:5]
	v_and_b32_e32 v1, 0xff, v6
	s_and_b64 vcc, s[0:1], vcc
	v_cndmask_b32_e32 v2, v4, v2, vcc
	v_cndmask_b32_e32 v3, v5, v3, vcc
	v_cndmask_b32_e64 v1, v1, 1, s[0:1]
; %bb.202:
	s_or_b64 exec, exec, s[8:9]
	v_mbcnt_lo_u32_b32 v4, -1, 0
	v_mbcnt_hi_u32_b32 v4, -1, v4
	v_bfrev_b32_e32 v5, 0.5
	v_lshl_or_b32 v5, v4, 2, v5
	ds_bpermute_b32 v6, v5, v1
	ds_bpermute_b32 v2, v5, v2
	ds_bpermute_b32 v3, v5, v3
	v_cmp_eq_u32_e32 vcc, 0, v4
	s_and_saveexec_b64 s[0:1], vcc
	s_cbranch_execz .LBB125_204
; %bb.203:
	v_lshrrev_b32_e32 v1, 2, v0
	v_and_b32_e32 v1, 48, v1
	s_waitcnt lgkmcnt(2)
	ds_write_b8 v1, v6
	s_waitcnt lgkmcnt(1)
	ds_write_b64 v1, v[2:3] offset:8
.LBB125_204:
	s_or_b64 exec, exec, s[0:1]
	v_cmp_gt_u32_e32 vcc, 64, v0
	s_waitcnt lgkmcnt(0)
	s_barrier
	s_and_saveexec_b64 s[8:9], vcc
	s_cbranch_execz .LBB125_206
; %bb.205:
	v_and_b32_e32 v1, 3, v4
	v_lshlrev_b32_e32 v2, 4, v1
	ds_read_u8 v5, v2
	ds_read_b64 v[2:3], v2 offset:8
	v_cmp_ne_u32_e32 vcc, 3, v1
	v_addc_co_u32_e32 v6, vcc, 0, v4, vcc
	s_waitcnt lgkmcnt(1)
	v_and_b32_e32 v7, 0xff, v5
	v_lshlrev_b32_e32 v8, 2, v6
	ds_bpermute_b32 v9, v8, v7
	s_waitcnt lgkmcnt(1)
	ds_bpermute_b32 v6, v8, v2
	ds_bpermute_b32 v7, v8, v3
	v_and_b32_e32 v8, 1, v5
	s_waitcnt lgkmcnt(2)
	v_and_b32_e32 v10, 1, v9
	v_cmp_eq_u32_e64 s[0:1], 1, v10
	s_waitcnt lgkmcnt(0)
	v_cmp_lt_i64_e32 vcc, v[6:7], v[2:3]
	s_and_b64 vcc, s[0:1], vcc
	v_cndmask_b32_e64 v5, v5, 1, s[0:1]
	v_cndmask_b32_e32 v2, v2, v6, vcc
	v_cndmask_b32_e32 v3, v3, v7, vcc
	v_cmp_eq_u32_e32 vcc, 1, v8
	v_cndmask_b32_e32 v8, v9, v5, vcc
	v_cndmask_b32_e32 v3, v7, v3, vcc
	;; [unrolled: 1-line block ×3, first 2 shown]
	v_cmp_gt_u32_e32 vcc, 2, v1
	v_cndmask_b32_e64 v1, 0, 1, vcc
	v_lshlrev_b32_e32 v1, 1, v1
	v_and_b32_e32 v5, 0xff, v8
	v_add_lshl_u32 v1, v1, v4, 2
	ds_bpermute_b32 v6, v1, v5
	ds_bpermute_b32 v4, v1, v2
	;; [unrolled: 1-line block ×3, first 2 shown]
	v_and_b32_e32 v1, 1, v8
	s_waitcnt lgkmcnt(2)
	v_and_b32_e32 v7, 1, v6
	v_cmp_eq_u32_e64 s[0:1], 1, v7
	s_waitcnt lgkmcnt(0)
	v_cmp_lt_i64_e32 vcc, v[4:5], v[2:3]
	s_and_b64 vcc, s[0:1], vcc
	v_cndmask_b32_e64 v7, v8, 1, s[0:1]
	v_cndmask_b32_e32 v2, v2, v4, vcc
	v_cndmask_b32_e32 v3, v3, v5, vcc
	v_cmp_eq_u32_e32 vcc, 1, v1
	v_cndmask_b32_e32 v1, v6, v7, vcc
	v_cndmask_b32_e32 v3, v5, v3, vcc
	;; [unrolled: 1-line block ×3, first 2 shown]
	v_and_b32_e32 v6, 0xff, v1
.LBB125_206:
	s_or_b64 exec, exec, s[8:9]
	s_branch .LBB125_235
.LBB125_207:
                                        ; implicit-def: $vgpr4_vgpr5
                                        ; implicit-def: $vgpr1
                                        ; implicit-def: $sgpr6_sgpr7
.LBB125_208:
	s_and_saveexec_b64 s[0:1], s[10:11]
	s_cbranch_execz .LBB125_210
.LBB125_209:
	s_load_dwordx2 s[0:1], s[4:5], 0x38
	s_lshl_b64 s[2:3], s[6:7], 4
	v_mov_b32_e32 v0, 0
	s_waitcnt lgkmcnt(0)
	s_add_u32 s0, s0, s2
	s_addc_u32 s1, s1, s3
	global_store_byte v0, v1, s[0:1]
	global_store_dwordx2 v0, v[4:5], s[0:1] offset:8
.LBB125_210:
	s_endpgm
.LBB125_211:
                                        ; implicit-def: $vgpr2_vgpr3
                                        ; implicit-def: $vgpr6
	s_cbranch_execz .LBB125_235
; %bb.212:
	s_sub_i32 s8, s22, s2
	v_cmp_gt_u32_e32 vcc, s8, v0
	v_pk_mov_b32 v[2:3], 0, 0
	v_mov_b32_e32 v7, 0
	s_and_saveexec_b64 s[0:1], vcc
	s_cbranch_execz .LBB125_214
; %bb.213:
	s_lshl_b64 s[12:13], s[2:3], 3
	s_add_u32 s14, s26, s12
	s_addc_u32 s15, s27, s13
	s_add_u32 s12, s24, s12
	s_addc_u32 s13, s25, s13
	s_waitcnt lgkmcnt(2)
	v_lshlrev_b32_e32 v1, 3, v0
	s_waitcnt lgkmcnt(0)
	global_load_dwordx2 v[4:5], v1, s[12:13]
	global_load_dwordx2 v[6:7], v1, s[14:15]
	s_add_u32 s2, s20, s2
	s_addc_u32 s3, s21, 0
	v_mov_b32_e32 v1, s3
	v_add_co_u32_e32 v2, vcc, s2, v0
	v_addc_co_u32_e32 v3, vcc, 0, v1, vcc
	s_waitcnt vmcnt(0)
	v_cmp_ne_u64_e32 vcc, v[4:5], v[6:7]
	v_cndmask_b32_e64 v7, 0, 1, vcc
.LBB125_214:
	s_or_b64 exec, exec, s[0:1]
	s_waitcnt lgkmcnt(2)
	v_mbcnt_lo_u32_b32 v1, -1, 0
	v_mbcnt_hi_u32_b32 v1, -1, v1
	v_and_b32_e32 v8, 63, v1
	v_cmp_ne_u32_e32 vcc, 63, v8
	s_waitcnt lgkmcnt(1)
	v_addc_co_u32_e32 v4, vcc, 0, v1, vcc
	v_and_b32_e32 v6, 0xffff, v7
	s_waitcnt lgkmcnt(0)
	v_lshlrev_b32_e32 v5, 2, v4
	ds_bpermute_b32 v10, v5, v6
	ds_bpermute_b32 v4, v5, v2
	;; [unrolled: 1-line block ×3, first 2 shown]
	s_min_u32 s8, s8, 0x100
	v_and_b32_e32 v9, 0xc0, v0
	v_sub_u32_e64 v9, s8, v9 clamp
	v_add_u32_e32 v11, 1, v8
	v_cmp_lt_u32_e32 vcc, v11, v9
	s_and_saveexec_b64 s[2:3], vcc
	s_cbranch_execz .LBB125_216
; %bb.215:
	s_waitcnt lgkmcnt(2)
	v_and_b32_e32 v11, 1, v10
	s_waitcnt lgkmcnt(0)
	v_cmp_lt_i64_e32 vcc, v[4:5], v[2:3]
	v_cmp_eq_u32_e64 s[0:1], 1, v11
	v_and_b32_e32 v6, 1, v7
	s_and_b64 vcc, s[0:1], vcc
	v_cndmask_b32_e64 v7, v7, 1, s[0:1]
	v_cndmask_b32_e32 v2, v2, v4, vcc
	v_cndmask_b32_e32 v3, v3, v5, vcc
	v_cmp_eq_u32_e32 vcc, 1, v6
	v_cndmask_b32_e32 v7, v10, v7, vcc
	v_cndmask_b32_e32 v3, v5, v3, vcc
	v_cndmask_b32_e32 v2, v4, v2, vcc
	v_and_b32_e32 v6, 0xff, v7
.LBB125_216:
	s_or_b64 exec, exec, s[2:3]
	v_cmp_gt_u32_e32 vcc, 62, v8
	s_waitcnt lgkmcnt(1)
	v_cndmask_b32_e64 v4, 0, 1, vcc
	v_lshlrev_b32_e32 v4, 1, v4
	s_waitcnt lgkmcnt(0)
	v_add_lshl_u32 v5, v4, v1, 2
	ds_bpermute_b32 v10, v5, v6
	ds_bpermute_b32 v4, v5, v2
	ds_bpermute_b32 v5, v5, v3
	v_add_u32_e32 v11, 2, v8
	v_cmp_lt_u32_e32 vcc, v11, v9
	s_and_saveexec_b64 s[2:3], vcc
	s_cbranch_execz .LBB125_218
; %bb.217:
	s_waitcnt lgkmcnt(2)
	v_and_b32_e32 v11, 1, v10
	s_waitcnt lgkmcnt(0)
	v_cmp_lt_i64_e32 vcc, v[4:5], v[2:3]
	v_cmp_eq_u32_e64 s[0:1], 1, v11
	v_and_b32_e32 v6, 1, v7
	s_and_b64 vcc, s[0:1], vcc
	v_cndmask_b32_e64 v7, v7, 1, s[0:1]
	v_cndmask_b32_e32 v2, v2, v4, vcc
	v_cndmask_b32_e32 v3, v3, v5, vcc
	v_cmp_eq_u32_e32 vcc, 1, v6
	v_cndmask_b32_e32 v7, v10, v7, vcc
	v_cndmask_b32_e32 v3, v5, v3, vcc
	v_cndmask_b32_e32 v2, v4, v2, vcc
	v_and_b32_e32 v6, 0xff, v7
.LBB125_218:
	s_or_b64 exec, exec, s[2:3]
	v_cmp_gt_u32_e32 vcc, 60, v8
	s_waitcnt lgkmcnt(1)
	v_cndmask_b32_e64 v4, 0, 1, vcc
	v_lshlrev_b32_e32 v4, 2, v4
	s_waitcnt lgkmcnt(0)
	v_add_lshl_u32 v5, v4, v1, 2
	ds_bpermute_b32 v10, v5, v6
	ds_bpermute_b32 v4, v5, v2
	ds_bpermute_b32 v5, v5, v3
	;; [unrolled: 31-line block ×5, first 2 shown]
	v_add_u32_e32 v8, 32, v8
	v_cmp_lt_u32_e32 vcc, v8, v9
	s_and_saveexec_b64 s[2:3], vcc
	s_cbranch_execz .LBB125_226
; %bb.225:
	s_waitcnt lgkmcnt(2)
	v_and_b32_e32 v8, 1, v10
	s_waitcnt lgkmcnt(0)
	v_cmp_lt_i64_e32 vcc, v[4:5], v[2:3]
	v_cmp_eq_u32_e64 s[0:1], 1, v8
	v_and_b32_e32 v6, 1, v7
	s_and_b64 vcc, s[0:1], vcc
	v_cndmask_b32_e64 v7, v7, 1, s[0:1]
	v_cndmask_b32_e32 v2, v2, v4, vcc
	v_cndmask_b32_e32 v3, v3, v5, vcc
	v_cmp_eq_u32_e32 vcc, 1, v6
	v_cndmask_b32_e32 v7, v10, v7, vcc
	v_cndmask_b32_e32 v3, v5, v3, vcc
	;; [unrolled: 1-line block ×3, first 2 shown]
	v_and_b32_e32 v6, 0xff, v7
.LBB125_226:
	s_or_b64 exec, exec, s[2:3]
	v_cmp_eq_u32_e32 vcc, 0, v1
	s_and_saveexec_b64 s[0:1], vcc
	s_cbranch_execz .LBB125_228
; %bb.227:
	s_waitcnt lgkmcnt(1)
	v_lshrrev_b32_e32 v4, 2, v0
	v_and_b32_e32 v4, 48, v4
	ds_write_b8 v4, v7 offset:256
	ds_write_b64 v4, v[2:3] offset:264
.LBB125_228:
	s_or_b64 exec, exec, s[0:1]
	v_cmp_gt_u32_e32 vcc, 4, v0
	s_waitcnt lgkmcnt(0)
	s_barrier
	s_and_saveexec_b64 s[2:3], vcc
	s_cbranch_execz .LBB125_234
; %bb.229:
	v_lshlrev_b32_e32 v2, 4, v1
	ds_read_u8 v7, v2 offset:256
	ds_read_b64 v[2:3], v2 offset:264
	v_and_b32_e32 v8, 3, v1
	v_cmp_ne_u32_e32 vcc, 3, v8
	v_addc_co_u32_e32 v4, vcc, 0, v1, vcc
	s_waitcnt lgkmcnt(1)
	v_and_b32_e32 v6, 0xff, v7
	v_lshlrev_b32_e32 v5, 2, v4
	ds_bpermute_b32 v9, v5, v6
	s_waitcnt lgkmcnt(1)
	ds_bpermute_b32 v4, v5, v2
	ds_bpermute_b32 v5, v5, v3
	s_add_i32 s8, s8, 63
	s_lshr_b32 s12, s8, 6
	v_add_u32_e32 v10, 1, v8
	v_cmp_gt_u32_e32 vcc, s12, v10
	s_and_saveexec_b64 s[8:9], vcc
	s_cbranch_execz .LBB125_231
; %bb.230:
	s_waitcnt lgkmcnt(2)
	v_and_b32_e32 v10, 1, v9
	s_waitcnt lgkmcnt(0)
	v_cmp_lt_i64_e32 vcc, v[4:5], v[2:3]
	v_cmp_eq_u32_e64 s[0:1], 1, v10
	v_and_b32_e32 v6, 1, v7
	s_and_b64 vcc, s[0:1], vcc
	v_cndmask_b32_e64 v7, v7, 1, s[0:1]
	v_cndmask_b32_e32 v2, v2, v4, vcc
	v_cndmask_b32_e32 v3, v3, v5, vcc
	v_cmp_eq_u32_e32 vcc, 1, v6
	v_cndmask_b32_e32 v7, v9, v7, vcc
	v_cndmask_b32_e32 v3, v5, v3, vcc
	;; [unrolled: 1-line block ×3, first 2 shown]
	v_and_b32_e32 v6, 0xff, v7
.LBB125_231:
	s_or_b64 exec, exec, s[8:9]
	v_cmp_gt_u32_e32 vcc, 2, v8
	s_waitcnt lgkmcnt(1)
	v_cndmask_b32_e64 v4, 0, 1, vcc
	v_lshlrev_b32_e32 v4, 1, v4
	s_waitcnt lgkmcnt(0)
	v_add_lshl_u32 v5, v4, v1, 2
	ds_bpermute_b32 v1, v5, v6
	ds_bpermute_b32 v4, v5, v2
	;; [unrolled: 1-line block ×3, first 2 shown]
	v_add_u32_e32 v8, 2, v8
	v_cmp_gt_u32_e32 vcc, s12, v8
	s_and_saveexec_b64 s[8:9], vcc
	s_cbranch_execz .LBB125_233
; %bb.232:
	s_waitcnt lgkmcnt(2)
	v_and_b32_e32 v8, 1, v1
	s_waitcnt lgkmcnt(0)
	v_cmp_lt_i64_e32 vcc, v[4:5], v[2:3]
	v_cmp_eq_u32_e64 s[0:1], 1, v8
	v_and_b32_e32 v6, 1, v7
	s_and_b64 vcc, s[0:1], vcc
	v_cndmask_b32_e64 v7, v7, 1, s[0:1]
	v_cndmask_b32_e32 v2, v2, v4, vcc
	v_cndmask_b32_e32 v3, v3, v5, vcc
	v_cmp_eq_u32_e32 vcc, 1, v6
	v_cndmask_b32_e32 v1, v1, v7, vcc
	v_cndmask_b32_e32 v3, v5, v3, vcc
	;; [unrolled: 1-line block ×3, first 2 shown]
	v_and_b32_e32 v6, 0xff, v1
.LBB125_233:
	s_or_b64 exec, exec, s[8:9]
.LBB125_234:
	s_or_b64 exec, exec, s[2:3]
.LBB125_235:
	v_cmp_eq_u32_e32 vcc, 0, v0
                                        ; implicit-def: $vgpr4_vgpr5
                                        ; implicit-def: $vgpr1
	s_and_saveexec_b64 s[8:9], vcc
	s_cbranch_execz .LBB125_239
; %bb.236:
	s_cmp_eq_u64 s[22:23], 0
	s_waitcnt lgkmcnt(0)
	v_pk_mov_b32 v[4:5], s[18:19], s[18:19] op_sel:[0,1]
	v_mov_b32_e32 v1, s33
	s_cbranch_scc1 .LBB125_238
; %bb.237:
	v_and_b32_e32 v0, 1, v6
	s_bitcmp1_b32 s33, 0
	v_mov_b32_e32 v1, s33
	v_cmp_eq_u32_e32 vcc, 1, v0
	v_cmp_gt_i64_e64 s[2:3], s[18:19], v[2:3]
	v_cndmask_b32_e64 v0, v1, 1, vcc
	s_cselect_b64 s[0:1], -1, 0
	v_mov_b32_e32 v1, s18
	s_and_b64 vcc, vcc, s[2:3]
	v_cndmask_b32_e32 v4, v1, v2, vcc
	v_mov_b32_e32 v1, s19
	v_cndmask_b32_e32 v5, v1, v3, vcc
	v_cndmask_b32_e64 v1, v6, v0, s[0:1]
	v_cndmask_b32_e64 v5, v3, v5, s[0:1]
	;; [unrolled: 1-line block ×3, first 2 shown]
.LBB125_238:
	s_or_b64 s[10:11], s[10:11], exec
.LBB125_239:
	s_or_b64 exec, exec, s[8:9]
	s_and_saveexec_b64 s[0:1], s[10:11]
	s_cbranch_execnz .LBB125_209
	s_branch .LBB125_210
.LBB125_240:
	v_lshlrev_b32_e32 v10, 3, v25
	global_load_dwordx2 v[26:27], v10, s[16:17]
	global_load_dwordx2 v[28:29], v10, s[30:31]
	v_mov_b32_e32 v11, s38
	v_add_co_u32_e64 v10, s[16:17], s37, v25
	v_addc_co_u32_e64 v11, s[16:17], 0, v11, s[16:17]
	s_waitcnt vmcnt(0)
	v_cmp_ne_u64_e64 s[16:17], v[26:27], v[28:29]
	v_cndmask_b32_e64 v21, 0, 1, s[16:17]
	s_or_b64 exec, exec, s[34:35]
	s_and_saveexec_b64 s[30:31], s[8:9]
	s_cbranch_execz .LBB125_61
.LBB125_241:
	v_and_b32_e32 v26, 1, v18
	v_cmp_lt_i64_e64 s[8:9], v[4:5], v[2:3]
	v_cmp_eq_u32_e64 s[16:17], 1, v26
	v_and_b32_e32 v25, 1, v1
	s_and_b64 s[8:9], s[16:17], s[8:9]
	v_cndmask_b32_e64 v1, v1, 1, s[16:17]
	v_cndmask_b32_e64 v2, v2, v4, s[8:9]
	;; [unrolled: 1-line block ×3, first 2 shown]
	v_cmp_eq_u32_e64 s[8:9], 1, v25
	v_cndmask_b32_e64 v1, v18, v1, s[8:9]
	v_cndmask_b32_e64 v3, v5, v3, s[8:9]
	;; [unrolled: 1-line block ×3, first 2 shown]
	s_or_b64 exec, exec, s[30:31]
	s_and_saveexec_b64 s[16:17], vcc
	s_cbranch_execz .LBB125_62
.LBB125_242:
	v_and_b32_e32 v5, 1, v23
	v_cmp_lt_i64_e32 vcc, v[12:13], v[2:3]
	v_cmp_eq_u32_e64 s[8:9], 1, v5
	v_and_b32_e32 v4, 1, v1
	s_and_b64 vcc, s[8:9], vcc
	v_cndmask_b32_e64 v1, v1, 1, s[8:9]
	v_cndmask_b32_e32 v2, v2, v12, vcc
	v_cndmask_b32_e32 v3, v3, v13, vcc
	v_cmp_eq_u32_e32 vcc, 1, v4
	v_cndmask_b32_e32 v1, v23, v1, vcc
	v_cndmask_b32_e32 v3, v13, v3, vcc
	;; [unrolled: 1-line block ×3, first 2 shown]
	s_or_b64 exec, exec, s[16:17]
	s_and_saveexec_b64 s[16:17], s[10:11]
	s_cbranch_execz .LBB125_63
.LBB125_243:
	v_and_b32_e32 v5, 1, v19
	v_cmp_lt_i64_e32 vcc, v[6:7], v[2:3]
	v_cmp_eq_u32_e64 s[8:9], 1, v5
	v_and_b32_e32 v4, 1, v1
	s_and_b64 vcc, s[8:9], vcc
	v_cndmask_b32_e64 v1, v1, 1, s[8:9]
	v_cndmask_b32_e32 v2, v2, v6, vcc
	v_cndmask_b32_e32 v3, v3, v7, vcc
	v_cmp_eq_u32_e32 vcc, 1, v4
	v_cndmask_b32_e32 v1, v19, v1, vcc
	v_cndmask_b32_e32 v3, v7, v3, vcc
	;; [unrolled: 1-line block ×3, first 2 shown]
	s_or_b64 exec, exec, s[16:17]
	s_and_saveexec_b64 s[8:9], s[0:1]
	s_cbranch_execz .LBB125_64
.LBB125_244:
	v_and_b32_e32 v5, 1, v24
	v_cmp_lt_i64_e32 vcc, v[14:15], v[2:3]
	v_cmp_eq_u32_e64 s[0:1], 1, v5
	v_and_b32_e32 v4, 1, v1
	s_and_b64 vcc, s[0:1], vcc
	v_cndmask_b32_e64 v1, v1, 1, s[0:1]
	v_cndmask_b32_e32 v2, v2, v14, vcc
	v_cndmask_b32_e32 v3, v3, v15, vcc
	v_cmp_eq_u32_e32 vcc, 1, v4
	v_cndmask_b32_e32 v1, v24, v1, vcc
	v_cndmask_b32_e32 v3, v15, v3, vcc
	;; [unrolled: 1-line block ×3, first 2 shown]
	s_or_b64 exec, exec, s[8:9]
	s_and_saveexec_b64 s[8:9], s[12:13]
	s_cbranch_execz .LBB125_65
.LBB125_245:
	v_and_b32_e32 v5, 1, v20
	v_cmp_lt_i64_e32 vcc, v[8:9], v[2:3]
	v_cmp_eq_u32_e64 s[0:1], 1, v5
	v_and_b32_e32 v4, 1, v1
	s_and_b64 vcc, s[0:1], vcc
	v_cndmask_b32_e64 v1, v1, 1, s[0:1]
	v_cndmask_b32_e32 v2, v2, v8, vcc
	v_cndmask_b32_e32 v3, v3, v9, vcc
	v_cmp_eq_u32_e32 vcc, 1, v4
	v_cndmask_b32_e32 v1, v20, v1, vcc
	v_cndmask_b32_e32 v3, v9, v3, vcc
	;; [unrolled: 1-line block ×3, first 2 shown]
	s_or_b64 exec, exec, s[8:9]
	s_and_saveexec_b64 s[8:9], s[2:3]
	s_cbranch_execz .LBB125_66
.LBB125_246:
	v_and_b32_e32 v5, 1, v22
	v_cmp_lt_i64_e32 vcc, v[16:17], v[2:3]
	v_cmp_eq_u32_e64 s[0:1], 1, v5
	v_and_b32_e32 v4, 1, v1
	s_and_b64 vcc, s[0:1], vcc
	v_cndmask_b32_e64 v1, v1, 1, s[0:1]
	v_cndmask_b32_e32 v2, v2, v16, vcc
	v_cndmask_b32_e32 v3, v3, v17, vcc
	v_cmp_eq_u32_e32 vcc, 1, v4
	v_cndmask_b32_e32 v1, v22, v1, vcc
	v_cndmask_b32_e32 v3, v17, v3, vcc
	;; [unrolled: 1-line block ×3, first 2 shown]
	s_or_b64 exec, exec, s[8:9]
	s_and_saveexec_b64 s[2:3], s[14:15]
	s_cbranch_execnz .LBB125_67
	s_branch .LBB125_68
.LBB125_247:
	v_lshlrev_b32_e32 v6, 3, v13
	global_load_dwordx2 v[14:15], v6, s[8:9]
	global_load_dwordx2 v[16:17], v6, s[12:13]
	v_mov_b32_e32 v7, s17
	v_add_co_u32_e64 v6, s[8:9], s16, v13
	v_addc_co_u32_e64 v7, s[8:9], 0, v7, s[8:9]
	s_waitcnt vmcnt(0)
	v_cmp_ne_u64_e64 s[8:9], v[14:15], v[16:17]
	v_cndmask_b32_e64 v11, 0, 1, s[8:9]
	s_or_b64 exec, exec, s[14:15]
	s_and_saveexec_b64 s[12:13], s[0:1]
	s_cbranch_execz .LBB125_104
.LBB125_248:
	v_and_b32_e32 v14, 1, v1
	v_cmp_lt_i64_e64 s[0:1], v[4:5], v[2:3]
	v_cmp_eq_u32_e64 s[8:9], 1, v14
	v_and_b32_e32 v13, 1, v10
	s_and_b64 s[0:1], s[8:9], s[0:1]
	v_cndmask_b32_e64 v10, v10, 1, s[8:9]
	v_cndmask_b32_e64 v2, v2, v4, s[0:1]
	;; [unrolled: 1-line block ×3, first 2 shown]
	v_cmp_eq_u32_e64 s[0:1], 1, v13
	v_cndmask_b32_e64 v10, v1, v10, s[0:1]
	v_cndmask_b32_e64 v3, v5, v3, s[0:1]
	;; [unrolled: 1-line block ×3, first 2 shown]
	s_or_b64 exec, exec, s[12:13]
	s_and_saveexec_b64 s[8:9], vcc
	s_cbranch_execz .LBB125_105
.LBB125_249:
	v_and_b32_e32 v4, 1, v12
	v_cmp_lt_i64_e32 vcc, v[8:9], v[2:3]
	v_cmp_eq_u32_e64 s[0:1], 1, v4
	v_and_b32_e32 v1, 1, v10
	s_and_b64 vcc, s[0:1], vcc
	v_cndmask_b32_e64 v4, v10, 1, s[0:1]
	v_cndmask_b32_e32 v2, v2, v8, vcc
	v_cndmask_b32_e32 v3, v3, v9, vcc
	v_cmp_eq_u32_e32 vcc, 1, v1
	v_cndmask_b32_e32 v10, v12, v4, vcc
	v_cndmask_b32_e32 v3, v9, v3, vcc
	;; [unrolled: 1-line block ×3, first 2 shown]
	s_or_b64 exec, exec, s[8:9]
	s_and_saveexec_b64 s[8:9], s[2:3]
	s_cbranch_execnz .LBB125_106
	s_branch .LBB125_107
	.section	.rodata,"a",@progbits
	.p2align	6, 0x0
	.amdhsa_kernel _ZN7rocprim17ROCPRIM_400000_NS6detail17trampoline_kernelINS0_14default_configENS1_22reduce_config_selectorIN6thrust23THRUST_200600_302600_NS5tupleIblNS6_9null_typeES8_S8_S8_S8_S8_S8_S8_EEEEZNS1_11reduce_implILb1ES3_NS6_12zip_iteratorINS7_INS6_11hip_rocprim26transform_input_iterator_tIbNSD_35transform_pair_of_input_iterators_tIbNS6_6detail15normal_iteratorINS6_10device_ptrIKyEEEESL_NS6_8equal_toIyEEEENSG_9not_fun_tINSD_8identityEEEEENSD_19counting_iterator_tIlEES8_S8_S8_S8_S8_S8_S8_S8_EEEEPS9_S9_NSD_9__find_if7functorIS9_EEEE10hipError_tPvRmT1_T2_T3_mT4_P12ihipStream_tbEUlT_E1_NS1_11comp_targetILNS1_3genE4ELNS1_11target_archE910ELNS1_3gpuE8ELNS1_3repE0EEENS1_30default_config_static_selectorELNS0_4arch9wavefront6targetE1EEEvS14_
		.amdhsa_group_segment_fixed_size 320
		.amdhsa_private_segment_fixed_size 0
		.amdhsa_kernarg_size 88
		.amdhsa_user_sgpr_count 6
		.amdhsa_user_sgpr_private_segment_buffer 1
		.amdhsa_user_sgpr_dispatch_ptr 0
		.amdhsa_user_sgpr_queue_ptr 0
		.amdhsa_user_sgpr_kernarg_segment_ptr 1
		.amdhsa_user_sgpr_dispatch_id 0
		.amdhsa_user_sgpr_flat_scratch_init 0
		.amdhsa_user_sgpr_kernarg_preload_length 0
		.amdhsa_user_sgpr_kernarg_preload_offset 0
		.amdhsa_user_sgpr_private_segment_size 0
		.amdhsa_uses_dynamic_stack 0
		.amdhsa_system_sgpr_private_segment_wavefront_offset 0
		.amdhsa_system_sgpr_workgroup_id_x 1
		.amdhsa_system_sgpr_workgroup_id_y 0
		.amdhsa_system_sgpr_workgroup_id_z 0
		.amdhsa_system_sgpr_workgroup_info 0
		.amdhsa_system_vgpr_workitem_id 0
		.amdhsa_next_free_vgpr 44
		.amdhsa_next_free_sgpr 40
		.amdhsa_accum_offset 44
		.amdhsa_reserve_vcc 1
		.amdhsa_reserve_flat_scratch 0
		.amdhsa_float_round_mode_32 0
		.amdhsa_float_round_mode_16_64 0
		.amdhsa_float_denorm_mode_32 3
		.amdhsa_float_denorm_mode_16_64 3
		.amdhsa_dx10_clamp 1
		.amdhsa_ieee_mode 1
		.amdhsa_fp16_overflow 0
		.amdhsa_tg_split 0
		.amdhsa_exception_fp_ieee_invalid_op 0
		.amdhsa_exception_fp_denorm_src 0
		.amdhsa_exception_fp_ieee_div_zero 0
		.amdhsa_exception_fp_ieee_overflow 0
		.amdhsa_exception_fp_ieee_underflow 0
		.amdhsa_exception_fp_ieee_inexact 0
		.amdhsa_exception_int_div_zero 0
	.end_amdhsa_kernel
	.section	.text._ZN7rocprim17ROCPRIM_400000_NS6detail17trampoline_kernelINS0_14default_configENS1_22reduce_config_selectorIN6thrust23THRUST_200600_302600_NS5tupleIblNS6_9null_typeES8_S8_S8_S8_S8_S8_S8_EEEEZNS1_11reduce_implILb1ES3_NS6_12zip_iteratorINS7_INS6_11hip_rocprim26transform_input_iterator_tIbNSD_35transform_pair_of_input_iterators_tIbNS6_6detail15normal_iteratorINS6_10device_ptrIKyEEEESL_NS6_8equal_toIyEEEENSG_9not_fun_tINSD_8identityEEEEENSD_19counting_iterator_tIlEES8_S8_S8_S8_S8_S8_S8_S8_EEEEPS9_S9_NSD_9__find_if7functorIS9_EEEE10hipError_tPvRmT1_T2_T3_mT4_P12ihipStream_tbEUlT_E1_NS1_11comp_targetILNS1_3genE4ELNS1_11target_archE910ELNS1_3gpuE8ELNS1_3repE0EEENS1_30default_config_static_selectorELNS0_4arch9wavefront6targetE1EEEvS14_,"axG",@progbits,_ZN7rocprim17ROCPRIM_400000_NS6detail17trampoline_kernelINS0_14default_configENS1_22reduce_config_selectorIN6thrust23THRUST_200600_302600_NS5tupleIblNS6_9null_typeES8_S8_S8_S8_S8_S8_S8_EEEEZNS1_11reduce_implILb1ES3_NS6_12zip_iteratorINS7_INS6_11hip_rocprim26transform_input_iterator_tIbNSD_35transform_pair_of_input_iterators_tIbNS6_6detail15normal_iteratorINS6_10device_ptrIKyEEEESL_NS6_8equal_toIyEEEENSG_9not_fun_tINSD_8identityEEEEENSD_19counting_iterator_tIlEES8_S8_S8_S8_S8_S8_S8_S8_EEEEPS9_S9_NSD_9__find_if7functorIS9_EEEE10hipError_tPvRmT1_T2_T3_mT4_P12ihipStream_tbEUlT_E1_NS1_11comp_targetILNS1_3genE4ELNS1_11target_archE910ELNS1_3gpuE8ELNS1_3repE0EEENS1_30default_config_static_selectorELNS0_4arch9wavefront6targetE1EEEvS14_,comdat
.Lfunc_end125:
	.size	_ZN7rocprim17ROCPRIM_400000_NS6detail17trampoline_kernelINS0_14default_configENS1_22reduce_config_selectorIN6thrust23THRUST_200600_302600_NS5tupleIblNS6_9null_typeES8_S8_S8_S8_S8_S8_S8_EEEEZNS1_11reduce_implILb1ES3_NS6_12zip_iteratorINS7_INS6_11hip_rocprim26transform_input_iterator_tIbNSD_35transform_pair_of_input_iterators_tIbNS6_6detail15normal_iteratorINS6_10device_ptrIKyEEEESL_NS6_8equal_toIyEEEENSG_9not_fun_tINSD_8identityEEEEENSD_19counting_iterator_tIlEES8_S8_S8_S8_S8_S8_S8_S8_EEEEPS9_S9_NSD_9__find_if7functorIS9_EEEE10hipError_tPvRmT1_T2_T3_mT4_P12ihipStream_tbEUlT_E1_NS1_11comp_targetILNS1_3genE4ELNS1_11target_archE910ELNS1_3gpuE8ELNS1_3repE0EEENS1_30default_config_static_selectorELNS0_4arch9wavefront6targetE1EEEvS14_, .Lfunc_end125-_ZN7rocprim17ROCPRIM_400000_NS6detail17trampoline_kernelINS0_14default_configENS1_22reduce_config_selectorIN6thrust23THRUST_200600_302600_NS5tupleIblNS6_9null_typeES8_S8_S8_S8_S8_S8_S8_EEEEZNS1_11reduce_implILb1ES3_NS6_12zip_iteratorINS7_INS6_11hip_rocprim26transform_input_iterator_tIbNSD_35transform_pair_of_input_iterators_tIbNS6_6detail15normal_iteratorINS6_10device_ptrIKyEEEESL_NS6_8equal_toIyEEEENSG_9not_fun_tINSD_8identityEEEEENSD_19counting_iterator_tIlEES8_S8_S8_S8_S8_S8_S8_S8_EEEEPS9_S9_NSD_9__find_if7functorIS9_EEEE10hipError_tPvRmT1_T2_T3_mT4_P12ihipStream_tbEUlT_E1_NS1_11comp_targetILNS1_3genE4ELNS1_11target_archE910ELNS1_3gpuE8ELNS1_3repE0EEENS1_30default_config_static_selectorELNS0_4arch9wavefront6targetE1EEEvS14_
                                        ; -- End function
	.section	.AMDGPU.csdata,"",@progbits
; Kernel info:
; codeLenInByte = 13212
; NumSgprs: 44
; NumVgprs: 44
; NumAgprs: 0
; TotalNumVgprs: 44
; ScratchSize: 0
; MemoryBound: 0
; FloatMode: 240
; IeeeMode: 1
; LDSByteSize: 320 bytes/workgroup (compile time only)
; SGPRBlocks: 5
; VGPRBlocks: 5
; NumSGPRsForWavesPerEU: 44
; NumVGPRsForWavesPerEU: 44
; AccumOffset: 44
; Occupancy: 8
; WaveLimiterHint : 0
; COMPUTE_PGM_RSRC2:SCRATCH_EN: 0
; COMPUTE_PGM_RSRC2:USER_SGPR: 6
; COMPUTE_PGM_RSRC2:TRAP_HANDLER: 0
; COMPUTE_PGM_RSRC2:TGID_X_EN: 1
; COMPUTE_PGM_RSRC2:TGID_Y_EN: 0
; COMPUTE_PGM_RSRC2:TGID_Z_EN: 0
; COMPUTE_PGM_RSRC2:TIDIG_COMP_CNT: 0
; COMPUTE_PGM_RSRC3_GFX90A:ACCUM_OFFSET: 10
; COMPUTE_PGM_RSRC3_GFX90A:TG_SPLIT: 0
	.section	.text._ZN7rocprim17ROCPRIM_400000_NS6detail17trampoline_kernelINS0_14default_configENS1_22reduce_config_selectorIN6thrust23THRUST_200600_302600_NS5tupleIblNS6_9null_typeES8_S8_S8_S8_S8_S8_S8_EEEEZNS1_11reduce_implILb1ES3_NS6_12zip_iteratorINS7_INS6_11hip_rocprim26transform_input_iterator_tIbNSD_35transform_pair_of_input_iterators_tIbNS6_6detail15normal_iteratorINS6_10device_ptrIKyEEEESL_NS6_8equal_toIyEEEENSG_9not_fun_tINSD_8identityEEEEENSD_19counting_iterator_tIlEES8_S8_S8_S8_S8_S8_S8_S8_EEEEPS9_S9_NSD_9__find_if7functorIS9_EEEE10hipError_tPvRmT1_T2_T3_mT4_P12ihipStream_tbEUlT_E1_NS1_11comp_targetILNS1_3genE3ELNS1_11target_archE908ELNS1_3gpuE7ELNS1_3repE0EEENS1_30default_config_static_selectorELNS0_4arch9wavefront6targetE1EEEvS14_,"axG",@progbits,_ZN7rocprim17ROCPRIM_400000_NS6detail17trampoline_kernelINS0_14default_configENS1_22reduce_config_selectorIN6thrust23THRUST_200600_302600_NS5tupleIblNS6_9null_typeES8_S8_S8_S8_S8_S8_S8_EEEEZNS1_11reduce_implILb1ES3_NS6_12zip_iteratorINS7_INS6_11hip_rocprim26transform_input_iterator_tIbNSD_35transform_pair_of_input_iterators_tIbNS6_6detail15normal_iteratorINS6_10device_ptrIKyEEEESL_NS6_8equal_toIyEEEENSG_9not_fun_tINSD_8identityEEEEENSD_19counting_iterator_tIlEES8_S8_S8_S8_S8_S8_S8_S8_EEEEPS9_S9_NSD_9__find_if7functorIS9_EEEE10hipError_tPvRmT1_T2_T3_mT4_P12ihipStream_tbEUlT_E1_NS1_11comp_targetILNS1_3genE3ELNS1_11target_archE908ELNS1_3gpuE7ELNS1_3repE0EEENS1_30default_config_static_selectorELNS0_4arch9wavefront6targetE1EEEvS14_,comdat
	.protected	_ZN7rocprim17ROCPRIM_400000_NS6detail17trampoline_kernelINS0_14default_configENS1_22reduce_config_selectorIN6thrust23THRUST_200600_302600_NS5tupleIblNS6_9null_typeES8_S8_S8_S8_S8_S8_S8_EEEEZNS1_11reduce_implILb1ES3_NS6_12zip_iteratorINS7_INS6_11hip_rocprim26transform_input_iterator_tIbNSD_35transform_pair_of_input_iterators_tIbNS6_6detail15normal_iteratorINS6_10device_ptrIKyEEEESL_NS6_8equal_toIyEEEENSG_9not_fun_tINSD_8identityEEEEENSD_19counting_iterator_tIlEES8_S8_S8_S8_S8_S8_S8_S8_EEEEPS9_S9_NSD_9__find_if7functorIS9_EEEE10hipError_tPvRmT1_T2_T3_mT4_P12ihipStream_tbEUlT_E1_NS1_11comp_targetILNS1_3genE3ELNS1_11target_archE908ELNS1_3gpuE7ELNS1_3repE0EEENS1_30default_config_static_selectorELNS0_4arch9wavefront6targetE1EEEvS14_ ; -- Begin function _ZN7rocprim17ROCPRIM_400000_NS6detail17trampoline_kernelINS0_14default_configENS1_22reduce_config_selectorIN6thrust23THRUST_200600_302600_NS5tupleIblNS6_9null_typeES8_S8_S8_S8_S8_S8_S8_EEEEZNS1_11reduce_implILb1ES3_NS6_12zip_iteratorINS7_INS6_11hip_rocprim26transform_input_iterator_tIbNSD_35transform_pair_of_input_iterators_tIbNS6_6detail15normal_iteratorINS6_10device_ptrIKyEEEESL_NS6_8equal_toIyEEEENSG_9not_fun_tINSD_8identityEEEEENSD_19counting_iterator_tIlEES8_S8_S8_S8_S8_S8_S8_S8_EEEEPS9_S9_NSD_9__find_if7functorIS9_EEEE10hipError_tPvRmT1_T2_T3_mT4_P12ihipStream_tbEUlT_E1_NS1_11comp_targetILNS1_3genE3ELNS1_11target_archE908ELNS1_3gpuE7ELNS1_3repE0EEENS1_30default_config_static_selectorELNS0_4arch9wavefront6targetE1EEEvS14_
	.globl	_ZN7rocprim17ROCPRIM_400000_NS6detail17trampoline_kernelINS0_14default_configENS1_22reduce_config_selectorIN6thrust23THRUST_200600_302600_NS5tupleIblNS6_9null_typeES8_S8_S8_S8_S8_S8_S8_EEEEZNS1_11reduce_implILb1ES3_NS6_12zip_iteratorINS7_INS6_11hip_rocprim26transform_input_iterator_tIbNSD_35transform_pair_of_input_iterators_tIbNS6_6detail15normal_iteratorINS6_10device_ptrIKyEEEESL_NS6_8equal_toIyEEEENSG_9not_fun_tINSD_8identityEEEEENSD_19counting_iterator_tIlEES8_S8_S8_S8_S8_S8_S8_S8_EEEEPS9_S9_NSD_9__find_if7functorIS9_EEEE10hipError_tPvRmT1_T2_T3_mT4_P12ihipStream_tbEUlT_E1_NS1_11comp_targetILNS1_3genE3ELNS1_11target_archE908ELNS1_3gpuE7ELNS1_3repE0EEENS1_30default_config_static_selectorELNS0_4arch9wavefront6targetE1EEEvS14_
	.p2align	8
	.type	_ZN7rocprim17ROCPRIM_400000_NS6detail17trampoline_kernelINS0_14default_configENS1_22reduce_config_selectorIN6thrust23THRUST_200600_302600_NS5tupleIblNS6_9null_typeES8_S8_S8_S8_S8_S8_S8_EEEEZNS1_11reduce_implILb1ES3_NS6_12zip_iteratorINS7_INS6_11hip_rocprim26transform_input_iterator_tIbNSD_35transform_pair_of_input_iterators_tIbNS6_6detail15normal_iteratorINS6_10device_ptrIKyEEEESL_NS6_8equal_toIyEEEENSG_9not_fun_tINSD_8identityEEEEENSD_19counting_iterator_tIlEES8_S8_S8_S8_S8_S8_S8_S8_EEEEPS9_S9_NSD_9__find_if7functorIS9_EEEE10hipError_tPvRmT1_T2_T3_mT4_P12ihipStream_tbEUlT_E1_NS1_11comp_targetILNS1_3genE3ELNS1_11target_archE908ELNS1_3gpuE7ELNS1_3repE0EEENS1_30default_config_static_selectorELNS0_4arch9wavefront6targetE1EEEvS14_,@function
_ZN7rocprim17ROCPRIM_400000_NS6detail17trampoline_kernelINS0_14default_configENS1_22reduce_config_selectorIN6thrust23THRUST_200600_302600_NS5tupleIblNS6_9null_typeES8_S8_S8_S8_S8_S8_S8_EEEEZNS1_11reduce_implILb1ES3_NS6_12zip_iteratorINS7_INS6_11hip_rocprim26transform_input_iterator_tIbNSD_35transform_pair_of_input_iterators_tIbNS6_6detail15normal_iteratorINS6_10device_ptrIKyEEEESL_NS6_8equal_toIyEEEENSG_9not_fun_tINSD_8identityEEEEENSD_19counting_iterator_tIlEES8_S8_S8_S8_S8_S8_S8_S8_EEEEPS9_S9_NSD_9__find_if7functorIS9_EEEE10hipError_tPvRmT1_T2_T3_mT4_P12ihipStream_tbEUlT_E1_NS1_11comp_targetILNS1_3genE3ELNS1_11target_archE908ELNS1_3gpuE7ELNS1_3repE0EEENS1_30default_config_static_selectorELNS0_4arch9wavefront6targetE1EEEvS14_: ; @_ZN7rocprim17ROCPRIM_400000_NS6detail17trampoline_kernelINS0_14default_configENS1_22reduce_config_selectorIN6thrust23THRUST_200600_302600_NS5tupleIblNS6_9null_typeES8_S8_S8_S8_S8_S8_S8_EEEEZNS1_11reduce_implILb1ES3_NS6_12zip_iteratorINS7_INS6_11hip_rocprim26transform_input_iterator_tIbNSD_35transform_pair_of_input_iterators_tIbNS6_6detail15normal_iteratorINS6_10device_ptrIKyEEEESL_NS6_8equal_toIyEEEENSG_9not_fun_tINSD_8identityEEEEENSD_19counting_iterator_tIlEES8_S8_S8_S8_S8_S8_S8_S8_EEEEPS9_S9_NSD_9__find_if7functorIS9_EEEE10hipError_tPvRmT1_T2_T3_mT4_P12ihipStream_tbEUlT_E1_NS1_11comp_targetILNS1_3genE3ELNS1_11target_archE908ELNS1_3gpuE7ELNS1_3repE0EEENS1_30default_config_static_selectorELNS0_4arch9wavefront6targetE1EEEvS14_
; %bb.0:
	.section	.rodata,"a",@progbits
	.p2align	6, 0x0
	.amdhsa_kernel _ZN7rocprim17ROCPRIM_400000_NS6detail17trampoline_kernelINS0_14default_configENS1_22reduce_config_selectorIN6thrust23THRUST_200600_302600_NS5tupleIblNS6_9null_typeES8_S8_S8_S8_S8_S8_S8_EEEEZNS1_11reduce_implILb1ES3_NS6_12zip_iteratorINS7_INS6_11hip_rocprim26transform_input_iterator_tIbNSD_35transform_pair_of_input_iterators_tIbNS6_6detail15normal_iteratorINS6_10device_ptrIKyEEEESL_NS6_8equal_toIyEEEENSG_9not_fun_tINSD_8identityEEEEENSD_19counting_iterator_tIlEES8_S8_S8_S8_S8_S8_S8_S8_EEEEPS9_S9_NSD_9__find_if7functorIS9_EEEE10hipError_tPvRmT1_T2_T3_mT4_P12ihipStream_tbEUlT_E1_NS1_11comp_targetILNS1_3genE3ELNS1_11target_archE908ELNS1_3gpuE7ELNS1_3repE0EEENS1_30default_config_static_selectorELNS0_4arch9wavefront6targetE1EEEvS14_
		.amdhsa_group_segment_fixed_size 0
		.amdhsa_private_segment_fixed_size 0
		.amdhsa_kernarg_size 88
		.amdhsa_user_sgpr_count 6
		.amdhsa_user_sgpr_private_segment_buffer 1
		.amdhsa_user_sgpr_dispatch_ptr 0
		.amdhsa_user_sgpr_queue_ptr 0
		.amdhsa_user_sgpr_kernarg_segment_ptr 1
		.amdhsa_user_sgpr_dispatch_id 0
		.amdhsa_user_sgpr_flat_scratch_init 0
		.amdhsa_user_sgpr_kernarg_preload_length 0
		.amdhsa_user_sgpr_kernarg_preload_offset 0
		.amdhsa_user_sgpr_private_segment_size 0
		.amdhsa_uses_dynamic_stack 0
		.amdhsa_system_sgpr_private_segment_wavefront_offset 0
		.amdhsa_system_sgpr_workgroup_id_x 1
		.amdhsa_system_sgpr_workgroup_id_y 0
		.amdhsa_system_sgpr_workgroup_id_z 0
		.amdhsa_system_sgpr_workgroup_info 0
		.amdhsa_system_vgpr_workitem_id 0
		.amdhsa_next_free_vgpr 1
		.amdhsa_next_free_sgpr 0
		.amdhsa_accum_offset 4
		.amdhsa_reserve_vcc 0
		.amdhsa_reserve_flat_scratch 0
		.amdhsa_float_round_mode_32 0
		.amdhsa_float_round_mode_16_64 0
		.amdhsa_float_denorm_mode_32 3
		.amdhsa_float_denorm_mode_16_64 3
		.amdhsa_dx10_clamp 1
		.amdhsa_ieee_mode 1
		.amdhsa_fp16_overflow 0
		.amdhsa_tg_split 0
		.amdhsa_exception_fp_ieee_invalid_op 0
		.amdhsa_exception_fp_denorm_src 0
		.amdhsa_exception_fp_ieee_div_zero 0
		.amdhsa_exception_fp_ieee_overflow 0
		.amdhsa_exception_fp_ieee_underflow 0
		.amdhsa_exception_fp_ieee_inexact 0
		.amdhsa_exception_int_div_zero 0
	.end_amdhsa_kernel
	.section	.text._ZN7rocprim17ROCPRIM_400000_NS6detail17trampoline_kernelINS0_14default_configENS1_22reduce_config_selectorIN6thrust23THRUST_200600_302600_NS5tupleIblNS6_9null_typeES8_S8_S8_S8_S8_S8_S8_EEEEZNS1_11reduce_implILb1ES3_NS6_12zip_iteratorINS7_INS6_11hip_rocprim26transform_input_iterator_tIbNSD_35transform_pair_of_input_iterators_tIbNS6_6detail15normal_iteratorINS6_10device_ptrIKyEEEESL_NS6_8equal_toIyEEEENSG_9not_fun_tINSD_8identityEEEEENSD_19counting_iterator_tIlEES8_S8_S8_S8_S8_S8_S8_S8_EEEEPS9_S9_NSD_9__find_if7functorIS9_EEEE10hipError_tPvRmT1_T2_T3_mT4_P12ihipStream_tbEUlT_E1_NS1_11comp_targetILNS1_3genE3ELNS1_11target_archE908ELNS1_3gpuE7ELNS1_3repE0EEENS1_30default_config_static_selectorELNS0_4arch9wavefront6targetE1EEEvS14_,"axG",@progbits,_ZN7rocprim17ROCPRIM_400000_NS6detail17trampoline_kernelINS0_14default_configENS1_22reduce_config_selectorIN6thrust23THRUST_200600_302600_NS5tupleIblNS6_9null_typeES8_S8_S8_S8_S8_S8_S8_EEEEZNS1_11reduce_implILb1ES3_NS6_12zip_iteratorINS7_INS6_11hip_rocprim26transform_input_iterator_tIbNSD_35transform_pair_of_input_iterators_tIbNS6_6detail15normal_iteratorINS6_10device_ptrIKyEEEESL_NS6_8equal_toIyEEEENSG_9not_fun_tINSD_8identityEEEEENSD_19counting_iterator_tIlEES8_S8_S8_S8_S8_S8_S8_S8_EEEEPS9_S9_NSD_9__find_if7functorIS9_EEEE10hipError_tPvRmT1_T2_T3_mT4_P12ihipStream_tbEUlT_E1_NS1_11comp_targetILNS1_3genE3ELNS1_11target_archE908ELNS1_3gpuE7ELNS1_3repE0EEENS1_30default_config_static_selectorELNS0_4arch9wavefront6targetE1EEEvS14_,comdat
.Lfunc_end126:
	.size	_ZN7rocprim17ROCPRIM_400000_NS6detail17trampoline_kernelINS0_14default_configENS1_22reduce_config_selectorIN6thrust23THRUST_200600_302600_NS5tupleIblNS6_9null_typeES8_S8_S8_S8_S8_S8_S8_EEEEZNS1_11reduce_implILb1ES3_NS6_12zip_iteratorINS7_INS6_11hip_rocprim26transform_input_iterator_tIbNSD_35transform_pair_of_input_iterators_tIbNS6_6detail15normal_iteratorINS6_10device_ptrIKyEEEESL_NS6_8equal_toIyEEEENSG_9not_fun_tINSD_8identityEEEEENSD_19counting_iterator_tIlEES8_S8_S8_S8_S8_S8_S8_S8_EEEEPS9_S9_NSD_9__find_if7functorIS9_EEEE10hipError_tPvRmT1_T2_T3_mT4_P12ihipStream_tbEUlT_E1_NS1_11comp_targetILNS1_3genE3ELNS1_11target_archE908ELNS1_3gpuE7ELNS1_3repE0EEENS1_30default_config_static_selectorELNS0_4arch9wavefront6targetE1EEEvS14_, .Lfunc_end126-_ZN7rocprim17ROCPRIM_400000_NS6detail17trampoline_kernelINS0_14default_configENS1_22reduce_config_selectorIN6thrust23THRUST_200600_302600_NS5tupleIblNS6_9null_typeES8_S8_S8_S8_S8_S8_S8_EEEEZNS1_11reduce_implILb1ES3_NS6_12zip_iteratorINS7_INS6_11hip_rocprim26transform_input_iterator_tIbNSD_35transform_pair_of_input_iterators_tIbNS6_6detail15normal_iteratorINS6_10device_ptrIKyEEEESL_NS6_8equal_toIyEEEENSG_9not_fun_tINSD_8identityEEEEENSD_19counting_iterator_tIlEES8_S8_S8_S8_S8_S8_S8_S8_EEEEPS9_S9_NSD_9__find_if7functorIS9_EEEE10hipError_tPvRmT1_T2_T3_mT4_P12ihipStream_tbEUlT_E1_NS1_11comp_targetILNS1_3genE3ELNS1_11target_archE908ELNS1_3gpuE7ELNS1_3repE0EEENS1_30default_config_static_selectorELNS0_4arch9wavefront6targetE1EEEvS14_
                                        ; -- End function
	.section	.AMDGPU.csdata,"",@progbits
; Kernel info:
; codeLenInByte = 0
; NumSgprs: 4
; NumVgprs: 0
; NumAgprs: 0
; TotalNumVgprs: 0
; ScratchSize: 0
; MemoryBound: 0
; FloatMode: 240
; IeeeMode: 1
; LDSByteSize: 0 bytes/workgroup (compile time only)
; SGPRBlocks: 0
; VGPRBlocks: 0
; NumSGPRsForWavesPerEU: 4
; NumVGPRsForWavesPerEU: 1
; AccumOffset: 4
; Occupancy: 8
; WaveLimiterHint : 0
; COMPUTE_PGM_RSRC2:SCRATCH_EN: 0
; COMPUTE_PGM_RSRC2:USER_SGPR: 6
; COMPUTE_PGM_RSRC2:TRAP_HANDLER: 0
; COMPUTE_PGM_RSRC2:TGID_X_EN: 1
; COMPUTE_PGM_RSRC2:TGID_Y_EN: 0
; COMPUTE_PGM_RSRC2:TGID_Z_EN: 0
; COMPUTE_PGM_RSRC2:TIDIG_COMP_CNT: 0
; COMPUTE_PGM_RSRC3_GFX90A:ACCUM_OFFSET: 0
; COMPUTE_PGM_RSRC3_GFX90A:TG_SPLIT: 0
	.section	.text._ZN7rocprim17ROCPRIM_400000_NS6detail17trampoline_kernelINS0_14default_configENS1_22reduce_config_selectorIN6thrust23THRUST_200600_302600_NS5tupleIblNS6_9null_typeES8_S8_S8_S8_S8_S8_S8_EEEEZNS1_11reduce_implILb1ES3_NS6_12zip_iteratorINS7_INS6_11hip_rocprim26transform_input_iterator_tIbNSD_35transform_pair_of_input_iterators_tIbNS6_6detail15normal_iteratorINS6_10device_ptrIKyEEEESL_NS6_8equal_toIyEEEENSG_9not_fun_tINSD_8identityEEEEENSD_19counting_iterator_tIlEES8_S8_S8_S8_S8_S8_S8_S8_EEEEPS9_S9_NSD_9__find_if7functorIS9_EEEE10hipError_tPvRmT1_T2_T3_mT4_P12ihipStream_tbEUlT_E1_NS1_11comp_targetILNS1_3genE2ELNS1_11target_archE906ELNS1_3gpuE6ELNS1_3repE0EEENS1_30default_config_static_selectorELNS0_4arch9wavefront6targetE1EEEvS14_,"axG",@progbits,_ZN7rocprim17ROCPRIM_400000_NS6detail17trampoline_kernelINS0_14default_configENS1_22reduce_config_selectorIN6thrust23THRUST_200600_302600_NS5tupleIblNS6_9null_typeES8_S8_S8_S8_S8_S8_S8_EEEEZNS1_11reduce_implILb1ES3_NS6_12zip_iteratorINS7_INS6_11hip_rocprim26transform_input_iterator_tIbNSD_35transform_pair_of_input_iterators_tIbNS6_6detail15normal_iteratorINS6_10device_ptrIKyEEEESL_NS6_8equal_toIyEEEENSG_9not_fun_tINSD_8identityEEEEENSD_19counting_iterator_tIlEES8_S8_S8_S8_S8_S8_S8_S8_EEEEPS9_S9_NSD_9__find_if7functorIS9_EEEE10hipError_tPvRmT1_T2_T3_mT4_P12ihipStream_tbEUlT_E1_NS1_11comp_targetILNS1_3genE2ELNS1_11target_archE906ELNS1_3gpuE6ELNS1_3repE0EEENS1_30default_config_static_selectorELNS0_4arch9wavefront6targetE1EEEvS14_,comdat
	.protected	_ZN7rocprim17ROCPRIM_400000_NS6detail17trampoline_kernelINS0_14default_configENS1_22reduce_config_selectorIN6thrust23THRUST_200600_302600_NS5tupleIblNS6_9null_typeES8_S8_S8_S8_S8_S8_S8_EEEEZNS1_11reduce_implILb1ES3_NS6_12zip_iteratorINS7_INS6_11hip_rocprim26transform_input_iterator_tIbNSD_35transform_pair_of_input_iterators_tIbNS6_6detail15normal_iteratorINS6_10device_ptrIKyEEEESL_NS6_8equal_toIyEEEENSG_9not_fun_tINSD_8identityEEEEENSD_19counting_iterator_tIlEES8_S8_S8_S8_S8_S8_S8_S8_EEEEPS9_S9_NSD_9__find_if7functorIS9_EEEE10hipError_tPvRmT1_T2_T3_mT4_P12ihipStream_tbEUlT_E1_NS1_11comp_targetILNS1_3genE2ELNS1_11target_archE906ELNS1_3gpuE6ELNS1_3repE0EEENS1_30default_config_static_selectorELNS0_4arch9wavefront6targetE1EEEvS14_ ; -- Begin function _ZN7rocprim17ROCPRIM_400000_NS6detail17trampoline_kernelINS0_14default_configENS1_22reduce_config_selectorIN6thrust23THRUST_200600_302600_NS5tupleIblNS6_9null_typeES8_S8_S8_S8_S8_S8_S8_EEEEZNS1_11reduce_implILb1ES3_NS6_12zip_iteratorINS7_INS6_11hip_rocprim26transform_input_iterator_tIbNSD_35transform_pair_of_input_iterators_tIbNS6_6detail15normal_iteratorINS6_10device_ptrIKyEEEESL_NS6_8equal_toIyEEEENSG_9not_fun_tINSD_8identityEEEEENSD_19counting_iterator_tIlEES8_S8_S8_S8_S8_S8_S8_S8_EEEEPS9_S9_NSD_9__find_if7functorIS9_EEEE10hipError_tPvRmT1_T2_T3_mT4_P12ihipStream_tbEUlT_E1_NS1_11comp_targetILNS1_3genE2ELNS1_11target_archE906ELNS1_3gpuE6ELNS1_3repE0EEENS1_30default_config_static_selectorELNS0_4arch9wavefront6targetE1EEEvS14_
	.globl	_ZN7rocprim17ROCPRIM_400000_NS6detail17trampoline_kernelINS0_14default_configENS1_22reduce_config_selectorIN6thrust23THRUST_200600_302600_NS5tupleIblNS6_9null_typeES8_S8_S8_S8_S8_S8_S8_EEEEZNS1_11reduce_implILb1ES3_NS6_12zip_iteratorINS7_INS6_11hip_rocprim26transform_input_iterator_tIbNSD_35transform_pair_of_input_iterators_tIbNS6_6detail15normal_iteratorINS6_10device_ptrIKyEEEESL_NS6_8equal_toIyEEEENSG_9not_fun_tINSD_8identityEEEEENSD_19counting_iterator_tIlEES8_S8_S8_S8_S8_S8_S8_S8_EEEEPS9_S9_NSD_9__find_if7functorIS9_EEEE10hipError_tPvRmT1_T2_T3_mT4_P12ihipStream_tbEUlT_E1_NS1_11comp_targetILNS1_3genE2ELNS1_11target_archE906ELNS1_3gpuE6ELNS1_3repE0EEENS1_30default_config_static_selectorELNS0_4arch9wavefront6targetE1EEEvS14_
	.p2align	8
	.type	_ZN7rocprim17ROCPRIM_400000_NS6detail17trampoline_kernelINS0_14default_configENS1_22reduce_config_selectorIN6thrust23THRUST_200600_302600_NS5tupleIblNS6_9null_typeES8_S8_S8_S8_S8_S8_S8_EEEEZNS1_11reduce_implILb1ES3_NS6_12zip_iteratorINS7_INS6_11hip_rocprim26transform_input_iterator_tIbNSD_35transform_pair_of_input_iterators_tIbNS6_6detail15normal_iteratorINS6_10device_ptrIKyEEEESL_NS6_8equal_toIyEEEENSG_9not_fun_tINSD_8identityEEEEENSD_19counting_iterator_tIlEES8_S8_S8_S8_S8_S8_S8_S8_EEEEPS9_S9_NSD_9__find_if7functorIS9_EEEE10hipError_tPvRmT1_T2_T3_mT4_P12ihipStream_tbEUlT_E1_NS1_11comp_targetILNS1_3genE2ELNS1_11target_archE906ELNS1_3gpuE6ELNS1_3repE0EEENS1_30default_config_static_selectorELNS0_4arch9wavefront6targetE1EEEvS14_,@function
_ZN7rocprim17ROCPRIM_400000_NS6detail17trampoline_kernelINS0_14default_configENS1_22reduce_config_selectorIN6thrust23THRUST_200600_302600_NS5tupleIblNS6_9null_typeES8_S8_S8_S8_S8_S8_S8_EEEEZNS1_11reduce_implILb1ES3_NS6_12zip_iteratorINS7_INS6_11hip_rocprim26transform_input_iterator_tIbNSD_35transform_pair_of_input_iterators_tIbNS6_6detail15normal_iteratorINS6_10device_ptrIKyEEEESL_NS6_8equal_toIyEEEENSG_9not_fun_tINSD_8identityEEEEENSD_19counting_iterator_tIlEES8_S8_S8_S8_S8_S8_S8_S8_EEEEPS9_S9_NSD_9__find_if7functorIS9_EEEE10hipError_tPvRmT1_T2_T3_mT4_P12ihipStream_tbEUlT_E1_NS1_11comp_targetILNS1_3genE2ELNS1_11target_archE906ELNS1_3gpuE6ELNS1_3repE0EEENS1_30default_config_static_selectorELNS0_4arch9wavefront6targetE1EEEvS14_: ; @_ZN7rocprim17ROCPRIM_400000_NS6detail17trampoline_kernelINS0_14default_configENS1_22reduce_config_selectorIN6thrust23THRUST_200600_302600_NS5tupleIblNS6_9null_typeES8_S8_S8_S8_S8_S8_S8_EEEEZNS1_11reduce_implILb1ES3_NS6_12zip_iteratorINS7_INS6_11hip_rocprim26transform_input_iterator_tIbNSD_35transform_pair_of_input_iterators_tIbNS6_6detail15normal_iteratorINS6_10device_ptrIKyEEEESL_NS6_8equal_toIyEEEENSG_9not_fun_tINSD_8identityEEEEENSD_19counting_iterator_tIlEES8_S8_S8_S8_S8_S8_S8_S8_EEEEPS9_S9_NSD_9__find_if7functorIS9_EEEE10hipError_tPvRmT1_T2_T3_mT4_P12ihipStream_tbEUlT_E1_NS1_11comp_targetILNS1_3genE2ELNS1_11target_archE906ELNS1_3gpuE6ELNS1_3repE0EEENS1_30default_config_static_selectorELNS0_4arch9wavefront6targetE1EEEvS14_
; %bb.0:
	.section	.rodata,"a",@progbits
	.p2align	6, 0x0
	.amdhsa_kernel _ZN7rocprim17ROCPRIM_400000_NS6detail17trampoline_kernelINS0_14default_configENS1_22reduce_config_selectorIN6thrust23THRUST_200600_302600_NS5tupleIblNS6_9null_typeES8_S8_S8_S8_S8_S8_S8_EEEEZNS1_11reduce_implILb1ES3_NS6_12zip_iteratorINS7_INS6_11hip_rocprim26transform_input_iterator_tIbNSD_35transform_pair_of_input_iterators_tIbNS6_6detail15normal_iteratorINS6_10device_ptrIKyEEEESL_NS6_8equal_toIyEEEENSG_9not_fun_tINSD_8identityEEEEENSD_19counting_iterator_tIlEES8_S8_S8_S8_S8_S8_S8_S8_EEEEPS9_S9_NSD_9__find_if7functorIS9_EEEE10hipError_tPvRmT1_T2_T3_mT4_P12ihipStream_tbEUlT_E1_NS1_11comp_targetILNS1_3genE2ELNS1_11target_archE906ELNS1_3gpuE6ELNS1_3repE0EEENS1_30default_config_static_selectorELNS0_4arch9wavefront6targetE1EEEvS14_
		.amdhsa_group_segment_fixed_size 0
		.amdhsa_private_segment_fixed_size 0
		.amdhsa_kernarg_size 88
		.amdhsa_user_sgpr_count 6
		.amdhsa_user_sgpr_private_segment_buffer 1
		.amdhsa_user_sgpr_dispatch_ptr 0
		.amdhsa_user_sgpr_queue_ptr 0
		.amdhsa_user_sgpr_kernarg_segment_ptr 1
		.amdhsa_user_sgpr_dispatch_id 0
		.amdhsa_user_sgpr_flat_scratch_init 0
		.amdhsa_user_sgpr_kernarg_preload_length 0
		.amdhsa_user_sgpr_kernarg_preload_offset 0
		.amdhsa_user_sgpr_private_segment_size 0
		.amdhsa_uses_dynamic_stack 0
		.amdhsa_system_sgpr_private_segment_wavefront_offset 0
		.amdhsa_system_sgpr_workgroup_id_x 1
		.amdhsa_system_sgpr_workgroup_id_y 0
		.amdhsa_system_sgpr_workgroup_id_z 0
		.amdhsa_system_sgpr_workgroup_info 0
		.amdhsa_system_vgpr_workitem_id 0
		.amdhsa_next_free_vgpr 1
		.amdhsa_next_free_sgpr 0
		.amdhsa_accum_offset 4
		.amdhsa_reserve_vcc 0
		.amdhsa_reserve_flat_scratch 0
		.amdhsa_float_round_mode_32 0
		.amdhsa_float_round_mode_16_64 0
		.amdhsa_float_denorm_mode_32 3
		.amdhsa_float_denorm_mode_16_64 3
		.amdhsa_dx10_clamp 1
		.amdhsa_ieee_mode 1
		.amdhsa_fp16_overflow 0
		.amdhsa_tg_split 0
		.amdhsa_exception_fp_ieee_invalid_op 0
		.amdhsa_exception_fp_denorm_src 0
		.amdhsa_exception_fp_ieee_div_zero 0
		.amdhsa_exception_fp_ieee_overflow 0
		.amdhsa_exception_fp_ieee_underflow 0
		.amdhsa_exception_fp_ieee_inexact 0
		.amdhsa_exception_int_div_zero 0
	.end_amdhsa_kernel
	.section	.text._ZN7rocprim17ROCPRIM_400000_NS6detail17trampoline_kernelINS0_14default_configENS1_22reduce_config_selectorIN6thrust23THRUST_200600_302600_NS5tupleIblNS6_9null_typeES8_S8_S8_S8_S8_S8_S8_EEEEZNS1_11reduce_implILb1ES3_NS6_12zip_iteratorINS7_INS6_11hip_rocprim26transform_input_iterator_tIbNSD_35transform_pair_of_input_iterators_tIbNS6_6detail15normal_iteratorINS6_10device_ptrIKyEEEESL_NS6_8equal_toIyEEEENSG_9not_fun_tINSD_8identityEEEEENSD_19counting_iterator_tIlEES8_S8_S8_S8_S8_S8_S8_S8_EEEEPS9_S9_NSD_9__find_if7functorIS9_EEEE10hipError_tPvRmT1_T2_T3_mT4_P12ihipStream_tbEUlT_E1_NS1_11comp_targetILNS1_3genE2ELNS1_11target_archE906ELNS1_3gpuE6ELNS1_3repE0EEENS1_30default_config_static_selectorELNS0_4arch9wavefront6targetE1EEEvS14_,"axG",@progbits,_ZN7rocprim17ROCPRIM_400000_NS6detail17trampoline_kernelINS0_14default_configENS1_22reduce_config_selectorIN6thrust23THRUST_200600_302600_NS5tupleIblNS6_9null_typeES8_S8_S8_S8_S8_S8_S8_EEEEZNS1_11reduce_implILb1ES3_NS6_12zip_iteratorINS7_INS6_11hip_rocprim26transform_input_iterator_tIbNSD_35transform_pair_of_input_iterators_tIbNS6_6detail15normal_iteratorINS6_10device_ptrIKyEEEESL_NS6_8equal_toIyEEEENSG_9not_fun_tINSD_8identityEEEEENSD_19counting_iterator_tIlEES8_S8_S8_S8_S8_S8_S8_S8_EEEEPS9_S9_NSD_9__find_if7functorIS9_EEEE10hipError_tPvRmT1_T2_T3_mT4_P12ihipStream_tbEUlT_E1_NS1_11comp_targetILNS1_3genE2ELNS1_11target_archE906ELNS1_3gpuE6ELNS1_3repE0EEENS1_30default_config_static_selectorELNS0_4arch9wavefront6targetE1EEEvS14_,comdat
.Lfunc_end127:
	.size	_ZN7rocprim17ROCPRIM_400000_NS6detail17trampoline_kernelINS0_14default_configENS1_22reduce_config_selectorIN6thrust23THRUST_200600_302600_NS5tupleIblNS6_9null_typeES8_S8_S8_S8_S8_S8_S8_EEEEZNS1_11reduce_implILb1ES3_NS6_12zip_iteratorINS7_INS6_11hip_rocprim26transform_input_iterator_tIbNSD_35transform_pair_of_input_iterators_tIbNS6_6detail15normal_iteratorINS6_10device_ptrIKyEEEESL_NS6_8equal_toIyEEEENSG_9not_fun_tINSD_8identityEEEEENSD_19counting_iterator_tIlEES8_S8_S8_S8_S8_S8_S8_S8_EEEEPS9_S9_NSD_9__find_if7functorIS9_EEEE10hipError_tPvRmT1_T2_T3_mT4_P12ihipStream_tbEUlT_E1_NS1_11comp_targetILNS1_3genE2ELNS1_11target_archE906ELNS1_3gpuE6ELNS1_3repE0EEENS1_30default_config_static_selectorELNS0_4arch9wavefront6targetE1EEEvS14_, .Lfunc_end127-_ZN7rocprim17ROCPRIM_400000_NS6detail17trampoline_kernelINS0_14default_configENS1_22reduce_config_selectorIN6thrust23THRUST_200600_302600_NS5tupleIblNS6_9null_typeES8_S8_S8_S8_S8_S8_S8_EEEEZNS1_11reduce_implILb1ES3_NS6_12zip_iteratorINS7_INS6_11hip_rocprim26transform_input_iterator_tIbNSD_35transform_pair_of_input_iterators_tIbNS6_6detail15normal_iteratorINS6_10device_ptrIKyEEEESL_NS6_8equal_toIyEEEENSG_9not_fun_tINSD_8identityEEEEENSD_19counting_iterator_tIlEES8_S8_S8_S8_S8_S8_S8_S8_EEEEPS9_S9_NSD_9__find_if7functorIS9_EEEE10hipError_tPvRmT1_T2_T3_mT4_P12ihipStream_tbEUlT_E1_NS1_11comp_targetILNS1_3genE2ELNS1_11target_archE906ELNS1_3gpuE6ELNS1_3repE0EEENS1_30default_config_static_selectorELNS0_4arch9wavefront6targetE1EEEvS14_
                                        ; -- End function
	.section	.AMDGPU.csdata,"",@progbits
; Kernel info:
; codeLenInByte = 0
; NumSgprs: 4
; NumVgprs: 0
; NumAgprs: 0
; TotalNumVgprs: 0
; ScratchSize: 0
; MemoryBound: 0
; FloatMode: 240
; IeeeMode: 1
; LDSByteSize: 0 bytes/workgroup (compile time only)
; SGPRBlocks: 0
; VGPRBlocks: 0
; NumSGPRsForWavesPerEU: 4
; NumVGPRsForWavesPerEU: 1
; AccumOffset: 4
; Occupancy: 8
; WaveLimiterHint : 0
; COMPUTE_PGM_RSRC2:SCRATCH_EN: 0
; COMPUTE_PGM_RSRC2:USER_SGPR: 6
; COMPUTE_PGM_RSRC2:TRAP_HANDLER: 0
; COMPUTE_PGM_RSRC2:TGID_X_EN: 1
; COMPUTE_PGM_RSRC2:TGID_Y_EN: 0
; COMPUTE_PGM_RSRC2:TGID_Z_EN: 0
; COMPUTE_PGM_RSRC2:TIDIG_COMP_CNT: 0
; COMPUTE_PGM_RSRC3_GFX90A:ACCUM_OFFSET: 0
; COMPUTE_PGM_RSRC3_GFX90A:TG_SPLIT: 0
	.section	.text._ZN7rocprim17ROCPRIM_400000_NS6detail17trampoline_kernelINS0_14default_configENS1_22reduce_config_selectorIN6thrust23THRUST_200600_302600_NS5tupleIblNS6_9null_typeES8_S8_S8_S8_S8_S8_S8_EEEEZNS1_11reduce_implILb1ES3_NS6_12zip_iteratorINS7_INS6_11hip_rocprim26transform_input_iterator_tIbNSD_35transform_pair_of_input_iterators_tIbNS6_6detail15normal_iteratorINS6_10device_ptrIKyEEEESL_NS6_8equal_toIyEEEENSG_9not_fun_tINSD_8identityEEEEENSD_19counting_iterator_tIlEES8_S8_S8_S8_S8_S8_S8_S8_EEEEPS9_S9_NSD_9__find_if7functorIS9_EEEE10hipError_tPvRmT1_T2_T3_mT4_P12ihipStream_tbEUlT_E1_NS1_11comp_targetILNS1_3genE10ELNS1_11target_archE1201ELNS1_3gpuE5ELNS1_3repE0EEENS1_30default_config_static_selectorELNS0_4arch9wavefront6targetE1EEEvS14_,"axG",@progbits,_ZN7rocprim17ROCPRIM_400000_NS6detail17trampoline_kernelINS0_14default_configENS1_22reduce_config_selectorIN6thrust23THRUST_200600_302600_NS5tupleIblNS6_9null_typeES8_S8_S8_S8_S8_S8_S8_EEEEZNS1_11reduce_implILb1ES3_NS6_12zip_iteratorINS7_INS6_11hip_rocprim26transform_input_iterator_tIbNSD_35transform_pair_of_input_iterators_tIbNS6_6detail15normal_iteratorINS6_10device_ptrIKyEEEESL_NS6_8equal_toIyEEEENSG_9not_fun_tINSD_8identityEEEEENSD_19counting_iterator_tIlEES8_S8_S8_S8_S8_S8_S8_S8_EEEEPS9_S9_NSD_9__find_if7functorIS9_EEEE10hipError_tPvRmT1_T2_T3_mT4_P12ihipStream_tbEUlT_E1_NS1_11comp_targetILNS1_3genE10ELNS1_11target_archE1201ELNS1_3gpuE5ELNS1_3repE0EEENS1_30default_config_static_selectorELNS0_4arch9wavefront6targetE1EEEvS14_,comdat
	.protected	_ZN7rocprim17ROCPRIM_400000_NS6detail17trampoline_kernelINS0_14default_configENS1_22reduce_config_selectorIN6thrust23THRUST_200600_302600_NS5tupleIblNS6_9null_typeES8_S8_S8_S8_S8_S8_S8_EEEEZNS1_11reduce_implILb1ES3_NS6_12zip_iteratorINS7_INS6_11hip_rocprim26transform_input_iterator_tIbNSD_35transform_pair_of_input_iterators_tIbNS6_6detail15normal_iteratorINS6_10device_ptrIKyEEEESL_NS6_8equal_toIyEEEENSG_9not_fun_tINSD_8identityEEEEENSD_19counting_iterator_tIlEES8_S8_S8_S8_S8_S8_S8_S8_EEEEPS9_S9_NSD_9__find_if7functorIS9_EEEE10hipError_tPvRmT1_T2_T3_mT4_P12ihipStream_tbEUlT_E1_NS1_11comp_targetILNS1_3genE10ELNS1_11target_archE1201ELNS1_3gpuE5ELNS1_3repE0EEENS1_30default_config_static_selectorELNS0_4arch9wavefront6targetE1EEEvS14_ ; -- Begin function _ZN7rocprim17ROCPRIM_400000_NS6detail17trampoline_kernelINS0_14default_configENS1_22reduce_config_selectorIN6thrust23THRUST_200600_302600_NS5tupleIblNS6_9null_typeES8_S8_S8_S8_S8_S8_S8_EEEEZNS1_11reduce_implILb1ES3_NS6_12zip_iteratorINS7_INS6_11hip_rocprim26transform_input_iterator_tIbNSD_35transform_pair_of_input_iterators_tIbNS6_6detail15normal_iteratorINS6_10device_ptrIKyEEEESL_NS6_8equal_toIyEEEENSG_9not_fun_tINSD_8identityEEEEENSD_19counting_iterator_tIlEES8_S8_S8_S8_S8_S8_S8_S8_EEEEPS9_S9_NSD_9__find_if7functorIS9_EEEE10hipError_tPvRmT1_T2_T3_mT4_P12ihipStream_tbEUlT_E1_NS1_11comp_targetILNS1_3genE10ELNS1_11target_archE1201ELNS1_3gpuE5ELNS1_3repE0EEENS1_30default_config_static_selectorELNS0_4arch9wavefront6targetE1EEEvS14_
	.globl	_ZN7rocprim17ROCPRIM_400000_NS6detail17trampoline_kernelINS0_14default_configENS1_22reduce_config_selectorIN6thrust23THRUST_200600_302600_NS5tupleIblNS6_9null_typeES8_S8_S8_S8_S8_S8_S8_EEEEZNS1_11reduce_implILb1ES3_NS6_12zip_iteratorINS7_INS6_11hip_rocprim26transform_input_iterator_tIbNSD_35transform_pair_of_input_iterators_tIbNS6_6detail15normal_iteratorINS6_10device_ptrIKyEEEESL_NS6_8equal_toIyEEEENSG_9not_fun_tINSD_8identityEEEEENSD_19counting_iterator_tIlEES8_S8_S8_S8_S8_S8_S8_S8_EEEEPS9_S9_NSD_9__find_if7functorIS9_EEEE10hipError_tPvRmT1_T2_T3_mT4_P12ihipStream_tbEUlT_E1_NS1_11comp_targetILNS1_3genE10ELNS1_11target_archE1201ELNS1_3gpuE5ELNS1_3repE0EEENS1_30default_config_static_selectorELNS0_4arch9wavefront6targetE1EEEvS14_
	.p2align	8
	.type	_ZN7rocprim17ROCPRIM_400000_NS6detail17trampoline_kernelINS0_14default_configENS1_22reduce_config_selectorIN6thrust23THRUST_200600_302600_NS5tupleIblNS6_9null_typeES8_S8_S8_S8_S8_S8_S8_EEEEZNS1_11reduce_implILb1ES3_NS6_12zip_iteratorINS7_INS6_11hip_rocprim26transform_input_iterator_tIbNSD_35transform_pair_of_input_iterators_tIbNS6_6detail15normal_iteratorINS6_10device_ptrIKyEEEESL_NS6_8equal_toIyEEEENSG_9not_fun_tINSD_8identityEEEEENSD_19counting_iterator_tIlEES8_S8_S8_S8_S8_S8_S8_S8_EEEEPS9_S9_NSD_9__find_if7functorIS9_EEEE10hipError_tPvRmT1_T2_T3_mT4_P12ihipStream_tbEUlT_E1_NS1_11comp_targetILNS1_3genE10ELNS1_11target_archE1201ELNS1_3gpuE5ELNS1_3repE0EEENS1_30default_config_static_selectorELNS0_4arch9wavefront6targetE1EEEvS14_,@function
_ZN7rocprim17ROCPRIM_400000_NS6detail17trampoline_kernelINS0_14default_configENS1_22reduce_config_selectorIN6thrust23THRUST_200600_302600_NS5tupleIblNS6_9null_typeES8_S8_S8_S8_S8_S8_S8_EEEEZNS1_11reduce_implILb1ES3_NS6_12zip_iteratorINS7_INS6_11hip_rocprim26transform_input_iterator_tIbNSD_35transform_pair_of_input_iterators_tIbNS6_6detail15normal_iteratorINS6_10device_ptrIKyEEEESL_NS6_8equal_toIyEEEENSG_9not_fun_tINSD_8identityEEEEENSD_19counting_iterator_tIlEES8_S8_S8_S8_S8_S8_S8_S8_EEEEPS9_S9_NSD_9__find_if7functorIS9_EEEE10hipError_tPvRmT1_T2_T3_mT4_P12ihipStream_tbEUlT_E1_NS1_11comp_targetILNS1_3genE10ELNS1_11target_archE1201ELNS1_3gpuE5ELNS1_3repE0EEENS1_30default_config_static_selectorELNS0_4arch9wavefront6targetE1EEEvS14_: ; @_ZN7rocprim17ROCPRIM_400000_NS6detail17trampoline_kernelINS0_14default_configENS1_22reduce_config_selectorIN6thrust23THRUST_200600_302600_NS5tupleIblNS6_9null_typeES8_S8_S8_S8_S8_S8_S8_EEEEZNS1_11reduce_implILb1ES3_NS6_12zip_iteratorINS7_INS6_11hip_rocprim26transform_input_iterator_tIbNSD_35transform_pair_of_input_iterators_tIbNS6_6detail15normal_iteratorINS6_10device_ptrIKyEEEESL_NS6_8equal_toIyEEEENSG_9not_fun_tINSD_8identityEEEEENSD_19counting_iterator_tIlEES8_S8_S8_S8_S8_S8_S8_S8_EEEEPS9_S9_NSD_9__find_if7functorIS9_EEEE10hipError_tPvRmT1_T2_T3_mT4_P12ihipStream_tbEUlT_E1_NS1_11comp_targetILNS1_3genE10ELNS1_11target_archE1201ELNS1_3gpuE5ELNS1_3repE0EEENS1_30default_config_static_selectorELNS0_4arch9wavefront6targetE1EEEvS14_
; %bb.0:
	.section	.rodata,"a",@progbits
	.p2align	6, 0x0
	.amdhsa_kernel _ZN7rocprim17ROCPRIM_400000_NS6detail17trampoline_kernelINS0_14default_configENS1_22reduce_config_selectorIN6thrust23THRUST_200600_302600_NS5tupleIblNS6_9null_typeES8_S8_S8_S8_S8_S8_S8_EEEEZNS1_11reduce_implILb1ES3_NS6_12zip_iteratorINS7_INS6_11hip_rocprim26transform_input_iterator_tIbNSD_35transform_pair_of_input_iterators_tIbNS6_6detail15normal_iteratorINS6_10device_ptrIKyEEEESL_NS6_8equal_toIyEEEENSG_9not_fun_tINSD_8identityEEEEENSD_19counting_iterator_tIlEES8_S8_S8_S8_S8_S8_S8_S8_EEEEPS9_S9_NSD_9__find_if7functorIS9_EEEE10hipError_tPvRmT1_T2_T3_mT4_P12ihipStream_tbEUlT_E1_NS1_11comp_targetILNS1_3genE10ELNS1_11target_archE1201ELNS1_3gpuE5ELNS1_3repE0EEENS1_30default_config_static_selectorELNS0_4arch9wavefront6targetE1EEEvS14_
		.amdhsa_group_segment_fixed_size 0
		.amdhsa_private_segment_fixed_size 0
		.amdhsa_kernarg_size 88
		.amdhsa_user_sgpr_count 6
		.amdhsa_user_sgpr_private_segment_buffer 1
		.amdhsa_user_sgpr_dispatch_ptr 0
		.amdhsa_user_sgpr_queue_ptr 0
		.amdhsa_user_sgpr_kernarg_segment_ptr 1
		.amdhsa_user_sgpr_dispatch_id 0
		.amdhsa_user_sgpr_flat_scratch_init 0
		.amdhsa_user_sgpr_kernarg_preload_length 0
		.amdhsa_user_sgpr_kernarg_preload_offset 0
		.amdhsa_user_sgpr_private_segment_size 0
		.amdhsa_uses_dynamic_stack 0
		.amdhsa_system_sgpr_private_segment_wavefront_offset 0
		.amdhsa_system_sgpr_workgroup_id_x 1
		.amdhsa_system_sgpr_workgroup_id_y 0
		.amdhsa_system_sgpr_workgroup_id_z 0
		.amdhsa_system_sgpr_workgroup_info 0
		.amdhsa_system_vgpr_workitem_id 0
		.amdhsa_next_free_vgpr 1
		.amdhsa_next_free_sgpr 0
		.amdhsa_accum_offset 4
		.amdhsa_reserve_vcc 0
		.amdhsa_reserve_flat_scratch 0
		.amdhsa_float_round_mode_32 0
		.amdhsa_float_round_mode_16_64 0
		.amdhsa_float_denorm_mode_32 3
		.amdhsa_float_denorm_mode_16_64 3
		.amdhsa_dx10_clamp 1
		.amdhsa_ieee_mode 1
		.amdhsa_fp16_overflow 0
		.amdhsa_tg_split 0
		.amdhsa_exception_fp_ieee_invalid_op 0
		.amdhsa_exception_fp_denorm_src 0
		.amdhsa_exception_fp_ieee_div_zero 0
		.amdhsa_exception_fp_ieee_overflow 0
		.amdhsa_exception_fp_ieee_underflow 0
		.amdhsa_exception_fp_ieee_inexact 0
		.amdhsa_exception_int_div_zero 0
	.end_amdhsa_kernel
	.section	.text._ZN7rocprim17ROCPRIM_400000_NS6detail17trampoline_kernelINS0_14default_configENS1_22reduce_config_selectorIN6thrust23THRUST_200600_302600_NS5tupleIblNS6_9null_typeES8_S8_S8_S8_S8_S8_S8_EEEEZNS1_11reduce_implILb1ES3_NS6_12zip_iteratorINS7_INS6_11hip_rocprim26transform_input_iterator_tIbNSD_35transform_pair_of_input_iterators_tIbNS6_6detail15normal_iteratorINS6_10device_ptrIKyEEEESL_NS6_8equal_toIyEEEENSG_9not_fun_tINSD_8identityEEEEENSD_19counting_iterator_tIlEES8_S8_S8_S8_S8_S8_S8_S8_EEEEPS9_S9_NSD_9__find_if7functorIS9_EEEE10hipError_tPvRmT1_T2_T3_mT4_P12ihipStream_tbEUlT_E1_NS1_11comp_targetILNS1_3genE10ELNS1_11target_archE1201ELNS1_3gpuE5ELNS1_3repE0EEENS1_30default_config_static_selectorELNS0_4arch9wavefront6targetE1EEEvS14_,"axG",@progbits,_ZN7rocprim17ROCPRIM_400000_NS6detail17trampoline_kernelINS0_14default_configENS1_22reduce_config_selectorIN6thrust23THRUST_200600_302600_NS5tupleIblNS6_9null_typeES8_S8_S8_S8_S8_S8_S8_EEEEZNS1_11reduce_implILb1ES3_NS6_12zip_iteratorINS7_INS6_11hip_rocprim26transform_input_iterator_tIbNSD_35transform_pair_of_input_iterators_tIbNS6_6detail15normal_iteratorINS6_10device_ptrIKyEEEESL_NS6_8equal_toIyEEEENSG_9not_fun_tINSD_8identityEEEEENSD_19counting_iterator_tIlEES8_S8_S8_S8_S8_S8_S8_S8_EEEEPS9_S9_NSD_9__find_if7functorIS9_EEEE10hipError_tPvRmT1_T2_T3_mT4_P12ihipStream_tbEUlT_E1_NS1_11comp_targetILNS1_3genE10ELNS1_11target_archE1201ELNS1_3gpuE5ELNS1_3repE0EEENS1_30default_config_static_selectorELNS0_4arch9wavefront6targetE1EEEvS14_,comdat
.Lfunc_end128:
	.size	_ZN7rocprim17ROCPRIM_400000_NS6detail17trampoline_kernelINS0_14default_configENS1_22reduce_config_selectorIN6thrust23THRUST_200600_302600_NS5tupleIblNS6_9null_typeES8_S8_S8_S8_S8_S8_S8_EEEEZNS1_11reduce_implILb1ES3_NS6_12zip_iteratorINS7_INS6_11hip_rocprim26transform_input_iterator_tIbNSD_35transform_pair_of_input_iterators_tIbNS6_6detail15normal_iteratorINS6_10device_ptrIKyEEEESL_NS6_8equal_toIyEEEENSG_9not_fun_tINSD_8identityEEEEENSD_19counting_iterator_tIlEES8_S8_S8_S8_S8_S8_S8_S8_EEEEPS9_S9_NSD_9__find_if7functorIS9_EEEE10hipError_tPvRmT1_T2_T3_mT4_P12ihipStream_tbEUlT_E1_NS1_11comp_targetILNS1_3genE10ELNS1_11target_archE1201ELNS1_3gpuE5ELNS1_3repE0EEENS1_30default_config_static_selectorELNS0_4arch9wavefront6targetE1EEEvS14_, .Lfunc_end128-_ZN7rocprim17ROCPRIM_400000_NS6detail17trampoline_kernelINS0_14default_configENS1_22reduce_config_selectorIN6thrust23THRUST_200600_302600_NS5tupleIblNS6_9null_typeES8_S8_S8_S8_S8_S8_S8_EEEEZNS1_11reduce_implILb1ES3_NS6_12zip_iteratorINS7_INS6_11hip_rocprim26transform_input_iterator_tIbNSD_35transform_pair_of_input_iterators_tIbNS6_6detail15normal_iteratorINS6_10device_ptrIKyEEEESL_NS6_8equal_toIyEEEENSG_9not_fun_tINSD_8identityEEEEENSD_19counting_iterator_tIlEES8_S8_S8_S8_S8_S8_S8_S8_EEEEPS9_S9_NSD_9__find_if7functorIS9_EEEE10hipError_tPvRmT1_T2_T3_mT4_P12ihipStream_tbEUlT_E1_NS1_11comp_targetILNS1_3genE10ELNS1_11target_archE1201ELNS1_3gpuE5ELNS1_3repE0EEENS1_30default_config_static_selectorELNS0_4arch9wavefront6targetE1EEEvS14_
                                        ; -- End function
	.section	.AMDGPU.csdata,"",@progbits
; Kernel info:
; codeLenInByte = 0
; NumSgprs: 4
; NumVgprs: 0
; NumAgprs: 0
; TotalNumVgprs: 0
; ScratchSize: 0
; MemoryBound: 0
; FloatMode: 240
; IeeeMode: 1
; LDSByteSize: 0 bytes/workgroup (compile time only)
; SGPRBlocks: 0
; VGPRBlocks: 0
; NumSGPRsForWavesPerEU: 4
; NumVGPRsForWavesPerEU: 1
; AccumOffset: 4
; Occupancy: 8
; WaveLimiterHint : 0
; COMPUTE_PGM_RSRC2:SCRATCH_EN: 0
; COMPUTE_PGM_RSRC2:USER_SGPR: 6
; COMPUTE_PGM_RSRC2:TRAP_HANDLER: 0
; COMPUTE_PGM_RSRC2:TGID_X_EN: 1
; COMPUTE_PGM_RSRC2:TGID_Y_EN: 0
; COMPUTE_PGM_RSRC2:TGID_Z_EN: 0
; COMPUTE_PGM_RSRC2:TIDIG_COMP_CNT: 0
; COMPUTE_PGM_RSRC3_GFX90A:ACCUM_OFFSET: 0
; COMPUTE_PGM_RSRC3_GFX90A:TG_SPLIT: 0
	.section	.text._ZN7rocprim17ROCPRIM_400000_NS6detail17trampoline_kernelINS0_14default_configENS1_22reduce_config_selectorIN6thrust23THRUST_200600_302600_NS5tupleIblNS6_9null_typeES8_S8_S8_S8_S8_S8_S8_EEEEZNS1_11reduce_implILb1ES3_NS6_12zip_iteratorINS7_INS6_11hip_rocprim26transform_input_iterator_tIbNSD_35transform_pair_of_input_iterators_tIbNS6_6detail15normal_iteratorINS6_10device_ptrIKyEEEESL_NS6_8equal_toIyEEEENSG_9not_fun_tINSD_8identityEEEEENSD_19counting_iterator_tIlEES8_S8_S8_S8_S8_S8_S8_S8_EEEEPS9_S9_NSD_9__find_if7functorIS9_EEEE10hipError_tPvRmT1_T2_T3_mT4_P12ihipStream_tbEUlT_E1_NS1_11comp_targetILNS1_3genE10ELNS1_11target_archE1200ELNS1_3gpuE4ELNS1_3repE0EEENS1_30default_config_static_selectorELNS0_4arch9wavefront6targetE1EEEvS14_,"axG",@progbits,_ZN7rocprim17ROCPRIM_400000_NS6detail17trampoline_kernelINS0_14default_configENS1_22reduce_config_selectorIN6thrust23THRUST_200600_302600_NS5tupleIblNS6_9null_typeES8_S8_S8_S8_S8_S8_S8_EEEEZNS1_11reduce_implILb1ES3_NS6_12zip_iteratorINS7_INS6_11hip_rocprim26transform_input_iterator_tIbNSD_35transform_pair_of_input_iterators_tIbNS6_6detail15normal_iteratorINS6_10device_ptrIKyEEEESL_NS6_8equal_toIyEEEENSG_9not_fun_tINSD_8identityEEEEENSD_19counting_iterator_tIlEES8_S8_S8_S8_S8_S8_S8_S8_EEEEPS9_S9_NSD_9__find_if7functorIS9_EEEE10hipError_tPvRmT1_T2_T3_mT4_P12ihipStream_tbEUlT_E1_NS1_11comp_targetILNS1_3genE10ELNS1_11target_archE1200ELNS1_3gpuE4ELNS1_3repE0EEENS1_30default_config_static_selectorELNS0_4arch9wavefront6targetE1EEEvS14_,comdat
	.protected	_ZN7rocprim17ROCPRIM_400000_NS6detail17trampoline_kernelINS0_14default_configENS1_22reduce_config_selectorIN6thrust23THRUST_200600_302600_NS5tupleIblNS6_9null_typeES8_S8_S8_S8_S8_S8_S8_EEEEZNS1_11reduce_implILb1ES3_NS6_12zip_iteratorINS7_INS6_11hip_rocprim26transform_input_iterator_tIbNSD_35transform_pair_of_input_iterators_tIbNS6_6detail15normal_iteratorINS6_10device_ptrIKyEEEESL_NS6_8equal_toIyEEEENSG_9not_fun_tINSD_8identityEEEEENSD_19counting_iterator_tIlEES8_S8_S8_S8_S8_S8_S8_S8_EEEEPS9_S9_NSD_9__find_if7functorIS9_EEEE10hipError_tPvRmT1_T2_T3_mT4_P12ihipStream_tbEUlT_E1_NS1_11comp_targetILNS1_3genE10ELNS1_11target_archE1200ELNS1_3gpuE4ELNS1_3repE0EEENS1_30default_config_static_selectorELNS0_4arch9wavefront6targetE1EEEvS14_ ; -- Begin function _ZN7rocprim17ROCPRIM_400000_NS6detail17trampoline_kernelINS0_14default_configENS1_22reduce_config_selectorIN6thrust23THRUST_200600_302600_NS5tupleIblNS6_9null_typeES8_S8_S8_S8_S8_S8_S8_EEEEZNS1_11reduce_implILb1ES3_NS6_12zip_iteratorINS7_INS6_11hip_rocprim26transform_input_iterator_tIbNSD_35transform_pair_of_input_iterators_tIbNS6_6detail15normal_iteratorINS6_10device_ptrIKyEEEESL_NS6_8equal_toIyEEEENSG_9not_fun_tINSD_8identityEEEEENSD_19counting_iterator_tIlEES8_S8_S8_S8_S8_S8_S8_S8_EEEEPS9_S9_NSD_9__find_if7functorIS9_EEEE10hipError_tPvRmT1_T2_T3_mT4_P12ihipStream_tbEUlT_E1_NS1_11comp_targetILNS1_3genE10ELNS1_11target_archE1200ELNS1_3gpuE4ELNS1_3repE0EEENS1_30default_config_static_selectorELNS0_4arch9wavefront6targetE1EEEvS14_
	.globl	_ZN7rocprim17ROCPRIM_400000_NS6detail17trampoline_kernelINS0_14default_configENS1_22reduce_config_selectorIN6thrust23THRUST_200600_302600_NS5tupleIblNS6_9null_typeES8_S8_S8_S8_S8_S8_S8_EEEEZNS1_11reduce_implILb1ES3_NS6_12zip_iteratorINS7_INS6_11hip_rocprim26transform_input_iterator_tIbNSD_35transform_pair_of_input_iterators_tIbNS6_6detail15normal_iteratorINS6_10device_ptrIKyEEEESL_NS6_8equal_toIyEEEENSG_9not_fun_tINSD_8identityEEEEENSD_19counting_iterator_tIlEES8_S8_S8_S8_S8_S8_S8_S8_EEEEPS9_S9_NSD_9__find_if7functorIS9_EEEE10hipError_tPvRmT1_T2_T3_mT4_P12ihipStream_tbEUlT_E1_NS1_11comp_targetILNS1_3genE10ELNS1_11target_archE1200ELNS1_3gpuE4ELNS1_3repE0EEENS1_30default_config_static_selectorELNS0_4arch9wavefront6targetE1EEEvS14_
	.p2align	8
	.type	_ZN7rocprim17ROCPRIM_400000_NS6detail17trampoline_kernelINS0_14default_configENS1_22reduce_config_selectorIN6thrust23THRUST_200600_302600_NS5tupleIblNS6_9null_typeES8_S8_S8_S8_S8_S8_S8_EEEEZNS1_11reduce_implILb1ES3_NS6_12zip_iteratorINS7_INS6_11hip_rocprim26transform_input_iterator_tIbNSD_35transform_pair_of_input_iterators_tIbNS6_6detail15normal_iteratorINS6_10device_ptrIKyEEEESL_NS6_8equal_toIyEEEENSG_9not_fun_tINSD_8identityEEEEENSD_19counting_iterator_tIlEES8_S8_S8_S8_S8_S8_S8_S8_EEEEPS9_S9_NSD_9__find_if7functorIS9_EEEE10hipError_tPvRmT1_T2_T3_mT4_P12ihipStream_tbEUlT_E1_NS1_11comp_targetILNS1_3genE10ELNS1_11target_archE1200ELNS1_3gpuE4ELNS1_3repE0EEENS1_30default_config_static_selectorELNS0_4arch9wavefront6targetE1EEEvS14_,@function
_ZN7rocprim17ROCPRIM_400000_NS6detail17trampoline_kernelINS0_14default_configENS1_22reduce_config_selectorIN6thrust23THRUST_200600_302600_NS5tupleIblNS6_9null_typeES8_S8_S8_S8_S8_S8_S8_EEEEZNS1_11reduce_implILb1ES3_NS6_12zip_iteratorINS7_INS6_11hip_rocprim26transform_input_iterator_tIbNSD_35transform_pair_of_input_iterators_tIbNS6_6detail15normal_iteratorINS6_10device_ptrIKyEEEESL_NS6_8equal_toIyEEEENSG_9not_fun_tINSD_8identityEEEEENSD_19counting_iterator_tIlEES8_S8_S8_S8_S8_S8_S8_S8_EEEEPS9_S9_NSD_9__find_if7functorIS9_EEEE10hipError_tPvRmT1_T2_T3_mT4_P12ihipStream_tbEUlT_E1_NS1_11comp_targetILNS1_3genE10ELNS1_11target_archE1200ELNS1_3gpuE4ELNS1_3repE0EEENS1_30default_config_static_selectorELNS0_4arch9wavefront6targetE1EEEvS14_: ; @_ZN7rocprim17ROCPRIM_400000_NS6detail17trampoline_kernelINS0_14default_configENS1_22reduce_config_selectorIN6thrust23THRUST_200600_302600_NS5tupleIblNS6_9null_typeES8_S8_S8_S8_S8_S8_S8_EEEEZNS1_11reduce_implILb1ES3_NS6_12zip_iteratorINS7_INS6_11hip_rocprim26transform_input_iterator_tIbNSD_35transform_pair_of_input_iterators_tIbNS6_6detail15normal_iteratorINS6_10device_ptrIKyEEEESL_NS6_8equal_toIyEEEENSG_9not_fun_tINSD_8identityEEEEENSD_19counting_iterator_tIlEES8_S8_S8_S8_S8_S8_S8_S8_EEEEPS9_S9_NSD_9__find_if7functorIS9_EEEE10hipError_tPvRmT1_T2_T3_mT4_P12ihipStream_tbEUlT_E1_NS1_11comp_targetILNS1_3genE10ELNS1_11target_archE1200ELNS1_3gpuE4ELNS1_3repE0EEENS1_30default_config_static_selectorELNS0_4arch9wavefront6targetE1EEEvS14_
; %bb.0:
	.section	.rodata,"a",@progbits
	.p2align	6, 0x0
	.amdhsa_kernel _ZN7rocprim17ROCPRIM_400000_NS6detail17trampoline_kernelINS0_14default_configENS1_22reduce_config_selectorIN6thrust23THRUST_200600_302600_NS5tupleIblNS6_9null_typeES8_S8_S8_S8_S8_S8_S8_EEEEZNS1_11reduce_implILb1ES3_NS6_12zip_iteratorINS7_INS6_11hip_rocprim26transform_input_iterator_tIbNSD_35transform_pair_of_input_iterators_tIbNS6_6detail15normal_iteratorINS6_10device_ptrIKyEEEESL_NS6_8equal_toIyEEEENSG_9not_fun_tINSD_8identityEEEEENSD_19counting_iterator_tIlEES8_S8_S8_S8_S8_S8_S8_S8_EEEEPS9_S9_NSD_9__find_if7functorIS9_EEEE10hipError_tPvRmT1_T2_T3_mT4_P12ihipStream_tbEUlT_E1_NS1_11comp_targetILNS1_3genE10ELNS1_11target_archE1200ELNS1_3gpuE4ELNS1_3repE0EEENS1_30default_config_static_selectorELNS0_4arch9wavefront6targetE1EEEvS14_
		.amdhsa_group_segment_fixed_size 0
		.amdhsa_private_segment_fixed_size 0
		.amdhsa_kernarg_size 88
		.amdhsa_user_sgpr_count 6
		.amdhsa_user_sgpr_private_segment_buffer 1
		.amdhsa_user_sgpr_dispatch_ptr 0
		.amdhsa_user_sgpr_queue_ptr 0
		.amdhsa_user_sgpr_kernarg_segment_ptr 1
		.amdhsa_user_sgpr_dispatch_id 0
		.amdhsa_user_sgpr_flat_scratch_init 0
		.amdhsa_user_sgpr_kernarg_preload_length 0
		.amdhsa_user_sgpr_kernarg_preload_offset 0
		.amdhsa_user_sgpr_private_segment_size 0
		.amdhsa_uses_dynamic_stack 0
		.amdhsa_system_sgpr_private_segment_wavefront_offset 0
		.amdhsa_system_sgpr_workgroup_id_x 1
		.amdhsa_system_sgpr_workgroup_id_y 0
		.amdhsa_system_sgpr_workgroup_id_z 0
		.amdhsa_system_sgpr_workgroup_info 0
		.amdhsa_system_vgpr_workitem_id 0
		.amdhsa_next_free_vgpr 1
		.amdhsa_next_free_sgpr 0
		.amdhsa_accum_offset 4
		.amdhsa_reserve_vcc 0
		.amdhsa_reserve_flat_scratch 0
		.amdhsa_float_round_mode_32 0
		.amdhsa_float_round_mode_16_64 0
		.amdhsa_float_denorm_mode_32 3
		.amdhsa_float_denorm_mode_16_64 3
		.amdhsa_dx10_clamp 1
		.amdhsa_ieee_mode 1
		.amdhsa_fp16_overflow 0
		.amdhsa_tg_split 0
		.amdhsa_exception_fp_ieee_invalid_op 0
		.amdhsa_exception_fp_denorm_src 0
		.amdhsa_exception_fp_ieee_div_zero 0
		.amdhsa_exception_fp_ieee_overflow 0
		.amdhsa_exception_fp_ieee_underflow 0
		.amdhsa_exception_fp_ieee_inexact 0
		.amdhsa_exception_int_div_zero 0
	.end_amdhsa_kernel
	.section	.text._ZN7rocprim17ROCPRIM_400000_NS6detail17trampoline_kernelINS0_14default_configENS1_22reduce_config_selectorIN6thrust23THRUST_200600_302600_NS5tupleIblNS6_9null_typeES8_S8_S8_S8_S8_S8_S8_EEEEZNS1_11reduce_implILb1ES3_NS6_12zip_iteratorINS7_INS6_11hip_rocprim26transform_input_iterator_tIbNSD_35transform_pair_of_input_iterators_tIbNS6_6detail15normal_iteratorINS6_10device_ptrIKyEEEESL_NS6_8equal_toIyEEEENSG_9not_fun_tINSD_8identityEEEEENSD_19counting_iterator_tIlEES8_S8_S8_S8_S8_S8_S8_S8_EEEEPS9_S9_NSD_9__find_if7functorIS9_EEEE10hipError_tPvRmT1_T2_T3_mT4_P12ihipStream_tbEUlT_E1_NS1_11comp_targetILNS1_3genE10ELNS1_11target_archE1200ELNS1_3gpuE4ELNS1_3repE0EEENS1_30default_config_static_selectorELNS0_4arch9wavefront6targetE1EEEvS14_,"axG",@progbits,_ZN7rocprim17ROCPRIM_400000_NS6detail17trampoline_kernelINS0_14default_configENS1_22reduce_config_selectorIN6thrust23THRUST_200600_302600_NS5tupleIblNS6_9null_typeES8_S8_S8_S8_S8_S8_S8_EEEEZNS1_11reduce_implILb1ES3_NS6_12zip_iteratorINS7_INS6_11hip_rocprim26transform_input_iterator_tIbNSD_35transform_pair_of_input_iterators_tIbNS6_6detail15normal_iteratorINS6_10device_ptrIKyEEEESL_NS6_8equal_toIyEEEENSG_9not_fun_tINSD_8identityEEEEENSD_19counting_iterator_tIlEES8_S8_S8_S8_S8_S8_S8_S8_EEEEPS9_S9_NSD_9__find_if7functorIS9_EEEE10hipError_tPvRmT1_T2_T3_mT4_P12ihipStream_tbEUlT_E1_NS1_11comp_targetILNS1_3genE10ELNS1_11target_archE1200ELNS1_3gpuE4ELNS1_3repE0EEENS1_30default_config_static_selectorELNS0_4arch9wavefront6targetE1EEEvS14_,comdat
.Lfunc_end129:
	.size	_ZN7rocprim17ROCPRIM_400000_NS6detail17trampoline_kernelINS0_14default_configENS1_22reduce_config_selectorIN6thrust23THRUST_200600_302600_NS5tupleIblNS6_9null_typeES8_S8_S8_S8_S8_S8_S8_EEEEZNS1_11reduce_implILb1ES3_NS6_12zip_iteratorINS7_INS6_11hip_rocprim26transform_input_iterator_tIbNSD_35transform_pair_of_input_iterators_tIbNS6_6detail15normal_iteratorINS6_10device_ptrIKyEEEESL_NS6_8equal_toIyEEEENSG_9not_fun_tINSD_8identityEEEEENSD_19counting_iterator_tIlEES8_S8_S8_S8_S8_S8_S8_S8_EEEEPS9_S9_NSD_9__find_if7functorIS9_EEEE10hipError_tPvRmT1_T2_T3_mT4_P12ihipStream_tbEUlT_E1_NS1_11comp_targetILNS1_3genE10ELNS1_11target_archE1200ELNS1_3gpuE4ELNS1_3repE0EEENS1_30default_config_static_selectorELNS0_4arch9wavefront6targetE1EEEvS14_, .Lfunc_end129-_ZN7rocprim17ROCPRIM_400000_NS6detail17trampoline_kernelINS0_14default_configENS1_22reduce_config_selectorIN6thrust23THRUST_200600_302600_NS5tupleIblNS6_9null_typeES8_S8_S8_S8_S8_S8_S8_EEEEZNS1_11reduce_implILb1ES3_NS6_12zip_iteratorINS7_INS6_11hip_rocprim26transform_input_iterator_tIbNSD_35transform_pair_of_input_iterators_tIbNS6_6detail15normal_iteratorINS6_10device_ptrIKyEEEESL_NS6_8equal_toIyEEEENSG_9not_fun_tINSD_8identityEEEEENSD_19counting_iterator_tIlEES8_S8_S8_S8_S8_S8_S8_S8_EEEEPS9_S9_NSD_9__find_if7functorIS9_EEEE10hipError_tPvRmT1_T2_T3_mT4_P12ihipStream_tbEUlT_E1_NS1_11comp_targetILNS1_3genE10ELNS1_11target_archE1200ELNS1_3gpuE4ELNS1_3repE0EEENS1_30default_config_static_selectorELNS0_4arch9wavefront6targetE1EEEvS14_
                                        ; -- End function
	.section	.AMDGPU.csdata,"",@progbits
; Kernel info:
; codeLenInByte = 0
; NumSgprs: 4
; NumVgprs: 0
; NumAgprs: 0
; TotalNumVgprs: 0
; ScratchSize: 0
; MemoryBound: 0
; FloatMode: 240
; IeeeMode: 1
; LDSByteSize: 0 bytes/workgroup (compile time only)
; SGPRBlocks: 0
; VGPRBlocks: 0
; NumSGPRsForWavesPerEU: 4
; NumVGPRsForWavesPerEU: 1
; AccumOffset: 4
; Occupancy: 8
; WaveLimiterHint : 0
; COMPUTE_PGM_RSRC2:SCRATCH_EN: 0
; COMPUTE_PGM_RSRC2:USER_SGPR: 6
; COMPUTE_PGM_RSRC2:TRAP_HANDLER: 0
; COMPUTE_PGM_RSRC2:TGID_X_EN: 1
; COMPUTE_PGM_RSRC2:TGID_Y_EN: 0
; COMPUTE_PGM_RSRC2:TGID_Z_EN: 0
; COMPUTE_PGM_RSRC2:TIDIG_COMP_CNT: 0
; COMPUTE_PGM_RSRC3_GFX90A:ACCUM_OFFSET: 0
; COMPUTE_PGM_RSRC3_GFX90A:TG_SPLIT: 0
	.section	.text._ZN7rocprim17ROCPRIM_400000_NS6detail17trampoline_kernelINS0_14default_configENS1_22reduce_config_selectorIN6thrust23THRUST_200600_302600_NS5tupleIblNS6_9null_typeES8_S8_S8_S8_S8_S8_S8_EEEEZNS1_11reduce_implILb1ES3_NS6_12zip_iteratorINS7_INS6_11hip_rocprim26transform_input_iterator_tIbNSD_35transform_pair_of_input_iterators_tIbNS6_6detail15normal_iteratorINS6_10device_ptrIKyEEEESL_NS6_8equal_toIyEEEENSG_9not_fun_tINSD_8identityEEEEENSD_19counting_iterator_tIlEES8_S8_S8_S8_S8_S8_S8_S8_EEEEPS9_S9_NSD_9__find_if7functorIS9_EEEE10hipError_tPvRmT1_T2_T3_mT4_P12ihipStream_tbEUlT_E1_NS1_11comp_targetILNS1_3genE9ELNS1_11target_archE1100ELNS1_3gpuE3ELNS1_3repE0EEENS1_30default_config_static_selectorELNS0_4arch9wavefront6targetE1EEEvS14_,"axG",@progbits,_ZN7rocprim17ROCPRIM_400000_NS6detail17trampoline_kernelINS0_14default_configENS1_22reduce_config_selectorIN6thrust23THRUST_200600_302600_NS5tupleIblNS6_9null_typeES8_S8_S8_S8_S8_S8_S8_EEEEZNS1_11reduce_implILb1ES3_NS6_12zip_iteratorINS7_INS6_11hip_rocprim26transform_input_iterator_tIbNSD_35transform_pair_of_input_iterators_tIbNS6_6detail15normal_iteratorINS6_10device_ptrIKyEEEESL_NS6_8equal_toIyEEEENSG_9not_fun_tINSD_8identityEEEEENSD_19counting_iterator_tIlEES8_S8_S8_S8_S8_S8_S8_S8_EEEEPS9_S9_NSD_9__find_if7functorIS9_EEEE10hipError_tPvRmT1_T2_T3_mT4_P12ihipStream_tbEUlT_E1_NS1_11comp_targetILNS1_3genE9ELNS1_11target_archE1100ELNS1_3gpuE3ELNS1_3repE0EEENS1_30default_config_static_selectorELNS0_4arch9wavefront6targetE1EEEvS14_,comdat
	.protected	_ZN7rocprim17ROCPRIM_400000_NS6detail17trampoline_kernelINS0_14default_configENS1_22reduce_config_selectorIN6thrust23THRUST_200600_302600_NS5tupleIblNS6_9null_typeES8_S8_S8_S8_S8_S8_S8_EEEEZNS1_11reduce_implILb1ES3_NS6_12zip_iteratorINS7_INS6_11hip_rocprim26transform_input_iterator_tIbNSD_35transform_pair_of_input_iterators_tIbNS6_6detail15normal_iteratorINS6_10device_ptrIKyEEEESL_NS6_8equal_toIyEEEENSG_9not_fun_tINSD_8identityEEEEENSD_19counting_iterator_tIlEES8_S8_S8_S8_S8_S8_S8_S8_EEEEPS9_S9_NSD_9__find_if7functorIS9_EEEE10hipError_tPvRmT1_T2_T3_mT4_P12ihipStream_tbEUlT_E1_NS1_11comp_targetILNS1_3genE9ELNS1_11target_archE1100ELNS1_3gpuE3ELNS1_3repE0EEENS1_30default_config_static_selectorELNS0_4arch9wavefront6targetE1EEEvS14_ ; -- Begin function _ZN7rocprim17ROCPRIM_400000_NS6detail17trampoline_kernelINS0_14default_configENS1_22reduce_config_selectorIN6thrust23THRUST_200600_302600_NS5tupleIblNS6_9null_typeES8_S8_S8_S8_S8_S8_S8_EEEEZNS1_11reduce_implILb1ES3_NS6_12zip_iteratorINS7_INS6_11hip_rocprim26transform_input_iterator_tIbNSD_35transform_pair_of_input_iterators_tIbNS6_6detail15normal_iteratorINS6_10device_ptrIKyEEEESL_NS6_8equal_toIyEEEENSG_9not_fun_tINSD_8identityEEEEENSD_19counting_iterator_tIlEES8_S8_S8_S8_S8_S8_S8_S8_EEEEPS9_S9_NSD_9__find_if7functorIS9_EEEE10hipError_tPvRmT1_T2_T3_mT4_P12ihipStream_tbEUlT_E1_NS1_11comp_targetILNS1_3genE9ELNS1_11target_archE1100ELNS1_3gpuE3ELNS1_3repE0EEENS1_30default_config_static_selectorELNS0_4arch9wavefront6targetE1EEEvS14_
	.globl	_ZN7rocprim17ROCPRIM_400000_NS6detail17trampoline_kernelINS0_14default_configENS1_22reduce_config_selectorIN6thrust23THRUST_200600_302600_NS5tupleIblNS6_9null_typeES8_S8_S8_S8_S8_S8_S8_EEEEZNS1_11reduce_implILb1ES3_NS6_12zip_iteratorINS7_INS6_11hip_rocprim26transform_input_iterator_tIbNSD_35transform_pair_of_input_iterators_tIbNS6_6detail15normal_iteratorINS6_10device_ptrIKyEEEESL_NS6_8equal_toIyEEEENSG_9not_fun_tINSD_8identityEEEEENSD_19counting_iterator_tIlEES8_S8_S8_S8_S8_S8_S8_S8_EEEEPS9_S9_NSD_9__find_if7functorIS9_EEEE10hipError_tPvRmT1_T2_T3_mT4_P12ihipStream_tbEUlT_E1_NS1_11comp_targetILNS1_3genE9ELNS1_11target_archE1100ELNS1_3gpuE3ELNS1_3repE0EEENS1_30default_config_static_selectorELNS0_4arch9wavefront6targetE1EEEvS14_
	.p2align	8
	.type	_ZN7rocprim17ROCPRIM_400000_NS6detail17trampoline_kernelINS0_14default_configENS1_22reduce_config_selectorIN6thrust23THRUST_200600_302600_NS5tupleIblNS6_9null_typeES8_S8_S8_S8_S8_S8_S8_EEEEZNS1_11reduce_implILb1ES3_NS6_12zip_iteratorINS7_INS6_11hip_rocprim26transform_input_iterator_tIbNSD_35transform_pair_of_input_iterators_tIbNS6_6detail15normal_iteratorINS6_10device_ptrIKyEEEESL_NS6_8equal_toIyEEEENSG_9not_fun_tINSD_8identityEEEEENSD_19counting_iterator_tIlEES8_S8_S8_S8_S8_S8_S8_S8_EEEEPS9_S9_NSD_9__find_if7functorIS9_EEEE10hipError_tPvRmT1_T2_T3_mT4_P12ihipStream_tbEUlT_E1_NS1_11comp_targetILNS1_3genE9ELNS1_11target_archE1100ELNS1_3gpuE3ELNS1_3repE0EEENS1_30default_config_static_selectorELNS0_4arch9wavefront6targetE1EEEvS14_,@function
_ZN7rocprim17ROCPRIM_400000_NS6detail17trampoline_kernelINS0_14default_configENS1_22reduce_config_selectorIN6thrust23THRUST_200600_302600_NS5tupleIblNS6_9null_typeES8_S8_S8_S8_S8_S8_S8_EEEEZNS1_11reduce_implILb1ES3_NS6_12zip_iteratorINS7_INS6_11hip_rocprim26transform_input_iterator_tIbNSD_35transform_pair_of_input_iterators_tIbNS6_6detail15normal_iteratorINS6_10device_ptrIKyEEEESL_NS6_8equal_toIyEEEENSG_9not_fun_tINSD_8identityEEEEENSD_19counting_iterator_tIlEES8_S8_S8_S8_S8_S8_S8_S8_EEEEPS9_S9_NSD_9__find_if7functorIS9_EEEE10hipError_tPvRmT1_T2_T3_mT4_P12ihipStream_tbEUlT_E1_NS1_11comp_targetILNS1_3genE9ELNS1_11target_archE1100ELNS1_3gpuE3ELNS1_3repE0EEENS1_30default_config_static_selectorELNS0_4arch9wavefront6targetE1EEEvS14_: ; @_ZN7rocprim17ROCPRIM_400000_NS6detail17trampoline_kernelINS0_14default_configENS1_22reduce_config_selectorIN6thrust23THRUST_200600_302600_NS5tupleIblNS6_9null_typeES8_S8_S8_S8_S8_S8_S8_EEEEZNS1_11reduce_implILb1ES3_NS6_12zip_iteratorINS7_INS6_11hip_rocprim26transform_input_iterator_tIbNSD_35transform_pair_of_input_iterators_tIbNS6_6detail15normal_iteratorINS6_10device_ptrIKyEEEESL_NS6_8equal_toIyEEEENSG_9not_fun_tINSD_8identityEEEEENSD_19counting_iterator_tIlEES8_S8_S8_S8_S8_S8_S8_S8_EEEEPS9_S9_NSD_9__find_if7functorIS9_EEEE10hipError_tPvRmT1_T2_T3_mT4_P12ihipStream_tbEUlT_E1_NS1_11comp_targetILNS1_3genE9ELNS1_11target_archE1100ELNS1_3gpuE3ELNS1_3repE0EEENS1_30default_config_static_selectorELNS0_4arch9wavefront6targetE1EEEvS14_
; %bb.0:
	.section	.rodata,"a",@progbits
	.p2align	6, 0x0
	.amdhsa_kernel _ZN7rocprim17ROCPRIM_400000_NS6detail17trampoline_kernelINS0_14default_configENS1_22reduce_config_selectorIN6thrust23THRUST_200600_302600_NS5tupleIblNS6_9null_typeES8_S8_S8_S8_S8_S8_S8_EEEEZNS1_11reduce_implILb1ES3_NS6_12zip_iteratorINS7_INS6_11hip_rocprim26transform_input_iterator_tIbNSD_35transform_pair_of_input_iterators_tIbNS6_6detail15normal_iteratorINS6_10device_ptrIKyEEEESL_NS6_8equal_toIyEEEENSG_9not_fun_tINSD_8identityEEEEENSD_19counting_iterator_tIlEES8_S8_S8_S8_S8_S8_S8_S8_EEEEPS9_S9_NSD_9__find_if7functorIS9_EEEE10hipError_tPvRmT1_T2_T3_mT4_P12ihipStream_tbEUlT_E1_NS1_11comp_targetILNS1_3genE9ELNS1_11target_archE1100ELNS1_3gpuE3ELNS1_3repE0EEENS1_30default_config_static_selectorELNS0_4arch9wavefront6targetE1EEEvS14_
		.amdhsa_group_segment_fixed_size 0
		.amdhsa_private_segment_fixed_size 0
		.amdhsa_kernarg_size 88
		.amdhsa_user_sgpr_count 6
		.amdhsa_user_sgpr_private_segment_buffer 1
		.amdhsa_user_sgpr_dispatch_ptr 0
		.amdhsa_user_sgpr_queue_ptr 0
		.amdhsa_user_sgpr_kernarg_segment_ptr 1
		.amdhsa_user_sgpr_dispatch_id 0
		.amdhsa_user_sgpr_flat_scratch_init 0
		.amdhsa_user_sgpr_kernarg_preload_length 0
		.amdhsa_user_sgpr_kernarg_preload_offset 0
		.amdhsa_user_sgpr_private_segment_size 0
		.amdhsa_uses_dynamic_stack 0
		.amdhsa_system_sgpr_private_segment_wavefront_offset 0
		.amdhsa_system_sgpr_workgroup_id_x 1
		.amdhsa_system_sgpr_workgroup_id_y 0
		.amdhsa_system_sgpr_workgroup_id_z 0
		.amdhsa_system_sgpr_workgroup_info 0
		.amdhsa_system_vgpr_workitem_id 0
		.amdhsa_next_free_vgpr 1
		.amdhsa_next_free_sgpr 0
		.amdhsa_accum_offset 4
		.amdhsa_reserve_vcc 0
		.amdhsa_reserve_flat_scratch 0
		.amdhsa_float_round_mode_32 0
		.amdhsa_float_round_mode_16_64 0
		.amdhsa_float_denorm_mode_32 3
		.amdhsa_float_denorm_mode_16_64 3
		.amdhsa_dx10_clamp 1
		.amdhsa_ieee_mode 1
		.amdhsa_fp16_overflow 0
		.amdhsa_tg_split 0
		.amdhsa_exception_fp_ieee_invalid_op 0
		.amdhsa_exception_fp_denorm_src 0
		.amdhsa_exception_fp_ieee_div_zero 0
		.amdhsa_exception_fp_ieee_overflow 0
		.amdhsa_exception_fp_ieee_underflow 0
		.amdhsa_exception_fp_ieee_inexact 0
		.amdhsa_exception_int_div_zero 0
	.end_amdhsa_kernel
	.section	.text._ZN7rocprim17ROCPRIM_400000_NS6detail17trampoline_kernelINS0_14default_configENS1_22reduce_config_selectorIN6thrust23THRUST_200600_302600_NS5tupleIblNS6_9null_typeES8_S8_S8_S8_S8_S8_S8_EEEEZNS1_11reduce_implILb1ES3_NS6_12zip_iteratorINS7_INS6_11hip_rocprim26transform_input_iterator_tIbNSD_35transform_pair_of_input_iterators_tIbNS6_6detail15normal_iteratorINS6_10device_ptrIKyEEEESL_NS6_8equal_toIyEEEENSG_9not_fun_tINSD_8identityEEEEENSD_19counting_iterator_tIlEES8_S8_S8_S8_S8_S8_S8_S8_EEEEPS9_S9_NSD_9__find_if7functorIS9_EEEE10hipError_tPvRmT1_T2_T3_mT4_P12ihipStream_tbEUlT_E1_NS1_11comp_targetILNS1_3genE9ELNS1_11target_archE1100ELNS1_3gpuE3ELNS1_3repE0EEENS1_30default_config_static_selectorELNS0_4arch9wavefront6targetE1EEEvS14_,"axG",@progbits,_ZN7rocprim17ROCPRIM_400000_NS6detail17trampoline_kernelINS0_14default_configENS1_22reduce_config_selectorIN6thrust23THRUST_200600_302600_NS5tupleIblNS6_9null_typeES8_S8_S8_S8_S8_S8_S8_EEEEZNS1_11reduce_implILb1ES3_NS6_12zip_iteratorINS7_INS6_11hip_rocprim26transform_input_iterator_tIbNSD_35transform_pair_of_input_iterators_tIbNS6_6detail15normal_iteratorINS6_10device_ptrIKyEEEESL_NS6_8equal_toIyEEEENSG_9not_fun_tINSD_8identityEEEEENSD_19counting_iterator_tIlEES8_S8_S8_S8_S8_S8_S8_S8_EEEEPS9_S9_NSD_9__find_if7functorIS9_EEEE10hipError_tPvRmT1_T2_T3_mT4_P12ihipStream_tbEUlT_E1_NS1_11comp_targetILNS1_3genE9ELNS1_11target_archE1100ELNS1_3gpuE3ELNS1_3repE0EEENS1_30default_config_static_selectorELNS0_4arch9wavefront6targetE1EEEvS14_,comdat
.Lfunc_end130:
	.size	_ZN7rocprim17ROCPRIM_400000_NS6detail17trampoline_kernelINS0_14default_configENS1_22reduce_config_selectorIN6thrust23THRUST_200600_302600_NS5tupleIblNS6_9null_typeES8_S8_S8_S8_S8_S8_S8_EEEEZNS1_11reduce_implILb1ES3_NS6_12zip_iteratorINS7_INS6_11hip_rocprim26transform_input_iterator_tIbNSD_35transform_pair_of_input_iterators_tIbNS6_6detail15normal_iteratorINS6_10device_ptrIKyEEEESL_NS6_8equal_toIyEEEENSG_9not_fun_tINSD_8identityEEEEENSD_19counting_iterator_tIlEES8_S8_S8_S8_S8_S8_S8_S8_EEEEPS9_S9_NSD_9__find_if7functorIS9_EEEE10hipError_tPvRmT1_T2_T3_mT4_P12ihipStream_tbEUlT_E1_NS1_11comp_targetILNS1_3genE9ELNS1_11target_archE1100ELNS1_3gpuE3ELNS1_3repE0EEENS1_30default_config_static_selectorELNS0_4arch9wavefront6targetE1EEEvS14_, .Lfunc_end130-_ZN7rocprim17ROCPRIM_400000_NS6detail17trampoline_kernelINS0_14default_configENS1_22reduce_config_selectorIN6thrust23THRUST_200600_302600_NS5tupleIblNS6_9null_typeES8_S8_S8_S8_S8_S8_S8_EEEEZNS1_11reduce_implILb1ES3_NS6_12zip_iteratorINS7_INS6_11hip_rocprim26transform_input_iterator_tIbNSD_35transform_pair_of_input_iterators_tIbNS6_6detail15normal_iteratorINS6_10device_ptrIKyEEEESL_NS6_8equal_toIyEEEENSG_9not_fun_tINSD_8identityEEEEENSD_19counting_iterator_tIlEES8_S8_S8_S8_S8_S8_S8_S8_EEEEPS9_S9_NSD_9__find_if7functorIS9_EEEE10hipError_tPvRmT1_T2_T3_mT4_P12ihipStream_tbEUlT_E1_NS1_11comp_targetILNS1_3genE9ELNS1_11target_archE1100ELNS1_3gpuE3ELNS1_3repE0EEENS1_30default_config_static_selectorELNS0_4arch9wavefront6targetE1EEEvS14_
                                        ; -- End function
	.section	.AMDGPU.csdata,"",@progbits
; Kernel info:
; codeLenInByte = 0
; NumSgprs: 4
; NumVgprs: 0
; NumAgprs: 0
; TotalNumVgprs: 0
; ScratchSize: 0
; MemoryBound: 0
; FloatMode: 240
; IeeeMode: 1
; LDSByteSize: 0 bytes/workgroup (compile time only)
; SGPRBlocks: 0
; VGPRBlocks: 0
; NumSGPRsForWavesPerEU: 4
; NumVGPRsForWavesPerEU: 1
; AccumOffset: 4
; Occupancy: 8
; WaveLimiterHint : 0
; COMPUTE_PGM_RSRC2:SCRATCH_EN: 0
; COMPUTE_PGM_RSRC2:USER_SGPR: 6
; COMPUTE_PGM_RSRC2:TRAP_HANDLER: 0
; COMPUTE_PGM_RSRC2:TGID_X_EN: 1
; COMPUTE_PGM_RSRC2:TGID_Y_EN: 0
; COMPUTE_PGM_RSRC2:TGID_Z_EN: 0
; COMPUTE_PGM_RSRC2:TIDIG_COMP_CNT: 0
; COMPUTE_PGM_RSRC3_GFX90A:ACCUM_OFFSET: 0
; COMPUTE_PGM_RSRC3_GFX90A:TG_SPLIT: 0
	.section	.text._ZN7rocprim17ROCPRIM_400000_NS6detail17trampoline_kernelINS0_14default_configENS1_22reduce_config_selectorIN6thrust23THRUST_200600_302600_NS5tupleIblNS6_9null_typeES8_S8_S8_S8_S8_S8_S8_EEEEZNS1_11reduce_implILb1ES3_NS6_12zip_iteratorINS7_INS6_11hip_rocprim26transform_input_iterator_tIbNSD_35transform_pair_of_input_iterators_tIbNS6_6detail15normal_iteratorINS6_10device_ptrIKyEEEESL_NS6_8equal_toIyEEEENSG_9not_fun_tINSD_8identityEEEEENSD_19counting_iterator_tIlEES8_S8_S8_S8_S8_S8_S8_S8_EEEEPS9_S9_NSD_9__find_if7functorIS9_EEEE10hipError_tPvRmT1_T2_T3_mT4_P12ihipStream_tbEUlT_E1_NS1_11comp_targetILNS1_3genE8ELNS1_11target_archE1030ELNS1_3gpuE2ELNS1_3repE0EEENS1_30default_config_static_selectorELNS0_4arch9wavefront6targetE1EEEvS14_,"axG",@progbits,_ZN7rocprim17ROCPRIM_400000_NS6detail17trampoline_kernelINS0_14default_configENS1_22reduce_config_selectorIN6thrust23THRUST_200600_302600_NS5tupleIblNS6_9null_typeES8_S8_S8_S8_S8_S8_S8_EEEEZNS1_11reduce_implILb1ES3_NS6_12zip_iteratorINS7_INS6_11hip_rocprim26transform_input_iterator_tIbNSD_35transform_pair_of_input_iterators_tIbNS6_6detail15normal_iteratorINS6_10device_ptrIKyEEEESL_NS6_8equal_toIyEEEENSG_9not_fun_tINSD_8identityEEEEENSD_19counting_iterator_tIlEES8_S8_S8_S8_S8_S8_S8_S8_EEEEPS9_S9_NSD_9__find_if7functorIS9_EEEE10hipError_tPvRmT1_T2_T3_mT4_P12ihipStream_tbEUlT_E1_NS1_11comp_targetILNS1_3genE8ELNS1_11target_archE1030ELNS1_3gpuE2ELNS1_3repE0EEENS1_30default_config_static_selectorELNS0_4arch9wavefront6targetE1EEEvS14_,comdat
	.protected	_ZN7rocprim17ROCPRIM_400000_NS6detail17trampoline_kernelINS0_14default_configENS1_22reduce_config_selectorIN6thrust23THRUST_200600_302600_NS5tupleIblNS6_9null_typeES8_S8_S8_S8_S8_S8_S8_EEEEZNS1_11reduce_implILb1ES3_NS6_12zip_iteratorINS7_INS6_11hip_rocprim26transform_input_iterator_tIbNSD_35transform_pair_of_input_iterators_tIbNS6_6detail15normal_iteratorINS6_10device_ptrIKyEEEESL_NS6_8equal_toIyEEEENSG_9not_fun_tINSD_8identityEEEEENSD_19counting_iterator_tIlEES8_S8_S8_S8_S8_S8_S8_S8_EEEEPS9_S9_NSD_9__find_if7functorIS9_EEEE10hipError_tPvRmT1_T2_T3_mT4_P12ihipStream_tbEUlT_E1_NS1_11comp_targetILNS1_3genE8ELNS1_11target_archE1030ELNS1_3gpuE2ELNS1_3repE0EEENS1_30default_config_static_selectorELNS0_4arch9wavefront6targetE1EEEvS14_ ; -- Begin function _ZN7rocprim17ROCPRIM_400000_NS6detail17trampoline_kernelINS0_14default_configENS1_22reduce_config_selectorIN6thrust23THRUST_200600_302600_NS5tupleIblNS6_9null_typeES8_S8_S8_S8_S8_S8_S8_EEEEZNS1_11reduce_implILb1ES3_NS6_12zip_iteratorINS7_INS6_11hip_rocprim26transform_input_iterator_tIbNSD_35transform_pair_of_input_iterators_tIbNS6_6detail15normal_iteratorINS6_10device_ptrIKyEEEESL_NS6_8equal_toIyEEEENSG_9not_fun_tINSD_8identityEEEEENSD_19counting_iterator_tIlEES8_S8_S8_S8_S8_S8_S8_S8_EEEEPS9_S9_NSD_9__find_if7functorIS9_EEEE10hipError_tPvRmT1_T2_T3_mT4_P12ihipStream_tbEUlT_E1_NS1_11comp_targetILNS1_3genE8ELNS1_11target_archE1030ELNS1_3gpuE2ELNS1_3repE0EEENS1_30default_config_static_selectorELNS0_4arch9wavefront6targetE1EEEvS14_
	.globl	_ZN7rocprim17ROCPRIM_400000_NS6detail17trampoline_kernelINS0_14default_configENS1_22reduce_config_selectorIN6thrust23THRUST_200600_302600_NS5tupleIblNS6_9null_typeES8_S8_S8_S8_S8_S8_S8_EEEEZNS1_11reduce_implILb1ES3_NS6_12zip_iteratorINS7_INS6_11hip_rocprim26transform_input_iterator_tIbNSD_35transform_pair_of_input_iterators_tIbNS6_6detail15normal_iteratorINS6_10device_ptrIKyEEEESL_NS6_8equal_toIyEEEENSG_9not_fun_tINSD_8identityEEEEENSD_19counting_iterator_tIlEES8_S8_S8_S8_S8_S8_S8_S8_EEEEPS9_S9_NSD_9__find_if7functorIS9_EEEE10hipError_tPvRmT1_T2_T3_mT4_P12ihipStream_tbEUlT_E1_NS1_11comp_targetILNS1_3genE8ELNS1_11target_archE1030ELNS1_3gpuE2ELNS1_3repE0EEENS1_30default_config_static_selectorELNS0_4arch9wavefront6targetE1EEEvS14_
	.p2align	8
	.type	_ZN7rocprim17ROCPRIM_400000_NS6detail17trampoline_kernelINS0_14default_configENS1_22reduce_config_selectorIN6thrust23THRUST_200600_302600_NS5tupleIblNS6_9null_typeES8_S8_S8_S8_S8_S8_S8_EEEEZNS1_11reduce_implILb1ES3_NS6_12zip_iteratorINS7_INS6_11hip_rocprim26transform_input_iterator_tIbNSD_35transform_pair_of_input_iterators_tIbNS6_6detail15normal_iteratorINS6_10device_ptrIKyEEEESL_NS6_8equal_toIyEEEENSG_9not_fun_tINSD_8identityEEEEENSD_19counting_iterator_tIlEES8_S8_S8_S8_S8_S8_S8_S8_EEEEPS9_S9_NSD_9__find_if7functorIS9_EEEE10hipError_tPvRmT1_T2_T3_mT4_P12ihipStream_tbEUlT_E1_NS1_11comp_targetILNS1_3genE8ELNS1_11target_archE1030ELNS1_3gpuE2ELNS1_3repE0EEENS1_30default_config_static_selectorELNS0_4arch9wavefront6targetE1EEEvS14_,@function
_ZN7rocprim17ROCPRIM_400000_NS6detail17trampoline_kernelINS0_14default_configENS1_22reduce_config_selectorIN6thrust23THRUST_200600_302600_NS5tupleIblNS6_9null_typeES8_S8_S8_S8_S8_S8_S8_EEEEZNS1_11reduce_implILb1ES3_NS6_12zip_iteratorINS7_INS6_11hip_rocprim26transform_input_iterator_tIbNSD_35transform_pair_of_input_iterators_tIbNS6_6detail15normal_iteratorINS6_10device_ptrIKyEEEESL_NS6_8equal_toIyEEEENSG_9not_fun_tINSD_8identityEEEEENSD_19counting_iterator_tIlEES8_S8_S8_S8_S8_S8_S8_S8_EEEEPS9_S9_NSD_9__find_if7functorIS9_EEEE10hipError_tPvRmT1_T2_T3_mT4_P12ihipStream_tbEUlT_E1_NS1_11comp_targetILNS1_3genE8ELNS1_11target_archE1030ELNS1_3gpuE2ELNS1_3repE0EEENS1_30default_config_static_selectorELNS0_4arch9wavefront6targetE1EEEvS14_: ; @_ZN7rocprim17ROCPRIM_400000_NS6detail17trampoline_kernelINS0_14default_configENS1_22reduce_config_selectorIN6thrust23THRUST_200600_302600_NS5tupleIblNS6_9null_typeES8_S8_S8_S8_S8_S8_S8_EEEEZNS1_11reduce_implILb1ES3_NS6_12zip_iteratorINS7_INS6_11hip_rocprim26transform_input_iterator_tIbNSD_35transform_pair_of_input_iterators_tIbNS6_6detail15normal_iteratorINS6_10device_ptrIKyEEEESL_NS6_8equal_toIyEEEENSG_9not_fun_tINSD_8identityEEEEENSD_19counting_iterator_tIlEES8_S8_S8_S8_S8_S8_S8_S8_EEEEPS9_S9_NSD_9__find_if7functorIS9_EEEE10hipError_tPvRmT1_T2_T3_mT4_P12ihipStream_tbEUlT_E1_NS1_11comp_targetILNS1_3genE8ELNS1_11target_archE1030ELNS1_3gpuE2ELNS1_3repE0EEENS1_30default_config_static_selectorELNS0_4arch9wavefront6targetE1EEEvS14_
; %bb.0:
	.section	.rodata,"a",@progbits
	.p2align	6, 0x0
	.amdhsa_kernel _ZN7rocprim17ROCPRIM_400000_NS6detail17trampoline_kernelINS0_14default_configENS1_22reduce_config_selectorIN6thrust23THRUST_200600_302600_NS5tupleIblNS6_9null_typeES8_S8_S8_S8_S8_S8_S8_EEEEZNS1_11reduce_implILb1ES3_NS6_12zip_iteratorINS7_INS6_11hip_rocprim26transform_input_iterator_tIbNSD_35transform_pair_of_input_iterators_tIbNS6_6detail15normal_iteratorINS6_10device_ptrIKyEEEESL_NS6_8equal_toIyEEEENSG_9not_fun_tINSD_8identityEEEEENSD_19counting_iterator_tIlEES8_S8_S8_S8_S8_S8_S8_S8_EEEEPS9_S9_NSD_9__find_if7functorIS9_EEEE10hipError_tPvRmT1_T2_T3_mT4_P12ihipStream_tbEUlT_E1_NS1_11comp_targetILNS1_3genE8ELNS1_11target_archE1030ELNS1_3gpuE2ELNS1_3repE0EEENS1_30default_config_static_selectorELNS0_4arch9wavefront6targetE1EEEvS14_
		.amdhsa_group_segment_fixed_size 0
		.amdhsa_private_segment_fixed_size 0
		.amdhsa_kernarg_size 88
		.amdhsa_user_sgpr_count 6
		.amdhsa_user_sgpr_private_segment_buffer 1
		.amdhsa_user_sgpr_dispatch_ptr 0
		.amdhsa_user_sgpr_queue_ptr 0
		.amdhsa_user_sgpr_kernarg_segment_ptr 1
		.amdhsa_user_sgpr_dispatch_id 0
		.amdhsa_user_sgpr_flat_scratch_init 0
		.amdhsa_user_sgpr_kernarg_preload_length 0
		.amdhsa_user_sgpr_kernarg_preload_offset 0
		.amdhsa_user_sgpr_private_segment_size 0
		.amdhsa_uses_dynamic_stack 0
		.amdhsa_system_sgpr_private_segment_wavefront_offset 0
		.amdhsa_system_sgpr_workgroup_id_x 1
		.amdhsa_system_sgpr_workgroup_id_y 0
		.amdhsa_system_sgpr_workgroup_id_z 0
		.amdhsa_system_sgpr_workgroup_info 0
		.amdhsa_system_vgpr_workitem_id 0
		.amdhsa_next_free_vgpr 1
		.amdhsa_next_free_sgpr 0
		.amdhsa_accum_offset 4
		.amdhsa_reserve_vcc 0
		.amdhsa_reserve_flat_scratch 0
		.amdhsa_float_round_mode_32 0
		.amdhsa_float_round_mode_16_64 0
		.amdhsa_float_denorm_mode_32 3
		.amdhsa_float_denorm_mode_16_64 3
		.amdhsa_dx10_clamp 1
		.amdhsa_ieee_mode 1
		.amdhsa_fp16_overflow 0
		.amdhsa_tg_split 0
		.amdhsa_exception_fp_ieee_invalid_op 0
		.amdhsa_exception_fp_denorm_src 0
		.amdhsa_exception_fp_ieee_div_zero 0
		.amdhsa_exception_fp_ieee_overflow 0
		.amdhsa_exception_fp_ieee_underflow 0
		.amdhsa_exception_fp_ieee_inexact 0
		.amdhsa_exception_int_div_zero 0
	.end_amdhsa_kernel
	.section	.text._ZN7rocprim17ROCPRIM_400000_NS6detail17trampoline_kernelINS0_14default_configENS1_22reduce_config_selectorIN6thrust23THRUST_200600_302600_NS5tupleIblNS6_9null_typeES8_S8_S8_S8_S8_S8_S8_EEEEZNS1_11reduce_implILb1ES3_NS6_12zip_iteratorINS7_INS6_11hip_rocprim26transform_input_iterator_tIbNSD_35transform_pair_of_input_iterators_tIbNS6_6detail15normal_iteratorINS6_10device_ptrIKyEEEESL_NS6_8equal_toIyEEEENSG_9not_fun_tINSD_8identityEEEEENSD_19counting_iterator_tIlEES8_S8_S8_S8_S8_S8_S8_S8_EEEEPS9_S9_NSD_9__find_if7functorIS9_EEEE10hipError_tPvRmT1_T2_T3_mT4_P12ihipStream_tbEUlT_E1_NS1_11comp_targetILNS1_3genE8ELNS1_11target_archE1030ELNS1_3gpuE2ELNS1_3repE0EEENS1_30default_config_static_selectorELNS0_4arch9wavefront6targetE1EEEvS14_,"axG",@progbits,_ZN7rocprim17ROCPRIM_400000_NS6detail17trampoline_kernelINS0_14default_configENS1_22reduce_config_selectorIN6thrust23THRUST_200600_302600_NS5tupleIblNS6_9null_typeES8_S8_S8_S8_S8_S8_S8_EEEEZNS1_11reduce_implILb1ES3_NS6_12zip_iteratorINS7_INS6_11hip_rocprim26transform_input_iterator_tIbNSD_35transform_pair_of_input_iterators_tIbNS6_6detail15normal_iteratorINS6_10device_ptrIKyEEEESL_NS6_8equal_toIyEEEENSG_9not_fun_tINSD_8identityEEEEENSD_19counting_iterator_tIlEES8_S8_S8_S8_S8_S8_S8_S8_EEEEPS9_S9_NSD_9__find_if7functorIS9_EEEE10hipError_tPvRmT1_T2_T3_mT4_P12ihipStream_tbEUlT_E1_NS1_11comp_targetILNS1_3genE8ELNS1_11target_archE1030ELNS1_3gpuE2ELNS1_3repE0EEENS1_30default_config_static_selectorELNS0_4arch9wavefront6targetE1EEEvS14_,comdat
.Lfunc_end131:
	.size	_ZN7rocprim17ROCPRIM_400000_NS6detail17trampoline_kernelINS0_14default_configENS1_22reduce_config_selectorIN6thrust23THRUST_200600_302600_NS5tupleIblNS6_9null_typeES8_S8_S8_S8_S8_S8_S8_EEEEZNS1_11reduce_implILb1ES3_NS6_12zip_iteratorINS7_INS6_11hip_rocprim26transform_input_iterator_tIbNSD_35transform_pair_of_input_iterators_tIbNS6_6detail15normal_iteratorINS6_10device_ptrIKyEEEESL_NS6_8equal_toIyEEEENSG_9not_fun_tINSD_8identityEEEEENSD_19counting_iterator_tIlEES8_S8_S8_S8_S8_S8_S8_S8_EEEEPS9_S9_NSD_9__find_if7functorIS9_EEEE10hipError_tPvRmT1_T2_T3_mT4_P12ihipStream_tbEUlT_E1_NS1_11comp_targetILNS1_3genE8ELNS1_11target_archE1030ELNS1_3gpuE2ELNS1_3repE0EEENS1_30default_config_static_selectorELNS0_4arch9wavefront6targetE1EEEvS14_, .Lfunc_end131-_ZN7rocprim17ROCPRIM_400000_NS6detail17trampoline_kernelINS0_14default_configENS1_22reduce_config_selectorIN6thrust23THRUST_200600_302600_NS5tupleIblNS6_9null_typeES8_S8_S8_S8_S8_S8_S8_EEEEZNS1_11reduce_implILb1ES3_NS6_12zip_iteratorINS7_INS6_11hip_rocprim26transform_input_iterator_tIbNSD_35transform_pair_of_input_iterators_tIbNS6_6detail15normal_iteratorINS6_10device_ptrIKyEEEESL_NS6_8equal_toIyEEEENSG_9not_fun_tINSD_8identityEEEEENSD_19counting_iterator_tIlEES8_S8_S8_S8_S8_S8_S8_S8_EEEEPS9_S9_NSD_9__find_if7functorIS9_EEEE10hipError_tPvRmT1_T2_T3_mT4_P12ihipStream_tbEUlT_E1_NS1_11comp_targetILNS1_3genE8ELNS1_11target_archE1030ELNS1_3gpuE2ELNS1_3repE0EEENS1_30default_config_static_selectorELNS0_4arch9wavefront6targetE1EEEvS14_
                                        ; -- End function
	.section	.AMDGPU.csdata,"",@progbits
; Kernel info:
; codeLenInByte = 0
; NumSgprs: 4
; NumVgprs: 0
; NumAgprs: 0
; TotalNumVgprs: 0
; ScratchSize: 0
; MemoryBound: 0
; FloatMode: 240
; IeeeMode: 1
; LDSByteSize: 0 bytes/workgroup (compile time only)
; SGPRBlocks: 0
; VGPRBlocks: 0
; NumSGPRsForWavesPerEU: 4
; NumVGPRsForWavesPerEU: 1
; AccumOffset: 4
; Occupancy: 8
; WaveLimiterHint : 0
; COMPUTE_PGM_RSRC2:SCRATCH_EN: 0
; COMPUTE_PGM_RSRC2:USER_SGPR: 6
; COMPUTE_PGM_RSRC2:TRAP_HANDLER: 0
; COMPUTE_PGM_RSRC2:TGID_X_EN: 1
; COMPUTE_PGM_RSRC2:TGID_Y_EN: 0
; COMPUTE_PGM_RSRC2:TGID_Z_EN: 0
; COMPUTE_PGM_RSRC2:TIDIG_COMP_CNT: 0
; COMPUTE_PGM_RSRC3_GFX90A:ACCUM_OFFSET: 0
; COMPUTE_PGM_RSRC3_GFX90A:TG_SPLIT: 0
	.section	.text._ZN6thrust23THRUST_200600_302600_NS11hip_rocprim14__parallel_for6kernelILj256ENS1_20__uninitialized_fill7functorINS0_10device_ptrIjEEjEEmLj1EEEvT0_T1_SA_,"axG",@progbits,_ZN6thrust23THRUST_200600_302600_NS11hip_rocprim14__parallel_for6kernelILj256ENS1_20__uninitialized_fill7functorINS0_10device_ptrIjEEjEEmLj1EEEvT0_T1_SA_,comdat
	.protected	_ZN6thrust23THRUST_200600_302600_NS11hip_rocprim14__parallel_for6kernelILj256ENS1_20__uninitialized_fill7functorINS0_10device_ptrIjEEjEEmLj1EEEvT0_T1_SA_ ; -- Begin function _ZN6thrust23THRUST_200600_302600_NS11hip_rocprim14__parallel_for6kernelILj256ENS1_20__uninitialized_fill7functorINS0_10device_ptrIjEEjEEmLj1EEEvT0_T1_SA_
	.globl	_ZN6thrust23THRUST_200600_302600_NS11hip_rocprim14__parallel_for6kernelILj256ENS1_20__uninitialized_fill7functorINS0_10device_ptrIjEEjEEmLj1EEEvT0_T1_SA_
	.p2align	8
	.type	_ZN6thrust23THRUST_200600_302600_NS11hip_rocprim14__parallel_for6kernelILj256ENS1_20__uninitialized_fill7functorINS0_10device_ptrIjEEjEEmLj1EEEvT0_T1_SA_,@function
_ZN6thrust23THRUST_200600_302600_NS11hip_rocprim14__parallel_for6kernelILj256ENS1_20__uninitialized_fill7functorINS0_10device_ptrIjEEjEEmLj1EEEvT0_T1_SA_: ; @_ZN6thrust23THRUST_200600_302600_NS11hip_rocprim14__parallel_for6kernelILj256ENS1_20__uninitialized_fill7functorINS0_10device_ptrIjEEjEEmLj1EEEvT0_T1_SA_
; %bb.0:
	s_load_dwordx4 s[8:11], s[4:5], 0x10
	s_lshl_b32 s0, s6, 8
	v_mov_b32_e32 v2, 0x100
	v_mov_b32_e32 v3, 0
	s_waitcnt lgkmcnt(0)
	s_add_u32 s0, s0, s10
	s_addc_u32 s1, 0, s11
	s_sub_u32 s2, s8, s0
	s_subb_u32 s3, s9, s1
	v_cmp_lt_u64_e32 vcc, s[2:3], v[2:3]
	s_cbranch_vccz .LBB132_2
; %bb.1:
	v_cmp_gt_u32_e32 vcc, s2, v0
	s_and_b64 s[2:3], vcc, exec
	s_cbranch_execz .LBB132_3
	s_branch .LBB132_4
.LBB132_2:
	s_mov_b64 s[2:3], 0
.LBB132_3:
	s_or_b64 s[2:3], s[2:3], exec
.LBB132_4:
	s_and_saveexec_b64 s[6:7], s[2:3]
	s_cbranch_execnz .LBB132_6
; %bb.5:
	s_endpgm
.LBB132_6:
	s_load_dwordx2 s[2:3], s[4:5], 0x0
	s_load_dword s6, s[4:5], 0x8
	s_lshl_b64 s[0:1], s[0:1], 2
	v_mov_b32_e32 v1, 0
	v_lshlrev_b64 v[0:1], 2, v[0:1]
	s_waitcnt lgkmcnt(0)
	s_add_u32 s0, s2, s0
	s_addc_u32 s1, s3, s1
	v_mov_b32_e32 v2, s1
	v_add_co_u32_e32 v0, vcc, s0, v0
	v_addc_co_u32_e32 v1, vcc, v2, v1, vcc
	v_mov_b32_e32 v2, s6
	flat_store_dword v[0:1], v2
	s_endpgm
	.section	.rodata,"a",@progbits
	.p2align	6, 0x0
	.amdhsa_kernel _ZN6thrust23THRUST_200600_302600_NS11hip_rocprim14__parallel_for6kernelILj256ENS1_20__uninitialized_fill7functorINS0_10device_ptrIjEEjEEmLj1EEEvT0_T1_SA_
		.amdhsa_group_segment_fixed_size 0
		.amdhsa_private_segment_fixed_size 0
		.amdhsa_kernarg_size 32
		.amdhsa_user_sgpr_count 6
		.amdhsa_user_sgpr_private_segment_buffer 1
		.amdhsa_user_sgpr_dispatch_ptr 0
		.amdhsa_user_sgpr_queue_ptr 0
		.amdhsa_user_sgpr_kernarg_segment_ptr 1
		.amdhsa_user_sgpr_dispatch_id 0
		.amdhsa_user_sgpr_flat_scratch_init 0
		.amdhsa_user_sgpr_kernarg_preload_length 0
		.amdhsa_user_sgpr_kernarg_preload_offset 0
		.amdhsa_user_sgpr_private_segment_size 0
		.amdhsa_uses_dynamic_stack 0
		.amdhsa_system_sgpr_private_segment_wavefront_offset 0
		.amdhsa_system_sgpr_workgroup_id_x 1
		.amdhsa_system_sgpr_workgroup_id_y 0
		.amdhsa_system_sgpr_workgroup_id_z 0
		.amdhsa_system_sgpr_workgroup_info 0
		.amdhsa_system_vgpr_workitem_id 0
		.amdhsa_next_free_vgpr 4
		.amdhsa_next_free_sgpr 12
		.amdhsa_accum_offset 4
		.amdhsa_reserve_vcc 1
		.amdhsa_reserve_flat_scratch 0
		.amdhsa_float_round_mode_32 0
		.amdhsa_float_round_mode_16_64 0
		.amdhsa_float_denorm_mode_32 3
		.amdhsa_float_denorm_mode_16_64 3
		.amdhsa_dx10_clamp 1
		.amdhsa_ieee_mode 1
		.amdhsa_fp16_overflow 0
		.amdhsa_tg_split 0
		.amdhsa_exception_fp_ieee_invalid_op 0
		.amdhsa_exception_fp_denorm_src 0
		.amdhsa_exception_fp_ieee_div_zero 0
		.amdhsa_exception_fp_ieee_overflow 0
		.amdhsa_exception_fp_ieee_underflow 0
		.amdhsa_exception_fp_ieee_inexact 0
		.amdhsa_exception_int_div_zero 0
	.end_amdhsa_kernel
	.section	.text._ZN6thrust23THRUST_200600_302600_NS11hip_rocprim14__parallel_for6kernelILj256ENS1_20__uninitialized_fill7functorINS0_10device_ptrIjEEjEEmLj1EEEvT0_T1_SA_,"axG",@progbits,_ZN6thrust23THRUST_200600_302600_NS11hip_rocprim14__parallel_for6kernelILj256ENS1_20__uninitialized_fill7functorINS0_10device_ptrIjEEjEEmLj1EEEvT0_T1_SA_,comdat
.Lfunc_end132:
	.size	_ZN6thrust23THRUST_200600_302600_NS11hip_rocprim14__parallel_for6kernelILj256ENS1_20__uninitialized_fill7functorINS0_10device_ptrIjEEjEEmLj1EEEvT0_T1_SA_, .Lfunc_end132-_ZN6thrust23THRUST_200600_302600_NS11hip_rocprim14__parallel_for6kernelILj256ENS1_20__uninitialized_fill7functorINS0_10device_ptrIjEEjEEmLj1EEEvT0_T1_SA_
                                        ; -- End function
	.section	.AMDGPU.csdata,"",@progbits
; Kernel info:
; codeLenInByte = 160
; NumSgprs: 16
; NumVgprs: 4
; NumAgprs: 0
; TotalNumVgprs: 4
; ScratchSize: 0
; MemoryBound: 0
; FloatMode: 240
; IeeeMode: 1
; LDSByteSize: 0 bytes/workgroup (compile time only)
; SGPRBlocks: 1
; VGPRBlocks: 0
; NumSGPRsForWavesPerEU: 16
; NumVGPRsForWavesPerEU: 4
; AccumOffset: 4
; Occupancy: 8
; WaveLimiterHint : 0
; COMPUTE_PGM_RSRC2:SCRATCH_EN: 0
; COMPUTE_PGM_RSRC2:USER_SGPR: 6
; COMPUTE_PGM_RSRC2:TRAP_HANDLER: 0
; COMPUTE_PGM_RSRC2:TGID_X_EN: 1
; COMPUTE_PGM_RSRC2:TGID_Y_EN: 0
; COMPUTE_PGM_RSRC2:TGID_Z_EN: 0
; COMPUTE_PGM_RSRC2:TIDIG_COMP_CNT: 0
; COMPUTE_PGM_RSRC3_GFX90A:ACCUM_OFFSET: 0
; COMPUTE_PGM_RSRC3_GFX90A:TG_SPLIT: 0
	.section	.text._ZN7rocprim17ROCPRIM_400000_NS6detail17trampoline_kernelINS0_14default_configENS1_21merge_config_selectorIjNS0_10empty_typeEEEZNS1_10merge_implIS3_N6thrust23THRUST_200600_302600_NS6detail15normal_iteratorINS9_10device_ptrIKjEEEESF_NSB_INSC_IjEEEEPS5_SI_SI_NS9_4lessIjEEEE10hipError_tPvRmT0_T1_T2_T3_T4_T5_mmT6_P12ihipStream_tbEUlT_E_NS1_11comp_targetILNS1_3genE0ELNS1_11target_archE4294967295ELNS1_3gpuE0ELNS1_3repE0EEENS1_30default_config_static_selectorELNS0_4arch9wavefront6targetE1EEEvSP_,"axG",@progbits,_ZN7rocprim17ROCPRIM_400000_NS6detail17trampoline_kernelINS0_14default_configENS1_21merge_config_selectorIjNS0_10empty_typeEEEZNS1_10merge_implIS3_N6thrust23THRUST_200600_302600_NS6detail15normal_iteratorINS9_10device_ptrIKjEEEESF_NSB_INSC_IjEEEEPS5_SI_SI_NS9_4lessIjEEEE10hipError_tPvRmT0_T1_T2_T3_T4_T5_mmT6_P12ihipStream_tbEUlT_E_NS1_11comp_targetILNS1_3genE0ELNS1_11target_archE4294967295ELNS1_3gpuE0ELNS1_3repE0EEENS1_30default_config_static_selectorELNS0_4arch9wavefront6targetE1EEEvSP_,comdat
	.protected	_ZN7rocprim17ROCPRIM_400000_NS6detail17trampoline_kernelINS0_14default_configENS1_21merge_config_selectorIjNS0_10empty_typeEEEZNS1_10merge_implIS3_N6thrust23THRUST_200600_302600_NS6detail15normal_iteratorINS9_10device_ptrIKjEEEESF_NSB_INSC_IjEEEEPS5_SI_SI_NS9_4lessIjEEEE10hipError_tPvRmT0_T1_T2_T3_T4_T5_mmT6_P12ihipStream_tbEUlT_E_NS1_11comp_targetILNS1_3genE0ELNS1_11target_archE4294967295ELNS1_3gpuE0ELNS1_3repE0EEENS1_30default_config_static_selectorELNS0_4arch9wavefront6targetE1EEEvSP_ ; -- Begin function _ZN7rocprim17ROCPRIM_400000_NS6detail17trampoline_kernelINS0_14default_configENS1_21merge_config_selectorIjNS0_10empty_typeEEEZNS1_10merge_implIS3_N6thrust23THRUST_200600_302600_NS6detail15normal_iteratorINS9_10device_ptrIKjEEEESF_NSB_INSC_IjEEEEPS5_SI_SI_NS9_4lessIjEEEE10hipError_tPvRmT0_T1_T2_T3_T4_T5_mmT6_P12ihipStream_tbEUlT_E_NS1_11comp_targetILNS1_3genE0ELNS1_11target_archE4294967295ELNS1_3gpuE0ELNS1_3repE0EEENS1_30default_config_static_selectorELNS0_4arch9wavefront6targetE1EEEvSP_
	.globl	_ZN7rocprim17ROCPRIM_400000_NS6detail17trampoline_kernelINS0_14default_configENS1_21merge_config_selectorIjNS0_10empty_typeEEEZNS1_10merge_implIS3_N6thrust23THRUST_200600_302600_NS6detail15normal_iteratorINS9_10device_ptrIKjEEEESF_NSB_INSC_IjEEEEPS5_SI_SI_NS9_4lessIjEEEE10hipError_tPvRmT0_T1_T2_T3_T4_T5_mmT6_P12ihipStream_tbEUlT_E_NS1_11comp_targetILNS1_3genE0ELNS1_11target_archE4294967295ELNS1_3gpuE0ELNS1_3repE0EEENS1_30default_config_static_selectorELNS0_4arch9wavefront6targetE1EEEvSP_
	.p2align	8
	.type	_ZN7rocprim17ROCPRIM_400000_NS6detail17trampoline_kernelINS0_14default_configENS1_21merge_config_selectorIjNS0_10empty_typeEEEZNS1_10merge_implIS3_N6thrust23THRUST_200600_302600_NS6detail15normal_iteratorINS9_10device_ptrIKjEEEESF_NSB_INSC_IjEEEEPS5_SI_SI_NS9_4lessIjEEEE10hipError_tPvRmT0_T1_T2_T3_T4_T5_mmT6_P12ihipStream_tbEUlT_E_NS1_11comp_targetILNS1_3genE0ELNS1_11target_archE4294967295ELNS1_3gpuE0ELNS1_3repE0EEENS1_30default_config_static_selectorELNS0_4arch9wavefront6targetE1EEEvSP_,@function
_ZN7rocprim17ROCPRIM_400000_NS6detail17trampoline_kernelINS0_14default_configENS1_21merge_config_selectorIjNS0_10empty_typeEEEZNS1_10merge_implIS3_N6thrust23THRUST_200600_302600_NS6detail15normal_iteratorINS9_10device_ptrIKjEEEESF_NSB_INSC_IjEEEEPS5_SI_SI_NS9_4lessIjEEEE10hipError_tPvRmT0_T1_T2_T3_T4_T5_mmT6_P12ihipStream_tbEUlT_E_NS1_11comp_targetILNS1_3genE0ELNS1_11target_archE4294967295ELNS1_3gpuE0ELNS1_3repE0EEENS1_30default_config_static_selectorELNS0_4arch9wavefront6targetE1EEEvSP_: ; @_ZN7rocprim17ROCPRIM_400000_NS6detail17trampoline_kernelINS0_14default_configENS1_21merge_config_selectorIjNS0_10empty_typeEEEZNS1_10merge_implIS3_N6thrust23THRUST_200600_302600_NS6detail15normal_iteratorINS9_10device_ptrIKjEEEESF_NSB_INSC_IjEEEEPS5_SI_SI_NS9_4lessIjEEEE10hipError_tPvRmT0_T1_T2_T3_T4_T5_mmT6_P12ihipStream_tbEUlT_E_NS1_11comp_targetILNS1_3genE0ELNS1_11target_archE4294967295ELNS1_3gpuE0ELNS1_3repE0EEENS1_30default_config_static_selectorELNS0_4arch9wavefront6targetE1EEEvSP_
; %bb.0:
	.section	.rodata,"a",@progbits
	.p2align	6, 0x0
	.amdhsa_kernel _ZN7rocprim17ROCPRIM_400000_NS6detail17trampoline_kernelINS0_14default_configENS1_21merge_config_selectorIjNS0_10empty_typeEEEZNS1_10merge_implIS3_N6thrust23THRUST_200600_302600_NS6detail15normal_iteratorINS9_10device_ptrIKjEEEESF_NSB_INSC_IjEEEEPS5_SI_SI_NS9_4lessIjEEEE10hipError_tPvRmT0_T1_T2_T3_T4_T5_mmT6_P12ihipStream_tbEUlT_E_NS1_11comp_targetILNS1_3genE0ELNS1_11target_archE4294967295ELNS1_3gpuE0ELNS1_3repE0EEENS1_30default_config_static_selectorELNS0_4arch9wavefront6targetE1EEEvSP_
		.amdhsa_group_segment_fixed_size 0
		.amdhsa_private_segment_fixed_size 0
		.amdhsa_kernarg_size 48
		.amdhsa_user_sgpr_count 6
		.amdhsa_user_sgpr_private_segment_buffer 1
		.amdhsa_user_sgpr_dispatch_ptr 0
		.amdhsa_user_sgpr_queue_ptr 0
		.amdhsa_user_sgpr_kernarg_segment_ptr 1
		.amdhsa_user_sgpr_dispatch_id 0
		.amdhsa_user_sgpr_flat_scratch_init 0
		.amdhsa_user_sgpr_kernarg_preload_length 0
		.amdhsa_user_sgpr_kernarg_preload_offset 0
		.amdhsa_user_sgpr_private_segment_size 0
		.amdhsa_uses_dynamic_stack 0
		.amdhsa_system_sgpr_private_segment_wavefront_offset 0
		.amdhsa_system_sgpr_workgroup_id_x 1
		.amdhsa_system_sgpr_workgroup_id_y 0
		.amdhsa_system_sgpr_workgroup_id_z 0
		.amdhsa_system_sgpr_workgroup_info 0
		.amdhsa_system_vgpr_workitem_id 0
		.amdhsa_next_free_vgpr 1
		.amdhsa_next_free_sgpr 0
		.amdhsa_accum_offset 4
		.amdhsa_reserve_vcc 0
		.amdhsa_reserve_flat_scratch 0
		.amdhsa_float_round_mode_32 0
		.amdhsa_float_round_mode_16_64 0
		.amdhsa_float_denorm_mode_32 3
		.amdhsa_float_denorm_mode_16_64 3
		.amdhsa_dx10_clamp 1
		.amdhsa_ieee_mode 1
		.amdhsa_fp16_overflow 0
		.amdhsa_tg_split 0
		.amdhsa_exception_fp_ieee_invalid_op 0
		.amdhsa_exception_fp_denorm_src 0
		.amdhsa_exception_fp_ieee_div_zero 0
		.amdhsa_exception_fp_ieee_overflow 0
		.amdhsa_exception_fp_ieee_underflow 0
		.amdhsa_exception_fp_ieee_inexact 0
		.amdhsa_exception_int_div_zero 0
	.end_amdhsa_kernel
	.section	.text._ZN7rocprim17ROCPRIM_400000_NS6detail17trampoline_kernelINS0_14default_configENS1_21merge_config_selectorIjNS0_10empty_typeEEEZNS1_10merge_implIS3_N6thrust23THRUST_200600_302600_NS6detail15normal_iteratorINS9_10device_ptrIKjEEEESF_NSB_INSC_IjEEEEPS5_SI_SI_NS9_4lessIjEEEE10hipError_tPvRmT0_T1_T2_T3_T4_T5_mmT6_P12ihipStream_tbEUlT_E_NS1_11comp_targetILNS1_3genE0ELNS1_11target_archE4294967295ELNS1_3gpuE0ELNS1_3repE0EEENS1_30default_config_static_selectorELNS0_4arch9wavefront6targetE1EEEvSP_,"axG",@progbits,_ZN7rocprim17ROCPRIM_400000_NS6detail17trampoline_kernelINS0_14default_configENS1_21merge_config_selectorIjNS0_10empty_typeEEEZNS1_10merge_implIS3_N6thrust23THRUST_200600_302600_NS6detail15normal_iteratorINS9_10device_ptrIKjEEEESF_NSB_INSC_IjEEEEPS5_SI_SI_NS9_4lessIjEEEE10hipError_tPvRmT0_T1_T2_T3_T4_T5_mmT6_P12ihipStream_tbEUlT_E_NS1_11comp_targetILNS1_3genE0ELNS1_11target_archE4294967295ELNS1_3gpuE0ELNS1_3repE0EEENS1_30default_config_static_selectorELNS0_4arch9wavefront6targetE1EEEvSP_,comdat
.Lfunc_end133:
	.size	_ZN7rocprim17ROCPRIM_400000_NS6detail17trampoline_kernelINS0_14default_configENS1_21merge_config_selectorIjNS0_10empty_typeEEEZNS1_10merge_implIS3_N6thrust23THRUST_200600_302600_NS6detail15normal_iteratorINS9_10device_ptrIKjEEEESF_NSB_INSC_IjEEEEPS5_SI_SI_NS9_4lessIjEEEE10hipError_tPvRmT0_T1_T2_T3_T4_T5_mmT6_P12ihipStream_tbEUlT_E_NS1_11comp_targetILNS1_3genE0ELNS1_11target_archE4294967295ELNS1_3gpuE0ELNS1_3repE0EEENS1_30default_config_static_selectorELNS0_4arch9wavefront6targetE1EEEvSP_, .Lfunc_end133-_ZN7rocprim17ROCPRIM_400000_NS6detail17trampoline_kernelINS0_14default_configENS1_21merge_config_selectorIjNS0_10empty_typeEEEZNS1_10merge_implIS3_N6thrust23THRUST_200600_302600_NS6detail15normal_iteratorINS9_10device_ptrIKjEEEESF_NSB_INSC_IjEEEEPS5_SI_SI_NS9_4lessIjEEEE10hipError_tPvRmT0_T1_T2_T3_T4_T5_mmT6_P12ihipStream_tbEUlT_E_NS1_11comp_targetILNS1_3genE0ELNS1_11target_archE4294967295ELNS1_3gpuE0ELNS1_3repE0EEENS1_30default_config_static_selectorELNS0_4arch9wavefront6targetE1EEEvSP_
                                        ; -- End function
	.section	.AMDGPU.csdata,"",@progbits
; Kernel info:
; codeLenInByte = 0
; NumSgprs: 4
; NumVgprs: 0
; NumAgprs: 0
; TotalNumVgprs: 0
; ScratchSize: 0
; MemoryBound: 0
; FloatMode: 240
; IeeeMode: 1
; LDSByteSize: 0 bytes/workgroup (compile time only)
; SGPRBlocks: 0
; VGPRBlocks: 0
; NumSGPRsForWavesPerEU: 4
; NumVGPRsForWavesPerEU: 1
; AccumOffset: 4
; Occupancy: 8
; WaveLimiterHint : 0
; COMPUTE_PGM_RSRC2:SCRATCH_EN: 0
; COMPUTE_PGM_RSRC2:USER_SGPR: 6
; COMPUTE_PGM_RSRC2:TRAP_HANDLER: 0
; COMPUTE_PGM_RSRC2:TGID_X_EN: 1
; COMPUTE_PGM_RSRC2:TGID_Y_EN: 0
; COMPUTE_PGM_RSRC2:TGID_Z_EN: 0
; COMPUTE_PGM_RSRC2:TIDIG_COMP_CNT: 0
; COMPUTE_PGM_RSRC3_GFX90A:ACCUM_OFFSET: 0
; COMPUTE_PGM_RSRC3_GFX90A:TG_SPLIT: 0
	.section	.text._ZN7rocprim17ROCPRIM_400000_NS6detail17trampoline_kernelINS0_14default_configENS1_21merge_config_selectorIjNS0_10empty_typeEEEZNS1_10merge_implIS3_N6thrust23THRUST_200600_302600_NS6detail15normal_iteratorINS9_10device_ptrIKjEEEESF_NSB_INSC_IjEEEEPS5_SI_SI_NS9_4lessIjEEEE10hipError_tPvRmT0_T1_T2_T3_T4_T5_mmT6_P12ihipStream_tbEUlT_E_NS1_11comp_targetILNS1_3genE5ELNS1_11target_archE942ELNS1_3gpuE9ELNS1_3repE0EEENS1_30default_config_static_selectorELNS0_4arch9wavefront6targetE1EEEvSP_,"axG",@progbits,_ZN7rocprim17ROCPRIM_400000_NS6detail17trampoline_kernelINS0_14default_configENS1_21merge_config_selectorIjNS0_10empty_typeEEEZNS1_10merge_implIS3_N6thrust23THRUST_200600_302600_NS6detail15normal_iteratorINS9_10device_ptrIKjEEEESF_NSB_INSC_IjEEEEPS5_SI_SI_NS9_4lessIjEEEE10hipError_tPvRmT0_T1_T2_T3_T4_T5_mmT6_P12ihipStream_tbEUlT_E_NS1_11comp_targetILNS1_3genE5ELNS1_11target_archE942ELNS1_3gpuE9ELNS1_3repE0EEENS1_30default_config_static_selectorELNS0_4arch9wavefront6targetE1EEEvSP_,comdat
	.protected	_ZN7rocprim17ROCPRIM_400000_NS6detail17trampoline_kernelINS0_14default_configENS1_21merge_config_selectorIjNS0_10empty_typeEEEZNS1_10merge_implIS3_N6thrust23THRUST_200600_302600_NS6detail15normal_iteratorINS9_10device_ptrIKjEEEESF_NSB_INSC_IjEEEEPS5_SI_SI_NS9_4lessIjEEEE10hipError_tPvRmT0_T1_T2_T3_T4_T5_mmT6_P12ihipStream_tbEUlT_E_NS1_11comp_targetILNS1_3genE5ELNS1_11target_archE942ELNS1_3gpuE9ELNS1_3repE0EEENS1_30default_config_static_selectorELNS0_4arch9wavefront6targetE1EEEvSP_ ; -- Begin function _ZN7rocprim17ROCPRIM_400000_NS6detail17trampoline_kernelINS0_14default_configENS1_21merge_config_selectorIjNS0_10empty_typeEEEZNS1_10merge_implIS3_N6thrust23THRUST_200600_302600_NS6detail15normal_iteratorINS9_10device_ptrIKjEEEESF_NSB_INSC_IjEEEEPS5_SI_SI_NS9_4lessIjEEEE10hipError_tPvRmT0_T1_T2_T3_T4_T5_mmT6_P12ihipStream_tbEUlT_E_NS1_11comp_targetILNS1_3genE5ELNS1_11target_archE942ELNS1_3gpuE9ELNS1_3repE0EEENS1_30default_config_static_selectorELNS0_4arch9wavefront6targetE1EEEvSP_
	.globl	_ZN7rocprim17ROCPRIM_400000_NS6detail17trampoline_kernelINS0_14default_configENS1_21merge_config_selectorIjNS0_10empty_typeEEEZNS1_10merge_implIS3_N6thrust23THRUST_200600_302600_NS6detail15normal_iteratorINS9_10device_ptrIKjEEEESF_NSB_INSC_IjEEEEPS5_SI_SI_NS9_4lessIjEEEE10hipError_tPvRmT0_T1_T2_T3_T4_T5_mmT6_P12ihipStream_tbEUlT_E_NS1_11comp_targetILNS1_3genE5ELNS1_11target_archE942ELNS1_3gpuE9ELNS1_3repE0EEENS1_30default_config_static_selectorELNS0_4arch9wavefront6targetE1EEEvSP_
	.p2align	8
	.type	_ZN7rocprim17ROCPRIM_400000_NS6detail17trampoline_kernelINS0_14default_configENS1_21merge_config_selectorIjNS0_10empty_typeEEEZNS1_10merge_implIS3_N6thrust23THRUST_200600_302600_NS6detail15normal_iteratorINS9_10device_ptrIKjEEEESF_NSB_INSC_IjEEEEPS5_SI_SI_NS9_4lessIjEEEE10hipError_tPvRmT0_T1_T2_T3_T4_T5_mmT6_P12ihipStream_tbEUlT_E_NS1_11comp_targetILNS1_3genE5ELNS1_11target_archE942ELNS1_3gpuE9ELNS1_3repE0EEENS1_30default_config_static_selectorELNS0_4arch9wavefront6targetE1EEEvSP_,@function
_ZN7rocprim17ROCPRIM_400000_NS6detail17trampoline_kernelINS0_14default_configENS1_21merge_config_selectorIjNS0_10empty_typeEEEZNS1_10merge_implIS3_N6thrust23THRUST_200600_302600_NS6detail15normal_iteratorINS9_10device_ptrIKjEEEESF_NSB_INSC_IjEEEEPS5_SI_SI_NS9_4lessIjEEEE10hipError_tPvRmT0_T1_T2_T3_T4_T5_mmT6_P12ihipStream_tbEUlT_E_NS1_11comp_targetILNS1_3genE5ELNS1_11target_archE942ELNS1_3gpuE9ELNS1_3repE0EEENS1_30default_config_static_selectorELNS0_4arch9wavefront6targetE1EEEvSP_: ; @_ZN7rocprim17ROCPRIM_400000_NS6detail17trampoline_kernelINS0_14default_configENS1_21merge_config_selectorIjNS0_10empty_typeEEEZNS1_10merge_implIS3_N6thrust23THRUST_200600_302600_NS6detail15normal_iteratorINS9_10device_ptrIKjEEEESF_NSB_INSC_IjEEEEPS5_SI_SI_NS9_4lessIjEEEE10hipError_tPvRmT0_T1_T2_T3_T4_T5_mmT6_P12ihipStream_tbEUlT_E_NS1_11comp_targetILNS1_3genE5ELNS1_11target_archE942ELNS1_3gpuE9ELNS1_3repE0EEENS1_30default_config_static_selectorELNS0_4arch9wavefront6targetE1EEEvSP_
; %bb.0:
	.section	.rodata,"a",@progbits
	.p2align	6, 0x0
	.amdhsa_kernel _ZN7rocprim17ROCPRIM_400000_NS6detail17trampoline_kernelINS0_14default_configENS1_21merge_config_selectorIjNS0_10empty_typeEEEZNS1_10merge_implIS3_N6thrust23THRUST_200600_302600_NS6detail15normal_iteratorINS9_10device_ptrIKjEEEESF_NSB_INSC_IjEEEEPS5_SI_SI_NS9_4lessIjEEEE10hipError_tPvRmT0_T1_T2_T3_T4_T5_mmT6_P12ihipStream_tbEUlT_E_NS1_11comp_targetILNS1_3genE5ELNS1_11target_archE942ELNS1_3gpuE9ELNS1_3repE0EEENS1_30default_config_static_selectorELNS0_4arch9wavefront6targetE1EEEvSP_
		.amdhsa_group_segment_fixed_size 0
		.amdhsa_private_segment_fixed_size 0
		.amdhsa_kernarg_size 48
		.amdhsa_user_sgpr_count 6
		.amdhsa_user_sgpr_private_segment_buffer 1
		.amdhsa_user_sgpr_dispatch_ptr 0
		.amdhsa_user_sgpr_queue_ptr 0
		.amdhsa_user_sgpr_kernarg_segment_ptr 1
		.amdhsa_user_sgpr_dispatch_id 0
		.amdhsa_user_sgpr_flat_scratch_init 0
		.amdhsa_user_sgpr_kernarg_preload_length 0
		.amdhsa_user_sgpr_kernarg_preload_offset 0
		.amdhsa_user_sgpr_private_segment_size 0
		.amdhsa_uses_dynamic_stack 0
		.amdhsa_system_sgpr_private_segment_wavefront_offset 0
		.amdhsa_system_sgpr_workgroup_id_x 1
		.amdhsa_system_sgpr_workgroup_id_y 0
		.amdhsa_system_sgpr_workgroup_id_z 0
		.amdhsa_system_sgpr_workgroup_info 0
		.amdhsa_system_vgpr_workitem_id 0
		.amdhsa_next_free_vgpr 1
		.amdhsa_next_free_sgpr 0
		.amdhsa_accum_offset 4
		.amdhsa_reserve_vcc 0
		.amdhsa_reserve_flat_scratch 0
		.amdhsa_float_round_mode_32 0
		.amdhsa_float_round_mode_16_64 0
		.amdhsa_float_denorm_mode_32 3
		.amdhsa_float_denorm_mode_16_64 3
		.amdhsa_dx10_clamp 1
		.amdhsa_ieee_mode 1
		.amdhsa_fp16_overflow 0
		.amdhsa_tg_split 0
		.amdhsa_exception_fp_ieee_invalid_op 0
		.amdhsa_exception_fp_denorm_src 0
		.amdhsa_exception_fp_ieee_div_zero 0
		.amdhsa_exception_fp_ieee_overflow 0
		.amdhsa_exception_fp_ieee_underflow 0
		.amdhsa_exception_fp_ieee_inexact 0
		.amdhsa_exception_int_div_zero 0
	.end_amdhsa_kernel
	.section	.text._ZN7rocprim17ROCPRIM_400000_NS6detail17trampoline_kernelINS0_14default_configENS1_21merge_config_selectorIjNS0_10empty_typeEEEZNS1_10merge_implIS3_N6thrust23THRUST_200600_302600_NS6detail15normal_iteratorINS9_10device_ptrIKjEEEESF_NSB_INSC_IjEEEEPS5_SI_SI_NS9_4lessIjEEEE10hipError_tPvRmT0_T1_T2_T3_T4_T5_mmT6_P12ihipStream_tbEUlT_E_NS1_11comp_targetILNS1_3genE5ELNS1_11target_archE942ELNS1_3gpuE9ELNS1_3repE0EEENS1_30default_config_static_selectorELNS0_4arch9wavefront6targetE1EEEvSP_,"axG",@progbits,_ZN7rocprim17ROCPRIM_400000_NS6detail17trampoline_kernelINS0_14default_configENS1_21merge_config_selectorIjNS0_10empty_typeEEEZNS1_10merge_implIS3_N6thrust23THRUST_200600_302600_NS6detail15normal_iteratorINS9_10device_ptrIKjEEEESF_NSB_INSC_IjEEEEPS5_SI_SI_NS9_4lessIjEEEE10hipError_tPvRmT0_T1_T2_T3_T4_T5_mmT6_P12ihipStream_tbEUlT_E_NS1_11comp_targetILNS1_3genE5ELNS1_11target_archE942ELNS1_3gpuE9ELNS1_3repE0EEENS1_30default_config_static_selectorELNS0_4arch9wavefront6targetE1EEEvSP_,comdat
.Lfunc_end134:
	.size	_ZN7rocprim17ROCPRIM_400000_NS6detail17trampoline_kernelINS0_14default_configENS1_21merge_config_selectorIjNS0_10empty_typeEEEZNS1_10merge_implIS3_N6thrust23THRUST_200600_302600_NS6detail15normal_iteratorINS9_10device_ptrIKjEEEESF_NSB_INSC_IjEEEEPS5_SI_SI_NS9_4lessIjEEEE10hipError_tPvRmT0_T1_T2_T3_T4_T5_mmT6_P12ihipStream_tbEUlT_E_NS1_11comp_targetILNS1_3genE5ELNS1_11target_archE942ELNS1_3gpuE9ELNS1_3repE0EEENS1_30default_config_static_selectorELNS0_4arch9wavefront6targetE1EEEvSP_, .Lfunc_end134-_ZN7rocprim17ROCPRIM_400000_NS6detail17trampoline_kernelINS0_14default_configENS1_21merge_config_selectorIjNS0_10empty_typeEEEZNS1_10merge_implIS3_N6thrust23THRUST_200600_302600_NS6detail15normal_iteratorINS9_10device_ptrIKjEEEESF_NSB_INSC_IjEEEEPS5_SI_SI_NS9_4lessIjEEEE10hipError_tPvRmT0_T1_T2_T3_T4_T5_mmT6_P12ihipStream_tbEUlT_E_NS1_11comp_targetILNS1_3genE5ELNS1_11target_archE942ELNS1_3gpuE9ELNS1_3repE0EEENS1_30default_config_static_selectorELNS0_4arch9wavefront6targetE1EEEvSP_
                                        ; -- End function
	.section	.AMDGPU.csdata,"",@progbits
; Kernel info:
; codeLenInByte = 0
; NumSgprs: 4
; NumVgprs: 0
; NumAgprs: 0
; TotalNumVgprs: 0
; ScratchSize: 0
; MemoryBound: 0
; FloatMode: 240
; IeeeMode: 1
; LDSByteSize: 0 bytes/workgroup (compile time only)
; SGPRBlocks: 0
; VGPRBlocks: 0
; NumSGPRsForWavesPerEU: 4
; NumVGPRsForWavesPerEU: 1
; AccumOffset: 4
; Occupancy: 8
; WaveLimiterHint : 0
; COMPUTE_PGM_RSRC2:SCRATCH_EN: 0
; COMPUTE_PGM_RSRC2:USER_SGPR: 6
; COMPUTE_PGM_RSRC2:TRAP_HANDLER: 0
; COMPUTE_PGM_RSRC2:TGID_X_EN: 1
; COMPUTE_PGM_RSRC2:TGID_Y_EN: 0
; COMPUTE_PGM_RSRC2:TGID_Z_EN: 0
; COMPUTE_PGM_RSRC2:TIDIG_COMP_CNT: 0
; COMPUTE_PGM_RSRC3_GFX90A:ACCUM_OFFSET: 0
; COMPUTE_PGM_RSRC3_GFX90A:TG_SPLIT: 0
	.section	.text._ZN7rocprim17ROCPRIM_400000_NS6detail17trampoline_kernelINS0_14default_configENS1_21merge_config_selectorIjNS0_10empty_typeEEEZNS1_10merge_implIS3_N6thrust23THRUST_200600_302600_NS6detail15normal_iteratorINS9_10device_ptrIKjEEEESF_NSB_INSC_IjEEEEPS5_SI_SI_NS9_4lessIjEEEE10hipError_tPvRmT0_T1_T2_T3_T4_T5_mmT6_P12ihipStream_tbEUlT_E_NS1_11comp_targetILNS1_3genE4ELNS1_11target_archE910ELNS1_3gpuE8ELNS1_3repE0EEENS1_30default_config_static_selectorELNS0_4arch9wavefront6targetE1EEEvSP_,"axG",@progbits,_ZN7rocprim17ROCPRIM_400000_NS6detail17trampoline_kernelINS0_14default_configENS1_21merge_config_selectorIjNS0_10empty_typeEEEZNS1_10merge_implIS3_N6thrust23THRUST_200600_302600_NS6detail15normal_iteratorINS9_10device_ptrIKjEEEESF_NSB_INSC_IjEEEEPS5_SI_SI_NS9_4lessIjEEEE10hipError_tPvRmT0_T1_T2_T3_T4_T5_mmT6_P12ihipStream_tbEUlT_E_NS1_11comp_targetILNS1_3genE4ELNS1_11target_archE910ELNS1_3gpuE8ELNS1_3repE0EEENS1_30default_config_static_selectorELNS0_4arch9wavefront6targetE1EEEvSP_,comdat
	.protected	_ZN7rocprim17ROCPRIM_400000_NS6detail17trampoline_kernelINS0_14default_configENS1_21merge_config_selectorIjNS0_10empty_typeEEEZNS1_10merge_implIS3_N6thrust23THRUST_200600_302600_NS6detail15normal_iteratorINS9_10device_ptrIKjEEEESF_NSB_INSC_IjEEEEPS5_SI_SI_NS9_4lessIjEEEE10hipError_tPvRmT0_T1_T2_T3_T4_T5_mmT6_P12ihipStream_tbEUlT_E_NS1_11comp_targetILNS1_3genE4ELNS1_11target_archE910ELNS1_3gpuE8ELNS1_3repE0EEENS1_30default_config_static_selectorELNS0_4arch9wavefront6targetE1EEEvSP_ ; -- Begin function _ZN7rocprim17ROCPRIM_400000_NS6detail17trampoline_kernelINS0_14default_configENS1_21merge_config_selectorIjNS0_10empty_typeEEEZNS1_10merge_implIS3_N6thrust23THRUST_200600_302600_NS6detail15normal_iteratorINS9_10device_ptrIKjEEEESF_NSB_INSC_IjEEEEPS5_SI_SI_NS9_4lessIjEEEE10hipError_tPvRmT0_T1_T2_T3_T4_T5_mmT6_P12ihipStream_tbEUlT_E_NS1_11comp_targetILNS1_3genE4ELNS1_11target_archE910ELNS1_3gpuE8ELNS1_3repE0EEENS1_30default_config_static_selectorELNS0_4arch9wavefront6targetE1EEEvSP_
	.globl	_ZN7rocprim17ROCPRIM_400000_NS6detail17trampoline_kernelINS0_14default_configENS1_21merge_config_selectorIjNS0_10empty_typeEEEZNS1_10merge_implIS3_N6thrust23THRUST_200600_302600_NS6detail15normal_iteratorINS9_10device_ptrIKjEEEESF_NSB_INSC_IjEEEEPS5_SI_SI_NS9_4lessIjEEEE10hipError_tPvRmT0_T1_T2_T3_T4_T5_mmT6_P12ihipStream_tbEUlT_E_NS1_11comp_targetILNS1_3genE4ELNS1_11target_archE910ELNS1_3gpuE8ELNS1_3repE0EEENS1_30default_config_static_selectorELNS0_4arch9wavefront6targetE1EEEvSP_
	.p2align	8
	.type	_ZN7rocprim17ROCPRIM_400000_NS6detail17trampoline_kernelINS0_14default_configENS1_21merge_config_selectorIjNS0_10empty_typeEEEZNS1_10merge_implIS3_N6thrust23THRUST_200600_302600_NS6detail15normal_iteratorINS9_10device_ptrIKjEEEESF_NSB_INSC_IjEEEEPS5_SI_SI_NS9_4lessIjEEEE10hipError_tPvRmT0_T1_T2_T3_T4_T5_mmT6_P12ihipStream_tbEUlT_E_NS1_11comp_targetILNS1_3genE4ELNS1_11target_archE910ELNS1_3gpuE8ELNS1_3repE0EEENS1_30default_config_static_selectorELNS0_4arch9wavefront6targetE1EEEvSP_,@function
_ZN7rocprim17ROCPRIM_400000_NS6detail17trampoline_kernelINS0_14default_configENS1_21merge_config_selectorIjNS0_10empty_typeEEEZNS1_10merge_implIS3_N6thrust23THRUST_200600_302600_NS6detail15normal_iteratorINS9_10device_ptrIKjEEEESF_NSB_INSC_IjEEEEPS5_SI_SI_NS9_4lessIjEEEE10hipError_tPvRmT0_T1_T2_T3_T4_T5_mmT6_P12ihipStream_tbEUlT_E_NS1_11comp_targetILNS1_3genE4ELNS1_11target_archE910ELNS1_3gpuE8ELNS1_3repE0EEENS1_30default_config_static_selectorELNS0_4arch9wavefront6targetE1EEEvSP_: ; @_ZN7rocprim17ROCPRIM_400000_NS6detail17trampoline_kernelINS0_14default_configENS1_21merge_config_selectorIjNS0_10empty_typeEEEZNS1_10merge_implIS3_N6thrust23THRUST_200600_302600_NS6detail15normal_iteratorINS9_10device_ptrIKjEEEESF_NSB_INSC_IjEEEEPS5_SI_SI_NS9_4lessIjEEEE10hipError_tPvRmT0_T1_T2_T3_T4_T5_mmT6_P12ihipStream_tbEUlT_E_NS1_11comp_targetILNS1_3genE4ELNS1_11target_archE910ELNS1_3gpuE8ELNS1_3repE0EEENS1_30default_config_static_selectorELNS0_4arch9wavefront6targetE1EEEvSP_
; %bb.0:
	s_load_dword s7, s[4:5], 0x28
	s_load_dword s0, s[4:5], 0x3c
	s_load_dwordx4 s[8:11], s[4:5], 0x18
	s_waitcnt lgkmcnt(0)
	v_cvt_f32_u32_e32 v1, s7
	s_and_b32 s0, s0, 0xffff
	s_add_u32 s12, s10, s8
	s_addc_u32 s13, s11, s9
	v_rcp_iflag_f32_e32 v1, v1
	s_sub_i32 s1, 0, s7
	s_mul_i32 s6, s6, s0
	s_add_i32 s0, s7, s12
	v_mul_f32_e32 v1, 0x4f7ffffe, v1
	v_cvt_u32_f32_e32 v1, v1
	s_add_i32 s0, s0, -1
	v_add_u32_e32 v0, s6, v0
	v_readfirstlane_b32 s2, v1
	s_mul_i32 s1, s1, s2
	s_mul_hi_u32 s1, s2, s1
	s_add_i32 s2, s2, s1
	s_mul_hi_u32 s1, s0, s2
	s_mul_i32 s2, s1, s7
	s_sub_i32 s0, s0, s2
	s_add_i32 s3, s1, 1
	s_sub_i32 s2, s0, s7
	s_cmp_ge_u32 s0, s7
	s_cselect_b32 s1, s3, s1
	s_cselect_b32 s0, s2, s0
	s_add_i32 s2, s1, 1
	s_cmp_ge_u32 s0, s7
	s_cselect_b32 s0, s2, s1
	v_cmp_ge_u32_e32 vcc, s0, v0
	s_and_saveexec_b64 s[0:1], vcc
	s_cbranch_execz .LBB135_6
; %bb.1:
	v_mul_lo_u32 v2, v0, s7
	v_mov_b32_e32 v3, 0
	v_mov_b32_e32 v1, s13
	v_cmp_gt_u64_e32 vcc, s[12:13], v[2:3]
	v_cndmask_b32_e64 v7, v1, 0, vcc
	v_mov_b32_e32 v1, s12
	v_cndmask_b32_e32 v6, v1, v2, vcc
	v_mov_b32_e32 v1, s11
	v_subrev_co_u32_e32 v2, vcc, s10, v6
	v_subb_co_u32_e32 v3, vcc, v7, v1, vcc
	s_load_dwordx4 s[0:3], s[4:5], 0x0
	v_cmp_gt_u64_e32 vcc, v[2:3], v[6:7]
	v_cndmask_b32_e64 v3, v3, 0, vcc
	v_cndmask_b32_e64 v2, v2, 0, vcc
	v_mov_b32_e32 v1, s9
	v_cmp_gt_u64_e32 vcc, s[8:9], v[6:7]
	v_cndmask_b32_e32 v5, v1, v7, vcc
	v_mov_b32_e32 v1, s8
	v_cndmask_b32_e32 v4, v1, v6, vcc
	v_cmp_lt_u64_e32 vcc, v[2:3], v[4:5]
	s_and_saveexec_b64 s[6:7], vcc
	s_cbranch_execz .LBB135_5
; %bb.2:
	s_load_dwordx2 s[4:5], s[4:5], 0x10
	v_lshlrev_b64 v[6:7], 2, v[6:7]
	s_waitcnt lgkmcnt(0)
	v_mov_b32_e32 v8, s5
	v_add_co_u32_e32 v1, vcc, s4, v6
	v_addc_co_u32_e32 v6, vcc, v8, v7, vcc
	s_mov_b64 s[4:5], 0
	v_mov_b32_e32 v7, s3
.LBB135_3:                              ; =>This Inner Loop Header: Depth=1
	v_add_co_u32_e32 v8, vcc, v4, v2
	v_addc_co_u32_e32 v9, vcc, v5, v3, vcc
	v_lshrrev_b64 v[8:9], 1, v[8:9]
	v_lshlrev_b64 v[12:13], 2, v[8:9]
	v_not_b32_e32 v11, v9
	v_not_b32_e32 v10, v8
	v_add_co_u32_e32 v12, vcc, s2, v12
	v_addc_co_u32_e32 v13, vcc, v7, v13, vcc
	v_lshlrev_b64 v[10:11], 2, v[10:11]
	v_add_co_u32_e32 v10, vcc, v1, v10
	v_addc_co_u32_e32 v11, vcc, v6, v11, vcc
	global_load_dword v12, v[12:13], off
	s_nop 0
	global_load_dword v10, v[10:11], off
	v_add_co_u32_e32 v11, vcc, 1, v8
	v_addc_co_u32_e32 v13, vcc, 0, v9, vcc
	s_waitcnt vmcnt(0)
	v_cmp_lt_u32_e32 vcc, v10, v12
	v_cndmask_b32_e32 v5, v5, v9, vcc
	v_cndmask_b32_e32 v4, v4, v8, vcc
	;; [unrolled: 1-line block ×4, first 2 shown]
	v_cmp_ge_u64_e32 vcc, v[2:3], v[4:5]
	s_or_b64 s[4:5], vcc, s[4:5]
	s_andn2_b64 exec, exec, s[4:5]
	s_cbranch_execnz .LBB135_3
; %bb.4:
	s_or_b64 exec, exec, s[4:5]
.LBB135_5:
	s_or_b64 exec, exec, s[6:7]
	v_mov_b32_e32 v1, 0
	v_lshlrev_b64 v[0:1], 2, v[0:1]
	s_waitcnt lgkmcnt(0)
	v_mov_b32_e32 v3, s1
	v_add_co_u32_e32 v0, vcc, s0, v0
	v_addc_co_u32_e32 v1, vcc, v3, v1, vcc
	global_store_dword v[0:1], v2, off
.LBB135_6:
	s_endpgm
	.section	.rodata,"a",@progbits
	.p2align	6, 0x0
	.amdhsa_kernel _ZN7rocprim17ROCPRIM_400000_NS6detail17trampoline_kernelINS0_14default_configENS1_21merge_config_selectorIjNS0_10empty_typeEEEZNS1_10merge_implIS3_N6thrust23THRUST_200600_302600_NS6detail15normal_iteratorINS9_10device_ptrIKjEEEESF_NSB_INSC_IjEEEEPS5_SI_SI_NS9_4lessIjEEEE10hipError_tPvRmT0_T1_T2_T3_T4_T5_mmT6_P12ihipStream_tbEUlT_E_NS1_11comp_targetILNS1_3genE4ELNS1_11target_archE910ELNS1_3gpuE8ELNS1_3repE0EEENS1_30default_config_static_selectorELNS0_4arch9wavefront6targetE1EEEvSP_
		.amdhsa_group_segment_fixed_size 0
		.amdhsa_private_segment_fixed_size 0
		.amdhsa_kernarg_size 304
		.amdhsa_user_sgpr_count 6
		.amdhsa_user_sgpr_private_segment_buffer 1
		.amdhsa_user_sgpr_dispatch_ptr 0
		.amdhsa_user_sgpr_queue_ptr 0
		.amdhsa_user_sgpr_kernarg_segment_ptr 1
		.amdhsa_user_sgpr_dispatch_id 0
		.amdhsa_user_sgpr_flat_scratch_init 0
		.amdhsa_user_sgpr_kernarg_preload_length 0
		.amdhsa_user_sgpr_kernarg_preload_offset 0
		.amdhsa_user_sgpr_private_segment_size 0
		.amdhsa_uses_dynamic_stack 0
		.amdhsa_system_sgpr_private_segment_wavefront_offset 0
		.amdhsa_system_sgpr_workgroup_id_x 1
		.amdhsa_system_sgpr_workgroup_id_y 0
		.amdhsa_system_sgpr_workgroup_id_z 0
		.amdhsa_system_sgpr_workgroup_info 0
		.amdhsa_system_vgpr_workitem_id 0
		.amdhsa_next_free_vgpr 14
		.amdhsa_next_free_sgpr 14
		.amdhsa_accum_offset 16
		.amdhsa_reserve_vcc 1
		.amdhsa_reserve_flat_scratch 0
		.amdhsa_float_round_mode_32 0
		.amdhsa_float_round_mode_16_64 0
		.amdhsa_float_denorm_mode_32 3
		.amdhsa_float_denorm_mode_16_64 3
		.amdhsa_dx10_clamp 1
		.amdhsa_ieee_mode 1
		.amdhsa_fp16_overflow 0
		.amdhsa_tg_split 0
		.amdhsa_exception_fp_ieee_invalid_op 0
		.amdhsa_exception_fp_denorm_src 0
		.amdhsa_exception_fp_ieee_div_zero 0
		.amdhsa_exception_fp_ieee_overflow 0
		.amdhsa_exception_fp_ieee_underflow 0
		.amdhsa_exception_fp_ieee_inexact 0
		.amdhsa_exception_int_div_zero 0
	.end_amdhsa_kernel
	.section	.text._ZN7rocprim17ROCPRIM_400000_NS6detail17trampoline_kernelINS0_14default_configENS1_21merge_config_selectorIjNS0_10empty_typeEEEZNS1_10merge_implIS3_N6thrust23THRUST_200600_302600_NS6detail15normal_iteratorINS9_10device_ptrIKjEEEESF_NSB_INSC_IjEEEEPS5_SI_SI_NS9_4lessIjEEEE10hipError_tPvRmT0_T1_T2_T3_T4_T5_mmT6_P12ihipStream_tbEUlT_E_NS1_11comp_targetILNS1_3genE4ELNS1_11target_archE910ELNS1_3gpuE8ELNS1_3repE0EEENS1_30default_config_static_selectorELNS0_4arch9wavefront6targetE1EEEvSP_,"axG",@progbits,_ZN7rocprim17ROCPRIM_400000_NS6detail17trampoline_kernelINS0_14default_configENS1_21merge_config_selectorIjNS0_10empty_typeEEEZNS1_10merge_implIS3_N6thrust23THRUST_200600_302600_NS6detail15normal_iteratorINS9_10device_ptrIKjEEEESF_NSB_INSC_IjEEEEPS5_SI_SI_NS9_4lessIjEEEE10hipError_tPvRmT0_T1_T2_T3_T4_T5_mmT6_P12ihipStream_tbEUlT_E_NS1_11comp_targetILNS1_3genE4ELNS1_11target_archE910ELNS1_3gpuE8ELNS1_3repE0EEENS1_30default_config_static_selectorELNS0_4arch9wavefront6targetE1EEEvSP_,comdat
.Lfunc_end135:
	.size	_ZN7rocprim17ROCPRIM_400000_NS6detail17trampoline_kernelINS0_14default_configENS1_21merge_config_selectorIjNS0_10empty_typeEEEZNS1_10merge_implIS3_N6thrust23THRUST_200600_302600_NS6detail15normal_iteratorINS9_10device_ptrIKjEEEESF_NSB_INSC_IjEEEEPS5_SI_SI_NS9_4lessIjEEEE10hipError_tPvRmT0_T1_T2_T3_T4_T5_mmT6_P12ihipStream_tbEUlT_E_NS1_11comp_targetILNS1_3genE4ELNS1_11target_archE910ELNS1_3gpuE8ELNS1_3repE0EEENS1_30default_config_static_selectorELNS0_4arch9wavefront6targetE1EEEvSP_, .Lfunc_end135-_ZN7rocprim17ROCPRIM_400000_NS6detail17trampoline_kernelINS0_14default_configENS1_21merge_config_selectorIjNS0_10empty_typeEEEZNS1_10merge_implIS3_N6thrust23THRUST_200600_302600_NS6detail15normal_iteratorINS9_10device_ptrIKjEEEESF_NSB_INSC_IjEEEEPS5_SI_SI_NS9_4lessIjEEEE10hipError_tPvRmT0_T1_T2_T3_T4_T5_mmT6_P12ihipStream_tbEUlT_E_NS1_11comp_targetILNS1_3genE4ELNS1_11target_archE910ELNS1_3gpuE8ELNS1_3repE0EEENS1_30default_config_static_selectorELNS0_4arch9wavefront6targetE1EEEvSP_
                                        ; -- End function
	.section	.AMDGPU.csdata,"",@progbits
; Kernel info:
; codeLenInByte = 476
; NumSgprs: 18
; NumVgprs: 14
; NumAgprs: 0
; TotalNumVgprs: 14
; ScratchSize: 0
; MemoryBound: 0
; FloatMode: 240
; IeeeMode: 1
; LDSByteSize: 0 bytes/workgroup (compile time only)
; SGPRBlocks: 2
; VGPRBlocks: 1
; NumSGPRsForWavesPerEU: 18
; NumVGPRsForWavesPerEU: 14
; AccumOffset: 16
; Occupancy: 8
; WaveLimiterHint : 0
; COMPUTE_PGM_RSRC2:SCRATCH_EN: 0
; COMPUTE_PGM_RSRC2:USER_SGPR: 6
; COMPUTE_PGM_RSRC2:TRAP_HANDLER: 0
; COMPUTE_PGM_RSRC2:TGID_X_EN: 1
; COMPUTE_PGM_RSRC2:TGID_Y_EN: 0
; COMPUTE_PGM_RSRC2:TGID_Z_EN: 0
; COMPUTE_PGM_RSRC2:TIDIG_COMP_CNT: 0
; COMPUTE_PGM_RSRC3_GFX90A:ACCUM_OFFSET: 3
; COMPUTE_PGM_RSRC3_GFX90A:TG_SPLIT: 0
	.section	.text._ZN7rocprim17ROCPRIM_400000_NS6detail17trampoline_kernelINS0_14default_configENS1_21merge_config_selectorIjNS0_10empty_typeEEEZNS1_10merge_implIS3_N6thrust23THRUST_200600_302600_NS6detail15normal_iteratorINS9_10device_ptrIKjEEEESF_NSB_INSC_IjEEEEPS5_SI_SI_NS9_4lessIjEEEE10hipError_tPvRmT0_T1_T2_T3_T4_T5_mmT6_P12ihipStream_tbEUlT_E_NS1_11comp_targetILNS1_3genE3ELNS1_11target_archE908ELNS1_3gpuE7ELNS1_3repE0EEENS1_30default_config_static_selectorELNS0_4arch9wavefront6targetE1EEEvSP_,"axG",@progbits,_ZN7rocprim17ROCPRIM_400000_NS6detail17trampoline_kernelINS0_14default_configENS1_21merge_config_selectorIjNS0_10empty_typeEEEZNS1_10merge_implIS3_N6thrust23THRUST_200600_302600_NS6detail15normal_iteratorINS9_10device_ptrIKjEEEESF_NSB_INSC_IjEEEEPS5_SI_SI_NS9_4lessIjEEEE10hipError_tPvRmT0_T1_T2_T3_T4_T5_mmT6_P12ihipStream_tbEUlT_E_NS1_11comp_targetILNS1_3genE3ELNS1_11target_archE908ELNS1_3gpuE7ELNS1_3repE0EEENS1_30default_config_static_selectorELNS0_4arch9wavefront6targetE1EEEvSP_,comdat
	.protected	_ZN7rocprim17ROCPRIM_400000_NS6detail17trampoline_kernelINS0_14default_configENS1_21merge_config_selectorIjNS0_10empty_typeEEEZNS1_10merge_implIS3_N6thrust23THRUST_200600_302600_NS6detail15normal_iteratorINS9_10device_ptrIKjEEEESF_NSB_INSC_IjEEEEPS5_SI_SI_NS9_4lessIjEEEE10hipError_tPvRmT0_T1_T2_T3_T4_T5_mmT6_P12ihipStream_tbEUlT_E_NS1_11comp_targetILNS1_3genE3ELNS1_11target_archE908ELNS1_3gpuE7ELNS1_3repE0EEENS1_30default_config_static_selectorELNS0_4arch9wavefront6targetE1EEEvSP_ ; -- Begin function _ZN7rocprim17ROCPRIM_400000_NS6detail17trampoline_kernelINS0_14default_configENS1_21merge_config_selectorIjNS0_10empty_typeEEEZNS1_10merge_implIS3_N6thrust23THRUST_200600_302600_NS6detail15normal_iteratorINS9_10device_ptrIKjEEEESF_NSB_INSC_IjEEEEPS5_SI_SI_NS9_4lessIjEEEE10hipError_tPvRmT0_T1_T2_T3_T4_T5_mmT6_P12ihipStream_tbEUlT_E_NS1_11comp_targetILNS1_3genE3ELNS1_11target_archE908ELNS1_3gpuE7ELNS1_3repE0EEENS1_30default_config_static_selectorELNS0_4arch9wavefront6targetE1EEEvSP_
	.globl	_ZN7rocprim17ROCPRIM_400000_NS6detail17trampoline_kernelINS0_14default_configENS1_21merge_config_selectorIjNS0_10empty_typeEEEZNS1_10merge_implIS3_N6thrust23THRUST_200600_302600_NS6detail15normal_iteratorINS9_10device_ptrIKjEEEESF_NSB_INSC_IjEEEEPS5_SI_SI_NS9_4lessIjEEEE10hipError_tPvRmT0_T1_T2_T3_T4_T5_mmT6_P12ihipStream_tbEUlT_E_NS1_11comp_targetILNS1_3genE3ELNS1_11target_archE908ELNS1_3gpuE7ELNS1_3repE0EEENS1_30default_config_static_selectorELNS0_4arch9wavefront6targetE1EEEvSP_
	.p2align	8
	.type	_ZN7rocprim17ROCPRIM_400000_NS6detail17trampoline_kernelINS0_14default_configENS1_21merge_config_selectorIjNS0_10empty_typeEEEZNS1_10merge_implIS3_N6thrust23THRUST_200600_302600_NS6detail15normal_iteratorINS9_10device_ptrIKjEEEESF_NSB_INSC_IjEEEEPS5_SI_SI_NS9_4lessIjEEEE10hipError_tPvRmT0_T1_T2_T3_T4_T5_mmT6_P12ihipStream_tbEUlT_E_NS1_11comp_targetILNS1_3genE3ELNS1_11target_archE908ELNS1_3gpuE7ELNS1_3repE0EEENS1_30default_config_static_selectorELNS0_4arch9wavefront6targetE1EEEvSP_,@function
_ZN7rocprim17ROCPRIM_400000_NS6detail17trampoline_kernelINS0_14default_configENS1_21merge_config_selectorIjNS0_10empty_typeEEEZNS1_10merge_implIS3_N6thrust23THRUST_200600_302600_NS6detail15normal_iteratorINS9_10device_ptrIKjEEEESF_NSB_INSC_IjEEEEPS5_SI_SI_NS9_4lessIjEEEE10hipError_tPvRmT0_T1_T2_T3_T4_T5_mmT6_P12ihipStream_tbEUlT_E_NS1_11comp_targetILNS1_3genE3ELNS1_11target_archE908ELNS1_3gpuE7ELNS1_3repE0EEENS1_30default_config_static_selectorELNS0_4arch9wavefront6targetE1EEEvSP_: ; @_ZN7rocprim17ROCPRIM_400000_NS6detail17trampoline_kernelINS0_14default_configENS1_21merge_config_selectorIjNS0_10empty_typeEEEZNS1_10merge_implIS3_N6thrust23THRUST_200600_302600_NS6detail15normal_iteratorINS9_10device_ptrIKjEEEESF_NSB_INSC_IjEEEEPS5_SI_SI_NS9_4lessIjEEEE10hipError_tPvRmT0_T1_T2_T3_T4_T5_mmT6_P12ihipStream_tbEUlT_E_NS1_11comp_targetILNS1_3genE3ELNS1_11target_archE908ELNS1_3gpuE7ELNS1_3repE0EEENS1_30default_config_static_selectorELNS0_4arch9wavefront6targetE1EEEvSP_
; %bb.0:
	.section	.rodata,"a",@progbits
	.p2align	6, 0x0
	.amdhsa_kernel _ZN7rocprim17ROCPRIM_400000_NS6detail17trampoline_kernelINS0_14default_configENS1_21merge_config_selectorIjNS0_10empty_typeEEEZNS1_10merge_implIS3_N6thrust23THRUST_200600_302600_NS6detail15normal_iteratorINS9_10device_ptrIKjEEEESF_NSB_INSC_IjEEEEPS5_SI_SI_NS9_4lessIjEEEE10hipError_tPvRmT0_T1_T2_T3_T4_T5_mmT6_P12ihipStream_tbEUlT_E_NS1_11comp_targetILNS1_3genE3ELNS1_11target_archE908ELNS1_3gpuE7ELNS1_3repE0EEENS1_30default_config_static_selectorELNS0_4arch9wavefront6targetE1EEEvSP_
		.amdhsa_group_segment_fixed_size 0
		.amdhsa_private_segment_fixed_size 0
		.amdhsa_kernarg_size 48
		.amdhsa_user_sgpr_count 6
		.amdhsa_user_sgpr_private_segment_buffer 1
		.amdhsa_user_sgpr_dispatch_ptr 0
		.amdhsa_user_sgpr_queue_ptr 0
		.amdhsa_user_sgpr_kernarg_segment_ptr 1
		.amdhsa_user_sgpr_dispatch_id 0
		.amdhsa_user_sgpr_flat_scratch_init 0
		.amdhsa_user_sgpr_kernarg_preload_length 0
		.amdhsa_user_sgpr_kernarg_preload_offset 0
		.amdhsa_user_sgpr_private_segment_size 0
		.amdhsa_uses_dynamic_stack 0
		.amdhsa_system_sgpr_private_segment_wavefront_offset 0
		.amdhsa_system_sgpr_workgroup_id_x 1
		.amdhsa_system_sgpr_workgroup_id_y 0
		.amdhsa_system_sgpr_workgroup_id_z 0
		.amdhsa_system_sgpr_workgroup_info 0
		.amdhsa_system_vgpr_workitem_id 0
		.amdhsa_next_free_vgpr 1
		.amdhsa_next_free_sgpr 0
		.amdhsa_accum_offset 4
		.amdhsa_reserve_vcc 0
		.amdhsa_reserve_flat_scratch 0
		.amdhsa_float_round_mode_32 0
		.amdhsa_float_round_mode_16_64 0
		.amdhsa_float_denorm_mode_32 3
		.amdhsa_float_denorm_mode_16_64 3
		.amdhsa_dx10_clamp 1
		.amdhsa_ieee_mode 1
		.amdhsa_fp16_overflow 0
		.amdhsa_tg_split 0
		.amdhsa_exception_fp_ieee_invalid_op 0
		.amdhsa_exception_fp_denorm_src 0
		.amdhsa_exception_fp_ieee_div_zero 0
		.amdhsa_exception_fp_ieee_overflow 0
		.amdhsa_exception_fp_ieee_underflow 0
		.amdhsa_exception_fp_ieee_inexact 0
		.amdhsa_exception_int_div_zero 0
	.end_amdhsa_kernel
	.section	.text._ZN7rocprim17ROCPRIM_400000_NS6detail17trampoline_kernelINS0_14default_configENS1_21merge_config_selectorIjNS0_10empty_typeEEEZNS1_10merge_implIS3_N6thrust23THRUST_200600_302600_NS6detail15normal_iteratorINS9_10device_ptrIKjEEEESF_NSB_INSC_IjEEEEPS5_SI_SI_NS9_4lessIjEEEE10hipError_tPvRmT0_T1_T2_T3_T4_T5_mmT6_P12ihipStream_tbEUlT_E_NS1_11comp_targetILNS1_3genE3ELNS1_11target_archE908ELNS1_3gpuE7ELNS1_3repE0EEENS1_30default_config_static_selectorELNS0_4arch9wavefront6targetE1EEEvSP_,"axG",@progbits,_ZN7rocprim17ROCPRIM_400000_NS6detail17trampoline_kernelINS0_14default_configENS1_21merge_config_selectorIjNS0_10empty_typeEEEZNS1_10merge_implIS3_N6thrust23THRUST_200600_302600_NS6detail15normal_iteratorINS9_10device_ptrIKjEEEESF_NSB_INSC_IjEEEEPS5_SI_SI_NS9_4lessIjEEEE10hipError_tPvRmT0_T1_T2_T3_T4_T5_mmT6_P12ihipStream_tbEUlT_E_NS1_11comp_targetILNS1_3genE3ELNS1_11target_archE908ELNS1_3gpuE7ELNS1_3repE0EEENS1_30default_config_static_selectorELNS0_4arch9wavefront6targetE1EEEvSP_,comdat
.Lfunc_end136:
	.size	_ZN7rocprim17ROCPRIM_400000_NS6detail17trampoline_kernelINS0_14default_configENS1_21merge_config_selectorIjNS0_10empty_typeEEEZNS1_10merge_implIS3_N6thrust23THRUST_200600_302600_NS6detail15normal_iteratorINS9_10device_ptrIKjEEEESF_NSB_INSC_IjEEEEPS5_SI_SI_NS9_4lessIjEEEE10hipError_tPvRmT0_T1_T2_T3_T4_T5_mmT6_P12ihipStream_tbEUlT_E_NS1_11comp_targetILNS1_3genE3ELNS1_11target_archE908ELNS1_3gpuE7ELNS1_3repE0EEENS1_30default_config_static_selectorELNS0_4arch9wavefront6targetE1EEEvSP_, .Lfunc_end136-_ZN7rocprim17ROCPRIM_400000_NS6detail17trampoline_kernelINS0_14default_configENS1_21merge_config_selectorIjNS0_10empty_typeEEEZNS1_10merge_implIS3_N6thrust23THRUST_200600_302600_NS6detail15normal_iteratorINS9_10device_ptrIKjEEEESF_NSB_INSC_IjEEEEPS5_SI_SI_NS9_4lessIjEEEE10hipError_tPvRmT0_T1_T2_T3_T4_T5_mmT6_P12ihipStream_tbEUlT_E_NS1_11comp_targetILNS1_3genE3ELNS1_11target_archE908ELNS1_3gpuE7ELNS1_3repE0EEENS1_30default_config_static_selectorELNS0_4arch9wavefront6targetE1EEEvSP_
                                        ; -- End function
	.section	.AMDGPU.csdata,"",@progbits
; Kernel info:
; codeLenInByte = 0
; NumSgprs: 4
; NumVgprs: 0
; NumAgprs: 0
; TotalNumVgprs: 0
; ScratchSize: 0
; MemoryBound: 0
; FloatMode: 240
; IeeeMode: 1
; LDSByteSize: 0 bytes/workgroup (compile time only)
; SGPRBlocks: 0
; VGPRBlocks: 0
; NumSGPRsForWavesPerEU: 4
; NumVGPRsForWavesPerEU: 1
; AccumOffset: 4
; Occupancy: 8
; WaveLimiterHint : 0
; COMPUTE_PGM_RSRC2:SCRATCH_EN: 0
; COMPUTE_PGM_RSRC2:USER_SGPR: 6
; COMPUTE_PGM_RSRC2:TRAP_HANDLER: 0
; COMPUTE_PGM_RSRC2:TGID_X_EN: 1
; COMPUTE_PGM_RSRC2:TGID_Y_EN: 0
; COMPUTE_PGM_RSRC2:TGID_Z_EN: 0
; COMPUTE_PGM_RSRC2:TIDIG_COMP_CNT: 0
; COMPUTE_PGM_RSRC3_GFX90A:ACCUM_OFFSET: 0
; COMPUTE_PGM_RSRC3_GFX90A:TG_SPLIT: 0
	.section	.text._ZN7rocprim17ROCPRIM_400000_NS6detail17trampoline_kernelINS0_14default_configENS1_21merge_config_selectorIjNS0_10empty_typeEEEZNS1_10merge_implIS3_N6thrust23THRUST_200600_302600_NS6detail15normal_iteratorINS9_10device_ptrIKjEEEESF_NSB_INSC_IjEEEEPS5_SI_SI_NS9_4lessIjEEEE10hipError_tPvRmT0_T1_T2_T3_T4_T5_mmT6_P12ihipStream_tbEUlT_E_NS1_11comp_targetILNS1_3genE2ELNS1_11target_archE906ELNS1_3gpuE6ELNS1_3repE0EEENS1_30default_config_static_selectorELNS0_4arch9wavefront6targetE1EEEvSP_,"axG",@progbits,_ZN7rocprim17ROCPRIM_400000_NS6detail17trampoline_kernelINS0_14default_configENS1_21merge_config_selectorIjNS0_10empty_typeEEEZNS1_10merge_implIS3_N6thrust23THRUST_200600_302600_NS6detail15normal_iteratorINS9_10device_ptrIKjEEEESF_NSB_INSC_IjEEEEPS5_SI_SI_NS9_4lessIjEEEE10hipError_tPvRmT0_T1_T2_T3_T4_T5_mmT6_P12ihipStream_tbEUlT_E_NS1_11comp_targetILNS1_3genE2ELNS1_11target_archE906ELNS1_3gpuE6ELNS1_3repE0EEENS1_30default_config_static_selectorELNS0_4arch9wavefront6targetE1EEEvSP_,comdat
	.protected	_ZN7rocprim17ROCPRIM_400000_NS6detail17trampoline_kernelINS0_14default_configENS1_21merge_config_selectorIjNS0_10empty_typeEEEZNS1_10merge_implIS3_N6thrust23THRUST_200600_302600_NS6detail15normal_iteratorINS9_10device_ptrIKjEEEESF_NSB_INSC_IjEEEEPS5_SI_SI_NS9_4lessIjEEEE10hipError_tPvRmT0_T1_T2_T3_T4_T5_mmT6_P12ihipStream_tbEUlT_E_NS1_11comp_targetILNS1_3genE2ELNS1_11target_archE906ELNS1_3gpuE6ELNS1_3repE0EEENS1_30default_config_static_selectorELNS0_4arch9wavefront6targetE1EEEvSP_ ; -- Begin function _ZN7rocprim17ROCPRIM_400000_NS6detail17trampoline_kernelINS0_14default_configENS1_21merge_config_selectorIjNS0_10empty_typeEEEZNS1_10merge_implIS3_N6thrust23THRUST_200600_302600_NS6detail15normal_iteratorINS9_10device_ptrIKjEEEESF_NSB_INSC_IjEEEEPS5_SI_SI_NS9_4lessIjEEEE10hipError_tPvRmT0_T1_T2_T3_T4_T5_mmT6_P12ihipStream_tbEUlT_E_NS1_11comp_targetILNS1_3genE2ELNS1_11target_archE906ELNS1_3gpuE6ELNS1_3repE0EEENS1_30default_config_static_selectorELNS0_4arch9wavefront6targetE1EEEvSP_
	.globl	_ZN7rocprim17ROCPRIM_400000_NS6detail17trampoline_kernelINS0_14default_configENS1_21merge_config_selectorIjNS0_10empty_typeEEEZNS1_10merge_implIS3_N6thrust23THRUST_200600_302600_NS6detail15normal_iteratorINS9_10device_ptrIKjEEEESF_NSB_INSC_IjEEEEPS5_SI_SI_NS9_4lessIjEEEE10hipError_tPvRmT0_T1_T2_T3_T4_T5_mmT6_P12ihipStream_tbEUlT_E_NS1_11comp_targetILNS1_3genE2ELNS1_11target_archE906ELNS1_3gpuE6ELNS1_3repE0EEENS1_30default_config_static_selectorELNS0_4arch9wavefront6targetE1EEEvSP_
	.p2align	8
	.type	_ZN7rocprim17ROCPRIM_400000_NS6detail17trampoline_kernelINS0_14default_configENS1_21merge_config_selectorIjNS0_10empty_typeEEEZNS1_10merge_implIS3_N6thrust23THRUST_200600_302600_NS6detail15normal_iteratorINS9_10device_ptrIKjEEEESF_NSB_INSC_IjEEEEPS5_SI_SI_NS9_4lessIjEEEE10hipError_tPvRmT0_T1_T2_T3_T4_T5_mmT6_P12ihipStream_tbEUlT_E_NS1_11comp_targetILNS1_3genE2ELNS1_11target_archE906ELNS1_3gpuE6ELNS1_3repE0EEENS1_30default_config_static_selectorELNS0_4arch9wavefront6targetE1EEEvSP_,@function
_ZN7rocprim17ROCPRIM_400000_NS6detail17trampoline_kernelINS0_14default_configENS1_21merge_config_selectorIjNS0_10empty_typeEEEZNS1_10merge_implIS3_N6thrust23THRUST_200600_302600_NS6detail15normal_iteratorINS9_10device_ptrIKjEEEESF_NSB_INSC_IjEEEEPS5_SI_SI_NS9_4lessIjEEEE10hipError_tPvRmT0_T1_T2_T3_T4_T5_mmT6_P12ihipStream_tbEUlT_E_NS1_11comp_targetILNS1_3genE2ELNS1_11target_archE906ELNS1_3gpuE6ELNS1_3repE0EEENS1_30default_config_static_selectorELNS0_4arch9wavefront6targetE1EEEvSP_: ; @_ZN7rocprim17ROCPRIM_400000_NS6detail17trampoline_kernelINS0_14default_configENS1_21merge_config_selectorIjNS0_10empty_typeEEEZNS1_10merge_implIS3_N6thrust23THRUST_200600_302600_NS6detail15normal_iteratorINS9_10device_ptrIKjEEEESF_NSB_INSC_IjEEEEPS5_SI_SI_NS9_4lessIjEEEE10hipError_tPvRmT0_T1_T2_T3_T4_T5_mmT6_P12ihipStream_tbEUlT_E_NS1_11comp_targetILNS1_3genE2ELNS1_11target_archE906ELNS1_3gpuE6ELNS1_3repE0EEENS1_30default_config_static_selectorELNS0_4arch9wavefront6targetE1EEEvSP_
; %bb.0:
	.section	.rodata,"a",@progbits
	.p2align	6, 0x0
	.amdhsa_kernel _ZN7rocprim17ROCPRIM_400000_NS6detail17trampoline_kernelINS0_14default_configENS1_21merge_config_selectorIjNS0_10empty_typeEEEZNS1_10merge_implIS3_N6thrust23THRUST_200600_302600_NS6detail15normal_iteratorINS9_10device_ptrIKjEEEESF_NSB_INSC_IjEEEEPS5_SI_SI_NS9_4lessIjEEEE10hipError_tPvRmT0_T1_T2_T3_T4_T5_mmT6_P12ihipStream_tbEUlT_E_NS1_11comp_targetILNS1_3genE2ELNS1_11target_archE906ELNS1_3gpuE6ELNS1_3repE0EEENS1_30default_config_static_selectorELNS0_4arch9wavefront6targetE1EEEvSP_
		.amdhsa_group_segment_fixed_size 0
		.amdhsa_private_segment_fixed_size 0
		.amdhsa_kernarg_size 48
		.amdhsa_user_sgpr_count 6
		.amdhsa_user_sgpr_private_segment_buffer 1
		.amdhsa_user_sgpr_dispatch_ptr 0
		.amdhsa_user_sgpr_queue_ptr 0
		.amdhsa_user_sgpr_kernarg_segment_ptr 1
		.amdhsa_user_sgpr_dispatch_id 0
		.amdhsa_user_sgpr_flat_scratch_init 0
		.amdhsa_user_sgpr_kernarg_preload_length 0
		.amdhsa_user_sgpr_kernarg_preload_offset 0
		.amdhsa_user_sgpr_private_segment_size 0
		.amdhsa_uses_dynamic_stack 0
		.amdhsa_system_sgpr_private_segment_wavefront_offset 0
		.amdhsa_system_sgpr_workgroup_id_x 1
		.amdhsa_system_sgpr_workgroup_id_y 0
		.amdhsa_system_sgpr_workgroup_id_z 0
		.amdhsa_system_sgpr_workgroup_info 0
		.amdhsa_system_vgpr_workitem_id 0
		.amdhsa_next_free_vgpr 1
		.amdhsa_next_free_sgpr 0
		.amdhsa_accum_offset 4
		.amdhsa_reserve_vcc 0
		.amdhsa_reserve_flat_scratch 0
		.amdhsa_float_round_mode_32 0
		.amdhsa_float_round_mode_16_64 0
		.amdhsa_float_denorm_mode_32 3
		.amdhsa_float_denorm_mode_16_64 3
		.amdhsa_dx10_clamp 1
		.amdhsa_ieee_mode 1
		.amdhsa_fp16_overflow 0
		.amdhsa_tg_split 0
		.amdhsa_exception_fp_ieee_invalid_op 0
		.amdhsa_exception_fp_denorm_src 0
		.amdhsa_exception_fp_ieee_div_zero 0
		.amdhsa_exception_fp_ieee_overflow 0
		.amdhsa_exception_fp_ieee_underflow 0
		.amdhsa_exception_fp_ieee_inexact 0
		.amdhsa_exception_int_div_zero 0
	.end_amdhsa_kernel
	.section	.text._ZN7rocprim17ROCPRIM_400000_NS6detail17trampoline_kernelINS0_14default_configENS1_21merge_config_selectorIjNS0_10empty_typeEEEZNS1_10merge_implIS3_N6thrust23THRUST_200600_302600_NS6detail15normal_iteratorINS9_10device_ptrIKjEEEESF_NSB_INSC_IjEEEEPS5_SI_SI_NS9_4lessIjEEEE10hipError_tPvRmT0_T1_T2_T3_T4_T5_mmT6_P12ihipStream_tbEUlT_E_NS1_11comp_targetILNS1_3genE2ELNS1_11target_archE906ELNS1_3gpuE6ELNS1_3repE0EEENS1_30default_config_static_selectorELNS0_4arch9wavefront6targetE1EEEvSP_,"axG",@progbits,_ZN7rocprim17ROCPRIM_400000_NS6detail17trampoline_kernelINS0_14default_configENS1_21merge_config_selectorIjNS0_10empty_typeEEEZNS1_10merge_implIS3_N6thrust23THRUST_200600_302600_NS6detail15normal_iteratorINS9_10device_ptrIKjEEEESF_NSB_INSC_IjEEEEPS5_SI_SI_NS9_4lessIjEEEE10hipError_tPvRmT0_T1_T2_T3_T4_T5_mmT6_P12ihipStream_tbEUlT_E_NS1_11comp_targetILNS1_3genE2ELNS1_11target_archE906ELNS1_3gpuE6ELNS1_3repE0EEENS1_30default_config_static_selectorELNS0_4arch9wavefront6targetE1EEEvSP_,comdat
.Lfunc_end137:
	.size	_ZN7rocprim17ROCPRIM_400000_NS6detail17trampoline_kernelINS0_14default_configENS1_21merge_config_selectorIjNS0_10empty_typeEEEZNS1_10merge_implIS3_N6thrust23THRUST_200600_302600_NS6detail15normal_iteratorINS9_10device_ptrIKjEEEESF_NSB_INSC_IjEEEEPS5_SI_SI_NS9_4lessIjEEEE10hipError_tPvRmT0_T1_T2_T3_T4_T5_mmT6_P12ihipStream_tbEUlT_E_NS1_11comp_targetILNS1_3genE2ELNS1_11target_archE906ELNS1_3gpuE6ELNS1_3repE0EEENS1_30default_config_static_selectorELNS0_4arch9wavefront6targetE1EEEvSP_, .Lfunc_end137-_ZN7rocprim17ROCPRIM_400000_NS6detail17trampoline_kernelINS0_14default_configENS1_21merge_config_selectorIjNS0_10empty_typeEEEZNS1_10merge_implIS3_N6thrust23THRUST_200600_302600_NS6detail15normal_iteratorINS9_10device_ptrIKjEEEESF_NSB_INSC_IjEEEEPS5_SI_SI_NS9_4lessIjEEEE10hipError_tPvRmT0_T1_T2_T3_T4_T5_mmT6_P12ihipStream_tbEUlT_E_NS1_11comp_targetILNS1_3genE2ELNS1_11target_archE906ELNS1_3gpuE6ELNS1_3repE0EEENS1_30default_config_static_selectorELNS0_4arch9wavefront6targetE1EEEvSP_
                                        ; -- End function
	.section	.AMDGPU.csdata,"",@progbits
; Kernel info:
; codeLenInByte = 0
; NumSgprs: 4
; NumVgprs: 0
; NumAgprs: 0
; TotalNumVgprs: 0
; ScratchSize: 0
; MemoryBound: 0
; FloatMode: 240
; IeeeMode: 1
; LDSByteSize: 0 bytes/workgroup (compile time only)
; SGPRBlocks: 0
; VGPRBlocks: 0
; NumSGPRsForWavesPerEU: 4
; NumVGPRsForWavesPerEU: 1
; AccumOffset: 4
; Occupancy: 8
; WaveLimiterHint : 0
; COMPUTE_PGM_RSRC2:SCRATCH_EN: 0
; COMPUTE_PGM_RSRC2:USER_SGPR: 6
; COMPUTE_PGM_RSRC2:TRAP_HANDLER: 0
; COMPUTE_PGM_RSRC2:TGID_X_EN: 1
; COMPUTE_PGM_RSRC2:TGID_Y_EN: 0
; COMPUTE_PGM_RSRC2:TGID_Z_EN: 0
; COMPUTE_PGM_RSRC2:TIDIG_COMP_CNT: 0
; COMPUTE_PGM_RSRC3_GFX90A:ACCUM_OFFSET: 0
; COMPUTE_PGM_RSRC3_GFX90A:TG_SPLIT: 0
	.section	.text._ZN7rocprim17ROCPRIM_400000_NS6detail17trampoline_kernelINS0_14default_configENS1_21merge_config_selectorIjNS0_10empty_typeEEEZNS1_10merge_implIS3_N6thrust23THRUST_200600_302600_NS6detail15normal_iteratorINS9_10device_ptrIKjEEEESF_NSB_INSC_IjEEEEPS5_SI_SI_NS9_4lessIjEEEE10hipError_tPvRmT0_T1_T2_T3_T4_T5_mmT6_P12ihipStream_tbEUlT_E_NS1_11comp_targetILNS1_3genE10ELNS1_11target_archE1201ELNS1_3gpuE5ELNS1_3repE0EEENS1_30default_config_static_selectorELNS0_4arch9wavefront6targetE1EEEvSP_,"axG",@progbits,_ZN7rocprim17ROCPRIM_400000_NS6detail17trampoline_kernelINS0_14default_configENS1_21merge_config_selectorIjNS0_10empty_typeEEEZNS1_10merge_implIS3_N6thrust23THRUST_200600_302600_NS6detail15normal_iteratorINS9_10device_ptrIKjEEEESF_NSB_INSC_IjEEEEPS5_SI_SI_NS9_4lessIjEEEE10hipError_tPvRmT0_T1_T2_T3_T4_T5_mmT6_P12ihipStream_tbEUlT_E_NS1_11comp_targetILNS1_3genE10ELNS1_11target_archE1201ELNS1_3gpuE5ELNS1_3repE0EEENS1_30default_config_static_selectorELNS0_4arch9wavefront6targetE1EEEvSP_,comdat
	.protected	_ZN7rocprim17ROCPRIM_400000_NS6detail17trampoline_kernelINS0_14default_configENS1_21merge_config_selectorIjNS0_10empty_typeEEEZNS1_10merge_implIS3_N6thrust23THRUST_200600_302600_NS6detail15normal_iteratorINS9_10device_ptrIKjEEEESF_NSB_INSC_IjEEEEPS5_SI_SI_NS9_4lessIjEEEE10hipError_tPvRmT0_T1_T2_T3_T4_T5_mmT6_P12ihipStream_tbEUlT_E_NS1_11comp_targetILNS1_3genE10ELNS1_11target_archE1201ELNS1_3gpuE5ELNS1_3repE0EEENS1_30default_config_static_selectorELNS0_4arch9wavefront6targetE1EEEvSP_ ; -- Begin function _ZN7rocprim17ROCPRIM_400000_NS6detail17trampoline_kernelINS0_14default_configENS1_21merge_config_selectorIjNS0_10empty_typeEEEZNS1_10merge_implIS3_N6thrust23THRUST_200600_302600_NS6detail15normal_iteratorINS9_10device_ptrIKjEEEESF_NSB_INSC_IjEEEEPS5_SI_SI_NS9_4lessIjEEEE10hipError_tPvRmT0_T1_T2_T3_T4_T5_mmT6_P12ihipStream_tbEUlT_E_NS1_11comp_targetILNS1_3genE10ELNS1_11target_archE1201ELNS1_3gpuE5ELNS1_3repE0EEENS1_30default_config_static_selectorELNS0_4arch9wavefront6targetE1EEEvSP_
	.globl	_ZN7rocprim17ROCPRIM_400000_NS6detail17trampoline_kernelINS0_14default_configENS1_21merge_config_selectorIjNS0_10empty_typeEEEZNS1_10merge_implIS3_N6thrust23THRUST_200600_302600_NS6detail15normal_iteratorINS9_10device_ptrIKjEEEESF_NSB_INSC_IjEEEEPS5_SI_SI_NS9_4lessIjEEEE10hipError_tPvRmT0_T1_T2_T3_T4_T5_mmT6_P12ihipStream_tbEUlT_E_NS1_11comp_targetILNS1_3genE10ELNS1_11target_archE1201ELNS1_3gpuE5ELNS1_3repE0EEENS1_30default_config_static_selectorELNS0_4arch9wavefront6targetE1EEEvSP_
	.p2align	8
	.type	_ZN7rocprim17ROCPRIM_400000_NS6detail17trampoline_kernelINS0_14default_configENS1_21merge_config_selectorIjNS0_10empty_typeEEEZNS1_10merge_implIS3_N6thrust23THRUST_200600_302600_NS6detail15normal_iteratorINS9_10device_ptrIKjEEEESF_NSB_INSC_IjEEEEPS5_SI_SI_NS9_4lessIjEEEE10hipError_tPvRmT0_T1_T2_T3_T4_T5_mmT6_P12ihipStream_tbEUlT_E_NS1_11comp_targetILNS1_3genE10ELNS1_11target_archE1201ELNS1_3gpuE5ELNS1_3repE0EEENS1_30default_config_static_selectorELNS0_4arch9wavefront6targetE1EEEvSP_,@function
_ZN7rocprim17ROCPRIM_400000_NS6detail17trampoline_kernelINS0_14default_configENS1_21merge_config_selectorIjNS0_10empty_typeEEEZNS1_10merge_implIS3_N6thrust23THRUST_200600_302600_NS6detail15normal_iteratorINS9_10device_ptrIKjEEEESF_NSB_INSC_IjEEEEPS5_SI_SI_NS9_4lessIjEEEE10hipError_tPvRmT0_T1_T2_T3_T4_T5_mmT6_P12ihipStream_tbEUlT_E_NS1_11comp_targetILNS1_3genE10ELNS1_11target_archE1201ELNS1_3gpuE5ELNS1_3repE0EEENS1_30default_config_static_selectorELNS0_4arch9wavefront6targetE1EEEvSP_: ; @_ZN7rocprim17ROCPRIM_400000_NS6detail17trampoline_kernelINS0_14default_configENS1_21merge_config_selectorIjNS0_10empty_typeEEEZNS1_10merge_implIS3_N6thrust23THRUST_200600_302600_NS6detail15normal_iteratorINS9_10device_ptrIKjEEEESF_NSB_INSC_IjEEEEPS5_SI_SI_NS9_4lessIjEEEE10hipError_tPvRmT0_T1_T2_T3_T4_T5_mmT6_P12ihipStream_tbEUlT_E_NS1_11comp_targetILNS1_3genE10ELNS1_11target_archE1201ELNS1_3gpuE5ELNS1_3repE0EEENS1_30default_config_static_selectorELNS0_4arch9wavefront6targetE1EEEvSP_
; %bb.0:
	.section	.rodata,"a",@progbits
	.p2align	6, 0x0
	.amdhsa_kernel _ZN7rocprim17ROCPRIM_400000_NS6detail17trampoline_kernelINS0_14default_configENS1_21merge_config_selectorIjNS0_10empty_typeEEEZNS1_10merge_implIS3_N6thrust23THRUST_200600_302600_NS6detail15normal_iteratorINS9_10device_ptrIKjEEEESF_NSB_INSC_IjEEEEPS5_SI_SI_NS9_4lessIjEEEE10hipError_tPvRmT0_T1_T2_T3_T4_T5_mmT6_P12ihipStream_tbEUlT_E_NS1_11comp_targetILNS1_3genE10ELNS1_11target_archE1201ELNS1_3gpuE5ELNS1_3repE0EEENS1_30default_config_static_selectorELNS0_4arch9wavefront6targetE1EEEvSP_
		.amdhsa_group_segment_fixed_size 0
		.amdhsa_private_segment_fixed_size 0
		.amdhsa_kernarg_size 48
		.amdhsa_user_sgpr_count 6
		.amdhsa_user_sgpr_private_segment_buffer 1
		.amdhsa_user_sgpr_dispatch_ptr 0
		.amdhsa_user_sgpr_queue_ptr 0
		.amdhsa_user_sgpr_kernarg_segment_ptr 1
		.amdhsa_user_sgpr_dispatch_id 0
		.amdhsa_user_sgpr_flat_scratch_init 0
		.amdhsa_user_sgpr_kernarg_preload_length 0
		.amdhsa_user_sgpr_kernarg_preload_offset 0
		.amdhsa_user_sgpr_private_segment_size 0
		.amdhsa_uses_dynamic_stack 0
		.amdhsa_system_sgpr_private_segment_wavefront_offset 0
		.amdhsa_system_sgpr_workgroup_id_x 1
		.amdhsa_system_sgpr_workgroup_id_y 0
		.amdhsa_system_sgpr_workgroup_id_z 0
		.amdhsa_system_sgpr_workgroup_info 0
		.amdhsa_system_vgpr_workitem_id 0
		.amdhsa_next_free_vgpr 1
		.amdhsa_next_free_sgpr 0
		.amdhsa_accum_offset 4
		.amdhsa_reserve_vcc 0
		.amdhsa_reserve_flat_scratch 0
		.amdhsa_float_round_mode_32 0
		.amdhsa_float_round_mode_16_64 0
		.amdhsa_float_denorm_mode_32 3
		.amdhsa_float_denorm_mode_16_64 3
		.amdhsa_dx10_clamp 1
		.amdhsa_ieee_mode 1
		.amdhsa_fp16_overflow 0
		.amdhsa_tg_split 0
		.amdhsa_exception_fp_ieee_invalid_op 0
		.amdhsa_exception_fp_denorm_src 0
		.amdhsa_exception_fp_ieee_div_zero 0
		.amdhsa_exception_fp_ieee_overflow 0
		.amdhsa_exception_fp_ieee_underflow 0
		.amdhsa_exception_fp_ieee_inexact 0
		.amdhsa_exception_int_div_zero 0
	.end_amdhsa_kernel
	.section	.text._ZN7rocprim17ROCPRIM_400000_NS6detail17trampoline_kernelINS0_14default_configENS1_21merge_config_selectorIjNS0_10empty_typeEEEZNS1_10merge_implIS3_N6thrust23THRUST_200600_302600_NS6detail15normal_iteratorINS9_10device_ptrIKjEEEESF_NSB_INSC_IjEEEEPS5_SI_SI_NS9_4lessIjEEEE10hipError_tPvRmT0_T1_T2_T3_T4_T5_mmT6_P12ihipStream_tbEUlT_E_NS1_11comp_targetILNS1_3genE10ELNS1_11target_archE1201ELNS1_3gpuE5ELNS1_3repE0EEENS1_30default_config_static_selectorELNS0_4arch9wavefront6targetE1EEEvSP_,"axG",@progbits,_ZN7rocprim17ROCPRIM_400000_NS6detail17trampoline_kernelINS0_14default_configENS1_21merge_config_selectorIjNS0_10empty_typeEEEZNS1_10merge_implIS3_N6thrust23THRUST_200600_302600_NS6detail15normal_iteratorINS9_10device_ptrIKjEEEESF_NSB_INSC_IjEEEEPS5_SI_SI_NS9_4lessIjEEEE10hipError_tPvRmT0_T1_T2_T3_T4_T5_mmT6_P12ihipStream_tbEUlT_E_NS1_11comp_targetILNS1_3genE10ELNS1_11target_archE1201ELNS1_3gpuE5ELNS1_3repE0EEENS1_30default_config_static_selectorELNS0_4arch9wavefront6targetE1EEEvSP_,comdat
.Lfunc_end138:
	.size	_ZN7rocprim17ROCPRIM_400000_NS6detail17trampoline_kernelINS0_14default_configENS1_21merge_config_selectorIjNS0_10empty_typeEEEZNS1_10merge_implIS3_N6thrust23THRUST_200600_302600_NS6detail15normal_iteratorINS9_10device_ptrIKjEEEESF_NSB_INSC_IjEEEEPS5_SI_SI_NS9_4lessIjEEEE10hipError_tPvRmT0_T1_T2_T3_T4_T5_mmT6_P12ihipStream_tbEUlT_E_NS1_11comp_targetILNS1_3genE10ELNS1_11target_archE1201ELNS1_3gpuE5ELNS1_3repE0EEENS1_30default_config_static_selectorELNS0_4arch9wavefront6targetE1EEEvSP_, .Lfunc_end138-_ZN7rocprim17ROCPRIM_400000_NS6detail17trampoline_kernelINS0_14default_configENS1_21merge_config_selectorIjNS0_10empty_typeEEEZNS1_10merge_implIS3_N6thrust23THRUST_200600_302600_NS6detail15normal_iteratorINS9_10device_ptrIKjEEEESF_NSB_INSC_IjEEEEPS5_SI_SI_NS9_4lessIjEEEE10hipError_tPvRmT0_T1_T2_T3_T4_T5_mmT6_P12ihipStream_tbEUlT_E_NS1_11comp_targetILNS1_3genE10ELNS1_11target_archE1201ELNS1_3gpuE5ELNS1_3repE0EEENS1_30default_config_static_selectorELNS0_4arch9wavefront6targetE1EEEvSP_
                                        ; -- End function
	.section	.AMDGPU.csdata,"",@progbits
; Kernel info:
; codeLenInByte = 0
; NumSgprs: 4
; NumVgprs: 0
; NumAgprs: 0
; TotalNumVgprs: 0
; ScratchSize: 0
; MemoryBound: 0
; FloatMode: 240
; IeeeMode: 1
; LDSByteSize: 0 bytes/workgroup (compile time only)
; SGPRBlocks: 0
; VGPRBlocks: 0
; NumSGPRsForWavesPerEU: 4
; NumVGPRsForWavesPerEU: 1
; AccumOffset: 4
; Occupancy: 8
; WaveLimiterHint : 0
; COMPUTE_PGM_RSRC2:SCRATCH_EN: 0
; COMPUTE_PGM_RSRC2:USER_SGPR: 6
; COMPUTE_PGM_RSRC2:TRAP_HANDLER: 0
; COMPUTE_PGM_RSRC2:TGID_X_EN: 1
; COMPUTE_PGM_RSRC2:TGID_Y_EN: 0
; COMPUTE_PGM_RSRC2:TGID_Z_EN: 0
; COMPUTE_PGM_RSRC2:TIDIG_COMP_CNT: 0
; COMPUTE_PGM_RSRC3_GFX90A:ACCUM_OFFSET: 0
; COMPUTE_PGM_RSRC3_GFX90A:TG_SPLIT: 0
	.section	.text._ZN7rocprim17ROCPRIM_400000_NS6detail17trampoline_kernelINS0_14default_configENS1_21merge_config_selectorIjNS0_10empty_typeEEEZNS1_10merge_implIS3_N6thrust23THRUST_200600_302600_NS6detail15normal_iteratorINS9_10device_ptrIKjEEEESF_NSB_INSC_IjEEEEPS5_SI_SI_NS9_4lessIjEEEE10hipError_tPvRmT0_T1_T2_T3_T4_T5_mmT6_P12ihipStream_tbEUlT_E_NS1_11comp_targetILNS1_3genE10ELNS1_11target_archE1200ELNS1_3gpuE4ELNS1_3repE0EEENS1_30default_config_static_selectorELNS0_4arch9wavefront6targetE1EEEvSP_,"axG",@progbits,_ZN7rocprim17ROCPRIM_400000_NS6detail17trampoline_kernelINS0_14default_configENS1_21merge_config_selectorIjNS0_10empty_typeEEEZNS1_10merge_implIS3_N6thrust23THRUST_200600_302600_NS6detail15normal_iteratorINS9_10device_ptrIKjEEEESF_NSB_INSC_IjEEEEPS5_SI_SI_NS9_4lessIjEEEE10hipError_tPvRmT0_T1_T2_T3_T4_T5_mmT6_P12ihipStream_tbEUlT_E_NS1_11comp_targetILNS1_3genE10ELNS1_11target_archE1200ELNS1_3gpuE4ELNS1_3repE0EEENS1_30default_config_static_selectorELNS0_4arch9wavefront6targetE1EEEvSP_,comdat
	.protected	_ZN7rocprim17ROCPRIM_400000_NS6detail17trampoline_kernelINS0_14default_configENS1_21merge_config_selectorIjNS0_10empty_typeEEEZNS1_10merge_implIS3_N6thrust23THRUST_200600_302600_NS6detail15normal_iteratorINS9_10device_ptrIKjEEEESF_NSB_INSC_IjEEEEPS5_SI_SI_NS9_4lessIjEEEE10hipError_tPvRmT0_T1_T2_T3_T4_T5_mmT6_P12ihipStream_tbEUlT_E_NS1_11comp_targetILNS1_3genE10ELNS1_11target_archE1200ELNS1_3gpuE4ELNS1_3repE0EEENS1_30default_config_static_selectorELNS0_4arch9wavefront6targetE1EEEvSP_ ; -- Begin function _ZN7rocprim17ROCPRIM_400000_NS6detail17trampoline_kernelINS0_14default_configENS1_21merge_config_selectorIjNS0_10empty_typeEEEZNS1_10merge_implIS3_N6thrust23THRUST_200600_302600_NS6detail15normal_iteratorINS9_10device_ptrIKjEEEESF_NSB_INSC_IjEEEEPS5_SI_SI_NS9_4lessIjEEEE10hipError_tPvRmT0_T1_T2_T3_T4_T5_mmT6_P12ihipStream_tbEUlT_E_NS1_11comp_targetILNS1_3genE10ELNS1_11target_archE1200ELNS1_3gpuE4ELNS1_3repE0EEENS1_30default_config_static_selectorELNS0_4arch9wavefront6targetE1EEEvSP_
	.globl	_ZN7rocprim17ROCPRIM_400000_NS6detail17trampoline_kernelINS0_14default_configENS1_21merge_config_selectorIjNS0_10empty_typeEEEZNS1_10merge_implIS3_N6thrust23THRUST_200600_302600_NS6detail15normal_iteratorINS9_10device_ptrIKjEEEESF_NSB_INSC_IjEEEEPS5_SI_SI_NS9_4lessIjEEEE10hipError_tPvRmT0_T1_T2_T3_T4_T5_mmT6_P12ihipStream_tbEUlT_E_NS1_11comp_targetILNS1_3genE10ELNS1_11target_archE1200ELNS1_3gpuE4ELNS1_3repE0EEENS1_30default_config_static_selectorELNS0_4arch9wavefront6targetE1EEEvSP_
	.p2align	8
	.type	_ZN7rocprim17ROCPRIM_400000_NS6detail17trampoline_kernelINS0_14default_configENS1_21merge_config_selectorIjNS0_10empty_typeEEEZNS1_10merge_implIS3_N6thrust23THRUST_200600_302600_NS6detail15normal_iteratorINS9_10device_ptrIKjEEEESF_NSB_INSC_IjEEEEPS5_SI_SI_NS9_4lessIjEEEE10hipError_tPvRmT0_T1_T2_T3_T4_T5_mmT6_P12ihipStream_tbEUlT_E_NS1_11comp_targetILNS1_3genE10ELNS1_11target_archE1200ELNS1_3gpuE4ELNS1_3repE0EEENS1_30default_config_static_selectorELNS0_4arch9wavefront6targetE1EEEvSP_,@function
_ZN7rocprim17ROCPRIM_400000_NS6detail17trampoline_kernelINS0_14default_configENS1_21merge_config_selectorIjNS0_10empty_typeEEEZNS1_10merge_implIS3_N6thrust23THRUST_200600_302600_NS6detail15normal_iteratorINS9_10device_ptrIKjEEEESF_NSB_INSC_IjEEEEPS5_SI_SI_NS9_4lessIjEEEE10hipError_tPvRmT0_T1_T2_T3_T4_T5_mmT6_P12ihipStream_tbEUlT_E_NS1_11comp_targetILNS1_3genE10ELNS1_11target_archE1200ELNS1_3gpuE4ELNS1_3repE0EEENS1_30default_config_static_selectorELNS0_4arch9wavefront6targetE1EEEvSP_: ; @_ZN7rocprim17ROCPRIM_400000_NS6detail17trampoline_kernelINS0_14default_configENS1_21merge_config_selectorIjNS0_10empty_typeEEEZNS1_10merge_implIS3_N6thrust23THRUST_200600_302600_NS6detail15normal_iteratorINS9_10device_ptrIKjEEEESF_NSB_INSC_IjEEEEPS5_SI_SI_NS9_4lessIjEEEE10hipError_tPvRmT0_T1_T2_T3_T4_T5_mmT6_P12ihipStream_tbEUlT_E_NS1_11comp_targetILNS1_3genE10ELNS1_11target_archE1200ELNS1_3gpuE4ELNS1_3repE0EEENS1_30default_config_static_selectorELNS0_4arch9wavefront6targetE1EEEvSP_
; %bb.0:
	.section	.rodata,"a",@progbits
	.p2align	6, 0x0
	.amdhsa_kernel _ZN7rocprim17ROCPRIM_400000_NS6detail17trampoline_kernelINS0_14default_configENS1_21merge_config_selectorIjNS0_10empty_typeEEEZNS1_10merge_implIS3_N6thrust23THRUST_200600_302600_NS6detail15normal_iteratorINS9_10device_ptrIKjEEEESF_NSB_INSC_IjEEEEPS5_SI_SI_NS9_4lessIjEEEE10hipError_tPvRmT0_T1_T2_T3_T4_T5_mmT6_P12ihipStream_tbEUlT_E_NS1_11comp_targetILNS1_3genE10ELNS1_11target_archE1200ELNS1_3gpuE4ELNS1_3repE0EEENS1_30default_config_static_selectorELNS0_4arch9wavefront6targetE1EEEvSP_
		.amdhsa_group_segment_fixed_size 0
		.amdhsa_private_segment_fixed_size 0
		.amdhsa_kernarg_size 48
		.amdhsa_user_sgpr_count 6
		.amdhsa_user_sgpr_private_segment_buffer 1
		.amdhsa_user_sgpr_dispatch_ptr 0
		.amdhsa_user_sgpr_queue_ptr 0
		.amdhsa_user_sgpr_kernarg_segment_ptr 1
		.amdhsa_user_sgpr_dispatch_id 0
		.amdhsa_user_sgpr_flat_scratch_init 0
		.amdhsa_user_sgpr_kernarg_preload_length 0
		.amdhsa_user_sgpr_kernarg_preload_offset 0
		.amdhsa_user_sgpr_private_segment_size 0
		.amdhsa_uses_dynamic_stack 0
		.amdhsa_system_sgpr_private_segment_wavefront_offset 0
		.amdhsa_system_sgpr_workgroup_id_x 1
		.amdhsa_system_sgpr_workgroup_id_y 0
		.amdhsa_system_sgpr_workgroup_id_z 0
		.amdhsa_system_sgpr_workgroup_info 0
		.amdhsa_system_vgpr_workitem_id 0
		.amdhsa_next_free_vgpr 1
		.amdhsa_next_free_sgpr 0
		.amdhsa_accum_offset 4
		.amdhsa_reserve_vcc 0
		.amdhsa_reserve_flat_scratch 0
		.amdhsa_float_round_mode_32 0
		.amdhsa_float_round_mode_16_64 0
		.amdhsa_float_denorm_mode_32 3
		.amdhsa_float_denorm_mode_16_64 3
		.amdhsa_dx10_clamp 1
		.amdhsa_ieee_mode 1
		.amdhsa_fp16_overflow 0
		.amdhsa_tg_split 0
		.amdhsa_exception_fp_ieee_invalid_op 0
		.amdhsa_exception_fp_denorm_src 0
		.amdhsa_exception_fp_ieee_div_zero 0
		.amdhsa_exception_fp_ieee_overflow 0
		.amdhsa_exception_fp_ieee_underflow 0
		.amdhsa_exception_fp_ieee_inexact 0
		.amdhsa_exception_int_div_zero 0
	.end_amdhsa_kernel
	.section	.text._ZN7rocprim17ROCPRIM_400000_NS6detail17trampoline_kernelINS0_14default_configENS1_21merge_config_selectorIjNS0_10empty_typeEEEZNS1_10merge_implIS3_N6thrust23THRUST_200600_302600_NS6detail15normal_iteratorINS9_10device_ptrIKjEEEESF_NSB_INSC_IjEEEEPS5_SI_SI_NS9_4lessIjEEEE10hipError_tPvRmT0_T1_T2_T3_T4_T5_mmT6_P12ihipStream_tbEUlT_E_NS1_11comp_targetILNS1_3genE10ELNS1_11target_archE1200ELNS1_3gpuE4ELNS1_3repE0EEENS1_30default_config_static_selectorELNS0_4arch9wavefront6targetE1EEEvSP_,"axG",@progbits,_ZN7rocprim17ROCPRIM_400000_NS6detail17trampoline_kernelINS0_14default_configENS1_21merge_config_selectorIjNS0_10empty_typeEEEZNS1_10merge_implIS3_N6thrust23THRUST_200600_302600_NS6detail15normal_iteratorINS9_10device_ptrIKjEEEESF_NSB_INSC_IjEEEEPS5_SI_SI_NS9_4lessIjEEEE10hipError_tPvRmT0_T1_T2_T3_T4_T5_mmT6_P12ihipStream_tbEUlT_E_NS1_11comp_targetILNS1_3genE10ELNS1_11target_archE1200ELNS1_3gpuE4ELNS1_3repE0EEENS1_30default_config_static_selectorELNS0_4arch9wavefront6targetE1EEEvSP_,comdat
.Lfunc_end139:
	.size	_ZN7rocprim17ROCPRIM_400000_NS6detail17trampoline_kernelINS0_14default_configENS1_21merge_config_selectorIjNS0_10empty_typeEEEZNS1_10merge_implIS3_N6thrust23THRUST_200600_302600_NS6detail15normal_iteratorINS9_10device_ptrIKjEEEESF_NSB_INSC_IjEEEEPS5_SI_SI_NS9_4lessIjEEEE10hipError_tPvRmT0_T1_T2_T3_T4_T5_mmT6_P12ihipStream_tbEUlT_E_NS1_11comp_targetILNS1_3genE10ELNS1_11target_archE1200ELNS1_3gpuE4ELNS1_3repE0EEENS1_30default_config_static_selectorELNS0_4arch9wavefront6targetE1EEEvSP_, .Lfunc_end139-_ZN7rocprim17ROCPRIM_400000_NS6detail17trampoline_kernelINS0_14default_configENS1_21merge_config_selectorIjNS0_10empty_typeEEEZNS1_10merge_implIS3_N6thrust23THRUST_200600_302600_NS6detail15normal_iteratorINS9_10device_ptrIKjEEEESF_NSB_INSC_IjEEEEPS5_SI_SI_NS9_4lessIjEEEE10hipError_tPvRmT0_T1_T2_T3_T4_T5_mmT6_P12ihipStream_tbEUlT_E_NS1_11comp_targetILNS1_3genE10ELNS1_11target_archE1200ELNS1_3gpuE4ELNS1_3repE0EEENS1_30default_config_static_selectorELNS0_4arch9wavefront6targetE1EEEvSP_
                                        ; -- End function
	.section	.AMDGPU.csdata,"",@progbits
; Kernel info:
; codeLenInByte = 0
; NumSgprs: 4
; NumVgprs: 0
; NumAgprs: 0
; TotalNumVgprs: 0
; ScratchSize: 0
; MemoryBound: 0
; FloatMode: 240
; IeeeMode: 1
; LDSByteSize: 0 bytes/workgroup (compile time only)
; SGPRBlocks: 0
; VGPRBlocks: 0
; NumSGPRsForWavesPerEU: 4
; NumVGPRsForWavesPerEU: 1
; AccumOffset: 4
; Occupancy: 8
; WaveLimiterHint : 0
; COMPUTE_PGM_RSRC2:SCRATCH_EN: 0
; COMPUTE_PGM_RSRC2:USER_SGPR: 6
; COMPUTE_PGM_RSRC2:TRAP_HANDLER: 0
; COMPUTE_PGM_RSRC2:TGID_X_EN: 1
; COMPUTE_PGM_RSRC2:TGID_Y_EN: 0
; COMPUTE_PGM_RSRC2:TGID_Z_EN: 0
; COMPUTE_PGM_RSRC2:TIDIG_COMP_CNT: 0
; COMPUTE_PGM_RSRC3_GFX90A:ACCUM_OFFSET: 0
; COMPUTE_PGM_RSRC3_GFX90A:TG_SPLIT: 0
	.section	.text._ZN7rocprim17ROCPRIM_400000_NS6detail17trampoline_kernelINS0_14default_configENS1_21merge_config_selectorIjNS0_10empty_typeEEEZNS1_10merge_implIS3_N6thrust23THRUST_200600_302600_NS6detail15normal_iteratorINS9_10device_ptrIKjEEEESF_NSB_INSC_IjEEEEPS5_SI_SI_NS9_4lessIjEEEE10hipError_tPvRmT0_T1_T2_T3_T4_T5_mmT6_P12ihipStream_tbEUlT_E_NS1_11comp_targetILNS1_3genE9ELNS1_11target_archE1100ELNS1_3gpuE3ELNS1_3repE0EEENS1_30default_config_static_selectorELNS0_4arch9wavefront6targetE1EEEvSP_,"axG",@progbits,_ZN7rocprim17ROCPRIM_400000_NS6detail17trampoline_kernelINS0_14default_configENS1_21merge_config_selectorIjNS0_10empty_typeEEEZNS1_10merge_implIS3_N6thrust23THRUST_200600_302600_NS6detail15normal_iteratorINS9_10device_ptrIKjEEEESF_NSB_INSC_IjEEEEPS5_SI_SI_NS9_4lessIjEEEE10hipError_tPvRmT0_T1_T2_T3_T4_T5_mmT6_P12ihipStream_tbEUlT_E_NS1_11comp_targetILNS1_3genE9ELNS1_11target_archE1100ELNS1_3gpuE3ELNS1_3repE0EEENS1_30default_config_static_selectorELNS0_4arch9wavefront6targetE1EEEvSP_,comdat
	.protected	_ZN7rocprim17ROCPRIM_400000_NS6detail17trampoline_kernelINS0_14default_configENS1_21merge_config_selectorIjNS0_10empty_typeEEEZNS1_10merge_implIS3_N6thrust23THRUST_200600_302600_NS6detail15normal_iteratorINS9_10device_ptrIKjEEEESF_NSB_INSC_IjEEEEPS5_SI_SI_NS9_4lessIjEEEE10hipError_tPvRmT0_T1_T2_T3_T4_T5_mmT6_P12ihipStream_tbEUlT_E_NS1_11comp_targetILNS1_3genE9ELNS1_11target_archE1100ELNS1_3gpuE3ELNS1_3repE0EEENS1_30default_config_static_selectorELNS0_4arch9wavefront6targetE1EEEvSP_ ; -- Begin function _ZN7rocprim17ROCPRIM_400000_NS6detail17trampoline_kernelINS0_14default_configENS1_21merge_config_selectorIjNS0_10empty_typeEEEZNS1_10merge_implIS3_N6thrust23THRUST_200600_302600_NS6detail15normal_iteratorINS9_10device_ptrIKjEEEESF_NSB_INSC_IjEEEEPS5_SI_SI_NS9_4lessIjEEEE10hipError_tPvRmT0_T1_T2_T3_T4_T5_mmT6_P12ihipStream_tbEUlT_E_NS1_11comp_targetILNS1_3genE9ELNS1_11target_archE1100ELNS1_3gpuE3ELNS1_3repE0EEENS1_30default_config_static_selectorELNS0_4arch9wavefront6targetE1EEEvSP_
	.globl	_ZN7rocprim17ROCPRIM_400000_NS6detail17trampoline_kernelINS0_14default_configENS1_21merge_config_selectorIjNS0_10empty_typeEEEZNS1_10merge_implIS3_N6thrust23THRUST_200600_302600_NS6detail15normal_iteratorINS9_10device_ptrIKjEEEESF_NSB_INSC_IjEEEEPS5_SI_SI_NS9_4lessIjEEEE10hipError_tPvRmT0_T1_T2_T3_T4_T5_mmT6_P12ihipStream_tbEUlT_E_NS1_11comp_targetILNS1_3genE9ELNS1_11target_archE1100ELNS1_3gpuE3ELNS1_3repE0EEENS1_30default_config_static_selectorELNS0_4arch9wavefront6targetE1EEEvSP_
	.p2align	8
	.type	_ZN7rocprim17ROCPRIM_400000_NS6detail17trampoline_kernelINS0_14default_configENS1_21merge_config_selectorIjNS0_10empty_typeEEEZNS1_10merge_implIS3_N6thrust23THRUST_200600_302600_NS6detail15normal_iteratorINS9_10device_ptrIKjEEEESF_NSB_INSC_IjEEEEPS5_SI_SI_NS9_4lessIjEEEE10hipError_tPvRmT0_T1_T2_T3_T4_T5_mmT6_P12ihipStream_tbEUlT_E_NS1_11comp_targetILNS1_3genE9ELNS1_11target_archE1100ELNS1_3gpuE3ELNS1_3repE0EEENS1_30default_config_static_selectorELNS0_4arch9wavefront6targetE1EEEvSP_,@function
_ZN7rocprim17ROCPRIM_400000_NS6detail17trampoline_kernelINS0_14default_configENS1_21merge_config_selectorIjNS0_10empty_typeEEEZNS1_10merge_implIS3_N6thrust23THRUST_200600_302600_NS6detail15normal_iteratorINS9_10device_ptrIKjEEEESF_NSB_INSC_IjEEEEPS5_SI_SI_NS9_4lessIjEEEE10hipError_tPvRmT0_T1_T2_T3_T4_T5_mmT6_P12ihipStream_tbEUlT_E_NS1_11comp_targetILNS1_3genE9ELNS1_11target_archE1100ELNS1_3gpuE3ELNS1_3repE0EEENS1_30default_config_static_selectorELNS0_4arch9wavefront6targetE1EEEvSP_: ; @_ZN7rocprim17ROCPRIM_400000_NS6detail17trampoline_kernelINS0_14default_configENS1_21merge_config_selectorIjNS0_10empty_typeEEEZNS1_10merge_implIS3_N6thrust23THRUST_200600_302600_NS6detail15normal_iteratorINS9_10device_ptrIKjEEEESF_NSB_INSC_IjEEEEPS5_SI_SI_NS9_4lessIjEEEE10hipError_tPvRmT0_T1_T2_T3_T4_T5_mmT6_P12ihipStream_tbEUlT_E_NS1_11comp_targetILNS1_3genE9ELNS1_11target_archE1100ELNS1_3gpuE3ELNS1_3repE0EEENS1_30default_config_static_selectorELNS0_4arch9wavefront6targetE1EEEvSP_
; %bb.0:
	.section	.rodata,"a",@progbits
	.p2align	6, 0x0
	.amdhsa_kernel _ZN7rocprim17ROCPRIM_400000_NS6detail17trampoline_kernelINS0_14default_configENS1_21merge_config_selectorIjNS0_10empty_typeEEEZNS1_10merge_implIS3_N6thrust23THRUST_200600_302600_NS6detail15normal_iteratorINS9_10device_ptrIKjEEEESF_NSB_INSC_IjEEEEPS5_SI_SI_NS9_4lessIjEEEE10hipError_tPvRmT0_T1_T2_T3_T4_T5_mmT6_P12ihipStream_tbEUlT_E_NS1_11comp_targetILNS1_3genE9ELNS1_11target_archE1100ELNS1_3gpuE3ELNS1_3repE0EEENS1_30default_config_static_selectorELNS0_4arch9wavefront6targetE1EEEvSP_
		.amdhsa_group_segment_fixed_size 0
		.amdhsa_private_segment_fixed_size 0
		.amdhsa_kernarg_size 48
		.amdhsa_user_sgpr_count 6
		.amdhsa_user_sgpr_private_segment_buffer 1
		.amdhsa_user_sgpr_dispatch_ptr 0
		.amdhsa_user_sgpr_queue_ptr 0
		.amdhsa_user_sgpr_kernarg_segment_ptr 1
		.amdhsa_user_sgpr_dispatch_id 0
		.amdhsa_user_sgpr_flat_scratch_init 0
		.amdhsa_user_sgpr_kernarg_preload_length 0
		.amdhsa_user_sgpr_kernarg_preload_offset 0
		.amdhsa_user_sgpr_private_segment_size 0
		.amdhsa_uses_dynamic_stack 0
		.amdhsa_system_sgpr_private_segment_wavefront_offset 0
		.amdhsa_system_sgpr_workgroup_id_x 1
		.amdhsa_system_sgpr_workgroup_id_y 0
		.amdhsa_system_sgpr_workgroup_id_z 0
		.amdhsa_system_sgpr_workgroup_info 0
		.amdhsa_system_vgpr_workitem_id 0
		.amdhsa_next_free_vgpr 1
		.amdhsa_next_free_sgpr 0
		.amdhsa_accum_offset 4
		.amdhsa_reserve_vcc 0
		.amdhsa_reserve_flat_scratch 0
		.amdhsa_float_round_mode_32 0
		.amdhsa_float_round_mode_16_64 0
		.amdhsa_float_denorm_mode_32 3
		.amdhsa_float_denorm_mode_16_64 3
		.amdhsa_dx10_clamp 1
		.amdhsa_ieee_mode 1
		.amdhsa_fp16_overflow 0
		.amdhsa_tg_split 0
		.amdhsa_exception_fp_ieee_invalid_op 0
		.amdhsa_exception_fp_denorm_src 0
		.amdhsa_exception_fp_ieee_div_zero 0
		.amdhsa_exception_fp_ieee_overflow 0
		.amdhsa_exception_fp_ieee_underflow 0
		.amdhsa_exception_fp_ieee_inexact 0
		.amdhsa_exception_int_div_zero 0
	.end_amdhsa_kernel
	.section	.text._ZN7rocprim17ROCPRIM_400000_NS6detail17trampoline_kernelINS0_14default_configENS1_21merge_config_selectorIjNS0_10empty_typeEEEZNS1_10merge_implIS3_N6thrust23THRUST_200600_302600_NS6detail15normal_iteratorINS9_10device_ptrIKjEEEESF_NSB_INSC_IjEEEEPS5_SI_SI_NS9_4lessIjEEEE10hipError_tPvRmT0_T1_T2_T3_T4_T5_mmT6_P12ihipStream_tbEUlT_E_NS1_11comp_targetILNS1_3genE9ELNS1_11target_archE1100ELNS1_3gpuE3ELNS1_3repE0EEENS1_30default_config_static_selectorELNS0_4arch9wavefront6targetE1EEEvSP_,"axG",@progbits,_ZN7rocprim17ROCPRIM_400000_NS6detail17trampoline_kernelINS0_14default_configENS1_21merge_config_selectorIjNS0_10empty_typeEEEZNS1_10merge_implIS3_N6thrust23THRUST_200600_302600_NS6detail15normal_iteratorINS9_10device_ptrIKjEEEESF_NSB_INSC_IjEEEEPS5_SI_SI_NS9_4lessIjEEEE10hipError_tPvRmT0_T1_T2_T3_T4_T5_mmT6_P12ihipStream_tbEUlT_E_NS1_11comp_targetILNS1_3genE9ELNS1_11target_archE1100ELNS1_3gpuE3ELNS1_3repE0EEENS1_30default_config_static_selectorELNS0_4arch9wavefront6targetE1EEEvSP_,comdat
.Lfunc_end140:
	.size	_ZN7rocprim17ROCPRIM_400000_NS6detail17trampoline_kernelINS0_14default_configENS1_21merge_config_selectorIjNS0_10empty_typeEEEZNS1_10merge_implIS3_N6thrust23THRUST_200600_302600_NS6detail15normal_iteratorINS9_10device_ptrIKjEEEESF_NSB_INSC_IjEEEEPS5_SI_SI_NS9_4lessIjEEEE10hipError_tPvRmT0_T1_T2_T3_T4_T5_mmT6_P12ihipStream_tbEUlT_E_NS1_11comp_targetILNS1_3genE9ELNS1_11target_archE1100ELNS1_3gpuE3ELNS1_3repE0EEENS1_30default_config_static_selectorELNS0_4arch9wavefront6targetE1EEEvSP_, .Lfunc_end140-_ZN7rocprim17ROCPRIM_400000_NS6detail17trampoline_kernelINS0_14default_configENS1_21merge_config_selectorIjNS0_10empty_typeEEEZNS1_10merge_implIS3_N6thrust23THRUST_200600_302600_NS6detail15normal_iteratorINS9_10device_ptrIKjEEEESF_NSB_INSC_IjEEEEPS5_SI_SI_NS9_4lessIjEEEE10hipError_tPvRmT0_T1_T2_T3_T4_T5_mmT6_P12ihipStream_tbEUlT_E_NS1_11comp_targetILNS1_3genE9ELNS1_11target_archE1100ELNS1_3gpuE3ELNS1_3repE0EEENS1_30default_config_static_selectorELNS0_4arch9wavefront6targetE1EEEvSP_
                                        ; -- End function
	.section	.AMDGPU.csdata,"",@progbits
; Kernel info:
; codeLenInByte = 0
; NumSgprs: 4
; NumVgprs: 0
; NumAgprs: 0
; TotalNumVgprs: 0
; ScratchSize: 0
; MemoryBound: 0
; FloatMode: 240
; IeeeMode: 1
; LDSByteSize: 0 bytes/workgroup (compile time only)
; SGPRBlocks: 0
; VGPRBlocks: 0
; NumSGPRsForWavesPerEU: 4
; NumVGPRsForWavesPerEU: 1
; AccumOffset: 4
; Occupancy: 8
; WaveLimiterHint : 0
; COMPUTE_PGM_RSRC2:SCRATCH_EN: 0
; COMPUTE_PGM_RSRC2:USER_SGPR: 6
; COMPUTE_PGM_RSRC2:TRAP_HANDLER: 0
; COMPUTE_PGM_RSRC2:TGID_X_EN: 1
; COMPUTE_PGM_RSRC2:TGID_Y_EN: 0
; COMPUTE_PGM_RSRC2:TGID_Z_EN: 0
; COMPUTE_PGM_RSRC2:TIDIG_COMP_CNT: 0
; COMPUTE_PGM_RSRC3_GFX90A:ACCUM_OFFSET: 0
; COMPUTE_PGM_RSRC3_GFX90A:TG_SPLIT: 0
	.section	.text._ZN7rocprim17ROCPRIM_400000_NS6detail17trampoline_kernelINS0_14default_configENS1_21merge_config_selectorIjNS0_10empty_typeEEEZNS1_10merge_implIS3_N6thrust23THRUST_200600_302600_NS6detail15normal_iteratorINS9_10device_ptrIKjEEEESF_NSB_INSC_IjEEEEPS5_SI_SI_NS9_4lessIjEEEE10hipError_tPvRmT0_T1_T2_T3_T4_T5_mmT6_P12ihipStream_tbEUlT_E_NS1_11comp_targetILNS1_3genE8ELNS1_11target_archE1030ELNS1_3gpuE2ELNS1_3repE0EEENS1_30default_config_static_selectorELNS0_4arch9wavefront6targetE1EEEvSP_,"axG",@progbits,_ZN7rocprim17ROCPRIM_400000_NS6detail17trampoline_kernelINS0_14default_configENS1_21merge_config_selectorIjNS0_10empty_typeEEEZNS1_10merge_implIS3_N6thrust23THRUST_200600_302600_NS6detail15normal_iteratorINS9_10device_ptrIKjEEEESF_NSB_INSC_IjEEEEPS5_SI_SI_NS9_4lessIjEEEE10hipError_tPvRmT0_T1_T2_T3_T4_T5_mmT6_P12ihipStream_tbEUlT_E_NS1_11comp_targetILNS1_3genE8ELNS1_11target_archE1030ELNS1_3gpuE2ELNS1_3repE0EEENS1_30default_config_static_selectorELNS0_4arch9wavefront6targetE1EEEvSP_,comdat
	.protected	_ZN7rocprim17ROCPRIM_400000_NS6detail17trampoline_kernelINS0_14default_configENS1_21merge_config_selectorIjNS0_10empty_typeEEEZNS1_10merge_implIS3_N6thrust23THRUST_200600_302600_NS6detail15normal_iteratorINS9_10device_ptrIKjEEEESF_NSB_INSC_IjEEEEPS5_SI_SI_NS9_4lessIjEEEE10hipError_tPvRmT0_T1_T2_T3_T4_T5_mmT6_P12ihipStream_tbEUlT_E_NS1_11comp_targetILNS1_3genE8ELNS1_11target_archE1030ELNS1_3gpuE2ELNS1_3repE0EEENS1_30default_config_static_selectorELNS0_4arch9wavefront6targetE1EEEvSP_ ; -- Begin function _ZN7rocprim17ROCPRIM_400000_NS6detail17trampoline_kernelINS0_14default_configENS1_21merge_config_selectorIjNS0_10empty_typeEEEZNS1_10merge_implIS3_N6thrust23THRUST_200600_302600_NS6detail15normal_iteratorINS9_10device_ptrIKjEEEESF_NSB_INSC_IjEEEEPS5_SI_SI_NS9_4lessIjEEEE10hipError_tPvRmT0_T1_T2_T3_T4_T5_mmT6_P12ihipStream_tbEUlT_E_NS1_11comp_targetILNS1_3genE8ELNS1_11target_archE1030ELNS1_3gpuE2ELNS1_3repE0EEENS1_30default_config_static_selectorELNS0_4arch9wavefront6targetE1EEEvSP_
	.globl	_ZN7rocprim17ROCPRIM_400000_NS6detail17trampoline_kernelINS0_14default_configENS1_21merge_config_selectorIjNS0_10empty_typeEEEZNS1_10merge_implIS3_N6thrust23THRUST_200600_302600_NS6detail15normal_iteratorINS9_10device_ptrIKjEEEESF_NSB_INSC_IjEEEEPS5_SI_SI_NS9_4lessIjEEEE10hipError_tPvRmT0_T1_T2_T3_T4_T5_mmT6_P12ihipStream_tbEUlT_E_NS1_11comp_targetILNS1_3genE8ELNS1_11target_archE1030ELNS1_3gpuE2ELNS1_3repE0EEENS1_30default_config_static_selectorELNS0_4arch9wavefront6targetE1EEEvSP_
	.p2align	8
	.type	_ZN7rocprim17ROCPRIM_400000_NS6detail17trampoline_kernelINS0_14default_configENS1_21merge_config_selectorIjNS0_10empty_typeEEEZNS1_10merge_implIS3_N6thrust23THRUST_200600_302600_NS6detail15normal_iteratorINS9_10device_ptrIKjEEEESF_NSB_INSC_IjEEEEPS5_SI_SI_NS9_4lessIjEEEE10hipError_tPvRmT0_T1_T2_T3_T4_T5_mmT6_P12ihipStream_tbEUlT_E_NS1_11comp_targetILNS1_3genE8ELNS1_11target_archE1030ELNS1_3gpuE2ELNS1_3repE0EEENS1_30default_config_static_selectorELNS0_4arch9wavefront6targetE1EEEvSP_,@function
_ZN7rocprim17ROCPRIM_400000_NS6detail17trampoline_kernelINS0_14default_configENS1_21merge_config_selectorIjNS0_10empty_typeEEEZNS1_10merge_implIS3_N6thrust23THRUST_200600_302600_NS6detail15normal_iteratorINS9_10device_ptrIKjEEEESF_NSB_INSC_IjEEEEPS5_SI_SI_NS9_4lessIjEEEE10hipError_tPvRmT0_T1_T2_T3_T4_T5_mmT6_P12ihipStream_tbEUlT_E_NS1_11comp_targetILNS1_3genE8ELNS1_11target_archE1030ELNS1_3gpuE2ELNS1_3repE0EEENS1_30default_config_static_selectorELNS0_4arch9wavefront6targetE1EEEvSP_: ; @_ZN7rocprim17ROCPRIM_400000_NS6detail17trampoline_kernelINS0_14default_configENS1_21merge_config_selectorIjNS0_10empty_typeEEEZNS1_10merge_implIS3_N6thrust23THRUST_200600_302600_NS6detail15normal_iteratorINS9_10device_ptrIKjEEEESF_NSB_INSC_IjEEEEPS5_SI_SI_NS9_4lessIjEEEE10hipError_tPvRmT0_T1_T2_T3_T4_T5_mmT6_P12ihipStream_tbEUlT_E_NS1_11comp_targetILNS1_3genE8ELNS1_11target_archE1030ELNS1_3gpuE2ELNS1_3repE0EEENS1_30default_config_static_selectorELNS0_4arch9wavefront6targetE1EEEvSP_
; %bb.0:
	.section	.rodata,"a",@progbits
	.p2align	6, 0x0
	.amdhsa_kernel _ZN7rocprim17ROCPRIM_400000_NS6detail17trampoline_kernelINS0_14default_configENS1_21merge_config_selectorIjNS0_10empty_typeEEEZNS1_10merge_implIS3_N6thrust23THRUST_200600_302600_NS6detail15normal_iteratorINS9_10device_ptrIKjEEEESF_NSB_INSC_IjEEEEPS5_SI_SI_NS9_4lessIjEEEE10hipError_tPvRmT0_T1_T2_T3_T4_T5_mmT6_P12ihipStream_tbEUlT_E_NS1_11comp_targetILNS1_3genE8ELNS1_11target_archE1030ELNS1_3gpuE2ELNS1_3repE0EEENS1_30default_config_static_selectorELNS0_4arch9wavefront6targetE1EEEvSP_
		.amdhsa_group_segment_fixed_size 0
		.amdhsa_private_segment_fixed_size 0
		.amdhsa_kernarg_size 48
		.amdhsa_user_sgpr_count 6
		.amdhsa_user_sgpr_private_segment_buffer 1
		.amdhsa_user_sgpr_dispatch_ptr 0
		.amdhsa_user_sgpr_queue_ptr 0
		.amdhsa_user_sgpr_kernarg_segment_ptr 1
		.amdhsa_user_sgpr_dispatch_id 0
		.amdhsa_user_sgpr_flat_scratch_init 0
		.amdhsa_user_sgpr_kernarg_preload_length 0
		.amdhsa_user_sgpr_kernarg_preload_offset 0
		.amdhsa_user_sgpr_private_segment_size 0
		.amdhsa_uses_dynamic_stack 0
		.amdhsa_system_sgpr_private_segment_wavefront_offset 0
		.amdhsa_system_sgpr_workgroup_id_x 1
		.amdhsa_system_sgpr_workgroup_id_y 0
		.amdhsa_system_sgpr_workgroup_id_z 0
		.amdhsa_system_sgpr_workgroup_info 0
		.amdhsa_system_vgpr_workitem_id 0
		.amdhsa_next_free_vgpr 1
		.amdhsa_next_free_sgpr 0
		.amdhsa_accum_offset 4
		.amdhsa_reserve_vcc 0
		.amdhsa_reserve_flat_scratch 0
		.amdhsa_float_round_mode_32 0
		.amdhsa_float_round_mode_16_64 0
		.amdhsa_float_denorm_mode_32 3
		.amdhsa_float_denorm_mode_16_64 3
		.amdhsa_dx10_clamp 1
		.amdhsa_ieee_mode 1
		.amdhsa_fp16_overflow 0
		.amdhsa_tg_split 0
		.amdhsa_exception_fp_ieee_invalid_op 0
		.amdhsa_exception_fp_denorm_src 0
		.amdhsa_exception_fp_ieee_div_zero 0
		.amdhsa_exception_fp_ieee_overflow 0
		.amdhsa_exception_fp_ieee_underflow 0
		.amdhsa_exception_fp_ieee_inexact 0
		.amdhsa_exception_int_div_zero 0
	.end_amdhsa_kernel
	.section	.text._ZN7rocprim17ROCPRIM_400000_NS6detail17trampoline_kernelINS0_14default_configENS1_21merge_config_selectorIjNS0_10empty_typeEEEZNS1_10merge_implIS3_N6thrust23THRUST_200600_302600_NS6detail15normal_iteratorINS9_10device_ptrIKjEEEESF_NSB_INSC_IjEEEEPS5_SI_SI_NS9_4lessIjEEEE10hipError_tPvRmT0_T1_T2_T3_T4_T5_mmT6_P12ihipStream_tbEUlT_E_NS1_11comp_targetILNS1_3genE8ELNS1_11target_archE1030ELNS1_3gpuE2ELNS1_3repE0EEENS1_30default_config_static_selectorELNS0_4arch9wavefront6targetE1EEEvSP_,"axG",@progbits,_ZN7rocprim17ROCPRIM_400000_NS6detail17trampoline_kernelINS0_14default_configENS1_21merge_config_selectorIjNS0_10empty_typeEEEZNS1_10merge_implIS3_N6thrust23THRUST_200600_302600_NS6detail15normal_iteratorINS9_10device_ptrIKjEEEESF_NSB_INSC_IjEEEEPS5_SI_SI_NS9_4lessIjEEEE10hipError_tPvRmT0_T1_T2_T3_T4_T5_mmT6_P12ihipStream_tbEUlT_E_NS1_11comp_targetILNS1_3genE8ELNS1_11target_archE1030ELNS1_3gpuE2ELNS1_3repE0EEENS1_30default_config_static_selectorELNS0_4arch9wavefront6targetE1EEEvSP_,comdat
.Lfunc_end141:
	.size	_ZN7rocprim17ROCPRIM_400000_NS6detail17trampoline_kernelINS0_14default_configENS1_21merge_config_selectorIjNS0_10empty_typeEEEZNS1_10merge_implIS3_N6thrust23THRUST_200600_302600_NS6detail15normal_iteratorINS9_10device_ptrIKjEEEESF_NSB_INSC_IjEEEEPS5_SI_SI_NS9_4lessIjEEEE10hipError_tPvRmT0_T1_T2_T3_T4_T5_mmT6_P12ihipStream_tbEUlT_E_NS1_11comp_targetILNS1_3genE8ELNS1_11target_archE1030ELNS1_3gpuE2ELNS1_3repE0EEENS1_30default_config_static_selectorELNS0_4arch9wavefront6targetE1EEEvSP_, .Lfunc_end141-_ZN7rocprim17ROCPRIM_400000_NS6detail17trampoline_kernelINS0_14default_configENS1_21merge_config_selectorIjNS0_10empty_typeEEEZNS1_10merge_implIS3_N6thrust23THRUST_200600_302600_NS6detail15normal_iteratorINS9_10device_ptrIKjEEEESF_NSB_INSC_IjEEEEPS5_SI_SI_NS9_4lessIjEEEE10hipError_tPvRmT0_T1_T2_T3_T4_T5_mmT6_P12ihipStream_tbEUlT_E_NS1_11comp_targetILNS1_3genE8ELNS1_11target_archE1030ELNS1_3gpuE2ELNS1_3repE0EEENS1_30default_config_static_selectorELNS0_4arch9wavefront6targetE1EEEvSP_
                                        ; -- End function
	.section	.AMDGPU.csdata,"",@progbits
; Kernel info:
; codeLenInByte = 0
; NumSgprs: 4
; NumVgprs: 0
; NumAgprs: 0
; TotalNumVgprs: 0
; ScratchSize: 0
; MemoryBound: 0
; FloatMode: 240
; IeeeMode: 1
; LDSByteSize: 0 bytes/workgroup (compile time only)
; SGPRBlocks: 0
; VGPRBlocks: 0
; NumSGPRsForWavesPerEU: 4
; NumVGPRsForWavesPerEU: 1
; AccumOffset: 4
; Occupancy: 8
; WaveLimiterHint : 0
; COMPUTE_PGM_RSRC2:SCRATCH_EN: 0
; COMPUTE_PGM_RSRC2:USER_SGPR: 6
; COMPUTE_PGM_RSRC2:TRAP_HANDLER: 0
; COMPUTE_PGM_RSRC2:TGID_X_EN: 1
; COMPUTE_PGM_RSRC2:TGID_Y_EN: 0
; COMPUTE_PGM_RSRC2:TGID_Z_EN: 0
; COMPUTE_PGM_RSRC2:TIDIG_COMP_CNT: 0
; COMPUTE_PGM_RSRC3_GFX90A:ACCUM_OFFSET: 0
; COMPUTE_PGM_RSRC3_GFX90A:TG_SPLIT: 0
	.section	.text._ZN7rocprim17ROCPRIM_400000_NS6detail17trampoline_kernelINS0_14default_configENS1_21merge_config_selectorIjNS0_10empty_typeEEEZNS1_10merge_implIS3_N6thrust23THRUST_200600_302600_NS6detail15normal_iteratorINS9_10device_ptrIKjEEEESF_NSB_INSC_IjEEEEPS5_SI_SI_NS9_4lessIjEEEE10hipError_tPvRmT0_T1_T2_T3_T4_T5_mmT6_P12ihipStream_tbEUlT_E0_NS1_11comp_targetILNS1_3genE0ELNS1_11target_archE4294967295ELNS1_3gpuE0ELNS1_3repE0EEENS1_30default_config_static_selectorELNS0_4arch9wavefront6targetE1EEEvSP_,"axG",@progbits,_ZN7rocprim17ROCPRIM_400000_NS6detail17trampoline_kernelINS0_14default_configENS1_21merge_config_selectorIjNS0_10empty_typeEEEZNS1_10merge_implIS3_N6thrust23THRUST_200600_302600_NS6detail15normal_iteratorINS9_10device_ptrIKjEEEESF_NSB_INSC_IjEEEEPS5_SI_SI_NS9_4lessIjEEEE10hipError_tPvRmT0_T1_T2_T3_T4_T5_mmT6_P12ihipStream_tbEUlT_E0_NS1_11comp_targetILNS1_3genE0ELNS1_11target_archE4294967295ELNS1_3gpuE0ELNS1_3repE0EEENS1_30default_config_static_selectorELNS0_4arch9wavefront6targetE1EEEvSP_,comdat
	.protected	_ZN7rocprim17ROCPRIM_400000_NS6detail17trampoline_kernelINS0_14default_configENS1_21merge_config_selectorIjNS0_10empty_typeEEEZNS1_10merge_implIS3_N6thrust23THRUST_200600_302600_NS6detail15normal_iteratorINS9_10device_ptrIKjEEEESF_NSB_INSC_IjEEEEPS5_SI_SI_NS9_4lessIjEEEE10hipError_tPvRmT0_T1_T2_T3_T4_T5_mmT6_P12ihipStream_tbEUlT_E0_NS1_11comp_targetILNS1_3genE0ELNS1_11target_archE4294967295ELNS1_3gpuE0ELNS1_3repE0EEENS1_30default_config_static_selectorELNS0_4arch9wavefront6targetE1EEEvSP_ ; -- Begin function _ZN7rocprim17ROCPRIM_400000_NS6detail17trampoline_kernelINS0_14default_configENS1_21merge_config_selectorIjNS0_10empty_typeEEEZNS1_10merge_implIS3_N6thrust23THRUST_200600_302600_NS6detail15normal_iteratorINS9_10device_ptrIKjEEEESF_NSB_INSC_IjEEEEPS5_SI_SI_NS9_4lessIjEEEE10hipError_tPvRmT0_T1_T2_T3_T4_T5_mmT6_P12ihipStream_tbEUlT_E0_NS1_11comp_targetILNS1_3genE0ELNS1_11target_archE4294967295ELNS1_3gpuE0ELNS1_3repE0EEENS1_30default_config_static_selectorELNS0_4arch9wavefront6targetE1EEEvSP_
	.globl	_ZN7rocprim17ROCPRIM_400000_NS6detail17trampoline_kernelINS0_14default_configENS1_21merge_config_selectorIjNS0_10empty_typeEEEZNS1_10merge_implIS3_N6thrust23THRUST_200600_302600_NS6detail15normal_iteratorINS9_10device_ptrIKjEEEESF_NSB_INSC_IjEEEEPS5_SI_SI_NS9_4lessIjEEEE10hipError_tPvRmT0_T1_T2_T3_T4_T5_mmT6_P12ihipStream_tbEUlT_E0_NS1_11comp_targetILNS1_3genE0ELNS1_11target_archE4294967295ELNS1_3gpuE0ELNS1_3repE0EEENS1_30default_config_static_selectorELNS0_4arch9wavefront6targetE1EEEvSP_
	.p2align	8
	.type	_ZN7rocprim17ROCPRIM_400000_NS6detail17trampoline_kernelINS0_14default_configENS1_21merge_config_selectorIjNS0_10empty_typeEEEZNS1_10merge_implIS3_N6thrust23THRUST_200600_302600_NS6detail15normal_iteratorINS9_10device_ptrIKjEEEESF_NSB_INSC_IjEEEEPS5_SI_SI_NS9_4lessIjEEEE10hipError_tPvRmT0_T1_T2_T3_T4_T5_mmT6_P12ihipStream_tbEUlT_E0_NS1_11comp_targetILNS1_3genE0ELNS1_11target_archE4294967295ELNS1_3gpuE0ELNS1_3repE0EEENS1_30default_config_static_selectorELNS0_4arch9wavefront6targetE1EEEvSP_,@function
_ZN7rocprim17ROCPRIM_400000_NS6detail17trampoline_kernelINS0_14default_configENS1_21merge_config_selectorIjNS0_10empty_typeEEEZNS1_10merge_implIS3_N6thrust23THRUST_200600_302600_NS6detail15normal_iteratorINS9_10device_ptrIKjEEEESF_NSB_INSC_IjEEEEPS5_SI_SI_NS9_4lessIjEEEE10hipError_tPvRmT0_T1_T2_T3_T4_T5_mmT6_P12ihipStream_tbEUlT_E0_NS1_11comp_targetILNS1_3genE0ELNS1_11target_archE4294967295ELNS1_3gpuE0ELNS1_3repE0EEENS1_30default_config_static_selectorELNS0_4arch9wavefront6targetE1EEEvSP_: ; @_ZN7rocprim17ROCPRIM_400000_NS6detail17trampoline_kernelINS0_14default_configENS1_21merge_config_selectorIjNS0_10empty_typeEEEZNS1_10merge_implIS3_N6thrust23THRUST_200600_302600_NS6detail15normal_iteratorINS9_10device_ptrIKjEEEESF_NSB_INSC_IjEEEEPS5_SI_SI_NS9_4lessIjEEEE10hipError_tPvRmT0_T1_T2_T3_T4_T5_mmT6_P12ihipStream_tbEUlT_E0_NS1_11comp_targetILNS1_3genE0ELNS1_11target_archE4294967295ELNS1_3gpuE0ELNS1_3repE0EEENS1_30default_config_static_selectorELNS0_4arch9wavefront6targetE1EEEvSP_
; %bb.0:
	.section	.rodata,"a",@progbits
	.p2align	6, 0x0
	.amdhsa_kernel _ZN7rocprim17ROCPRIM_400000_NS6detail17trampoline_kernelINS0_14default_configENS1_21merge_config_selectorIjNS0_10empty_typeEEEZNS1_10merge_implIS3_N6thrust23THRUST_200600_302600_NS6detail15normal_iteratorINS9_10device_ptrIKjEEEESF_NSB_INSC_IjEEEEPS5_SI_SI_NS9_4lessIjEEEE10hipError_tPvRmT0_T1_T2_T3_T4_T5_mmT6_P12ihipStream_tbEUlT_E0_NS1_11comp_targetILNS1_3genE0ELNS1_11target_archE4294967295ELNS1_3gpuE0ELNS1_3repE0EEENS1_30default_config_static_selectorELNS0_4arch9wavefront6targetE1EEEvSP_
		.amdhsa_group_segment_fixed_size 0
		.amdhsa_private_segment_fixed_size 0
		.amdhsa_kernarg_size 88
		.amdhsa_user_sgpr_count 6
		.amdhsa_user_sgpr_private_segment_buffer 1
		.amdhsa_user_sgpr_dispatch_ptr 0
		.amdhsa_user_sgpr_queue_ptr 0
		.amdhsa_user_sgpr_kernarg_segment_ptr 1
		.amdhsa_user_sgpr_dispatch_id 0
		.amdhsa_user_sgpr_flat_scratch_init 0
		.amdhsa_user_sgpr_kernarg_preload_length 0
		.amdhsa_user_sgpr_kernarg_preload_offset 0
		.amdhsa_user_sgpr_private_segment_size 0
		.amdhsa_uses_dynamic_stack 0
		.amdhsa_system_sgpr_private_segment_wavefront_offset 0
		.amdhsa_system_sgpr_workgroup_id_x 1
		.amdhsa_system_sgpr_workgroup_id_y 0
		.amdhsa_system_sgpr_workgroup_id_z 0
		.amdhsa_system_sgpr_workgroup_info 0
		.amdhsa_system_vgpr_workitem_id 0
		.amdhsa_next_free_vgpr 1
		.amdhsa_next_free_sgpr 0
		.amdhsa_accum_offset 4
		.amdhsa_reserve_vcc 0
		.amdhsa_reserve_flat_scratch 0
		.amdhsa_float_round_mode_32 0
		.amdhsa_float_round_mode_16_64 0
		.amdhsa_float_denorm_mode_32 3
		.amdhsa_float_denorm_mode_16_64 3
		.amdhsa_dx10_clamp 1
		.amdhsa_ieee_mode 1
		.amdhsa_fp16_overflow 0
		.amdhsa_tg_split 0
		.amdhsa_exception_fp_ieee_invalid_op 0
		.amdhsa_exception_fp_denorm_src 0
		.amdhsa_exception_fp_ieee_div_zero 0
		.amdhsa_exception_fp_ieee_overflow 0
		.amdhsa_exception_fp_ieee_underflow 0
		.amdhsa_exception_fp_ieee_inexact 0
		.amdhsa_exception_int_div_zero 0
	.end_amdhsa_kernel
	.section	.text._ZN7rocprim17ROCPRIM_400000_NS6detail17trampoline_kernelINS0_14default_configENS1_21merge_config_selectorIjNS0_10empty_typeEEEZNS1_10merge_implIS3_N6thrust23THRUST_200600_302600_NS6detail15normal_iteratorINS9_10device_ptrIKjEEEESF_NSB_INSC_IjEEEEPS5_SI_SI_NS9_4lessIjEEEE10hipError_tPvRmT0_T1_T2_T3_T4_T5_mmT6_P12ihipStream_tbEUlT_E0_NS1_11comp_targetILNS1_3genE0ELNS1_11target_archE4294967295ELNS1_3gpuE0ELNS1_3repE0EEENS1_30default_config_static_selectorELNS0_4arch9wavefront6targetE1EEEvSP_,"axG",@progbits,_ZN7rocprim17ROCPRIM_400000_NS6detail17trampoline_kernelINS0_14default_configENS1_21merge_config_selectorIjNS0_10empty_typeEEEZNS1_10merge_implIS3_N6thrust23THRUST_200600_302600_NS6detail15normal_iteratorINS9_10device_ptrIKjEEEESF_NSB_INSC_IjEEEEPS5_SI_SI_NS9_4lessIjEEEE10hipError_tPvRmT0_T1_T2_T3_T4_T5_mmT6_P12ihipStream_tbEUlT_E0_NS1_11comp_targetILNS1_3genE0ELNS1_11target_archE4294967295ELNS1_3gpuE0ELNS1_3repE0EEENS1_30default_config_static_selectorELNS0_4arch9wavefront6targetE1EEEvSP_,comdat
.Lfunc_end142:
	.size	_ZN7rocprim17ROCPRIM_400000_NS6detail17trampoline_kernelINS0_14default_configENS1_21merge_config_selectorIjNS0_10empty_typeEEEZNS1_10merge_implIS3_N6thrust23THRUST_200600_302600_NS6detail15normal_iteratorINS9_10device_ptrIKjEEEESF_NSB_INSC_IjEEEEPS5_SI_SI_NS9_4lessIjEEEE10hipError_tPvRmT0_T1_T2_T3_T4_T5_mmT6_P12ihipStream_tbEUlT_E0_NS1_11comp_targetILNS1_3genE0ELNS1_11target_archE4294967295ELNS1_3gpuE0ELNS1_3repE0EEENS1_30default_config_static_selectorELNS0_4arch9wavefront6targetE1EEEvSP_, .Lfunc_end142-_ZN7rocprim17ROCPRIM_400000_NS6detail17trampoline_kernelINS0_14default_configENS1_21merge_config_selectorIjNS0_10empty_typeEEEZNS1_10merge_implIS3_N6thrust23THRUST_200600_302600_NS6detail15normal_iteratorINS9_10device_ptrIKjEEEESF_NSB_INSC_IjEEEEPS5_SI_SI_NS9_4lessIjEEEE10hipError_tPvRmT0_T1_T2_T3_T4_T5_mmT6_P12ihipStream_tbEUlT_E0_NS1_11comp_targetILNS1_3genE0ELNS1_11target_archE4294967295ELNS1_3gpuE0ELNS1_3repE0EEENS1_30default_config_static_selectorELNS0_4arch9wavefront6targetE1EEEvSP_
                                        ; -- End function
	.section	.AMDGPU.csdata,"",@progbits
; Kernel info:
; codeLenInByte = 0
; NumSgprs: 4
; NumVgprs: 0
; NumAgprs: 0
; TotalNumVgprs: 0
; ScratchSize: 0
; MemoryBound: 0
; FloatMode: 240
; IeeeMode: 1
; LDSByteSize: 0 bytes/workgroup (compile time only)
; SGPRBlocks: 0
; VGPRBlocks: 0
; NumSGPRsForWavesPerEU: 4
; NumVGPRsForWavesPerEU: 1
; AccumOffset: 4
; Occupancy: 8
; WaveLimiterHint : 0
; COMPUTE_PGM_RSRC2:SCRATCH_EN: 0
; COMPUTE_PGM_RSRC2:USER_SGPR: 6
; COMPUTE_PGM_RSRC2:TRAP_HANDLER: 0
; COMPUTE_PGM_RSRC2:TGID_X_EN: 1
; COMPUTE_PGM_RSRC2:TGID_Y_EN: 0
; COMPUTE_PGM_RSRC2:TGID_Z_EN: 0
; COMPUTE_PGM_RSRC2:TIDIG_COMP_CNT: 0
; COMPUTE_PGM_RSRC3_GFX90A:ACCUM_OFFSET: 0
; COMPUTE_PGM_RSRC3_GFX90A:TG_SPLIT: 0
	.section	.text._ZN7rocprim17ROCPRIM_400000_NS6detail17trampoline_kernelINS0_14default_configENS1_21merge_config_selectorIjNS0_10empty_typeEEEZNS1_10merge_implIS3_N6thrust23THRUST_200600_302600_NS6detail15normal_iteratorINS9_10device_ptrIKjEEEESF_NSB_INSC_IjEEEEPS5_SI_SI_NS9_4lessIjEEEE10hipError_tPvRmT0_T1_T2_T3_T4_T5_mmT6_P12ihipStream_tbEUlT_E0_NS1_11comp_targetILNS1_3genE5ELNS1_11target_archE942ELNS1_3gpuE9ELNS1_3repE0EEENS1_30default_config_static_selectorELNS0_4arch9wavefront6targetE1EEEvSP_,"axG",@progbits,_ZN7rocprim17ROCPRIM_400000_NS6detail17trampoline_kernelINS0_14default_configENS1_21merge_config_selectorIjNS0_10empty_typeEEEZNS1_10merge_implIS3_N6thrust23THRUST_200600_302600_NS6detail15normal_iteratorINS9_10device_ptrIKjEEEESF_NSB_INSC_IjEEEEPS5_SI_SI_NS9_4lessIjEEEE10hipError_tPvRmT0_T1_T2_T3_T4_T5_mmT6_P12ihipStream_tbEUlT_E0_NS1_11comp_targetILNS1_3genE5ELNS1_11target_archE942ELNS1_3gpuE9ELNS1_3repE0EEENS1_30default_config_static_selectorELNS0_4arch9wavefront6targetE1EEEvSP_,comdat
	.protected	_ZN7rocprim17ROCPRIM_400000_NS6detail17trampoline_kernelINS0_14default_configENS1_21merge_config_selectorIjNS0_10empty_typeEEEZNS1_10merge_implIS3_N6thrust23THRUST_200600_302600_NS6detail15normal_iteratorINS9_10device_ptrIKjEEEESF_NSB_INSC_IjEEEEPS5_SI_SI_NS9_4lessIjEEEE10hipError_tPvRmT0_T1_T2_T3_T4_T5_mmT6_P12ihipStream_tbEUlT_E0_NS1_11comp_targetILNS1_3genE5ELNS1_11target_archE942ELNS1_3gpuE9ELNS1_3repE0EEENS1_30default_config_static_selectorELNS0_4arch9wavefront6targetE1EEEvSP_ ; -- Begin function _ZN7rocprim17ROCPRIM_400000_NS6detail17trampoline_kernelINS0_14default_configENS1_21merge_config_selectorIjNS0_10empty_typeEEEZNS1_10merge_implIS3_N6thrust23THRUST_200600_302600_NS6detail15normal_iteratorINS9_10device_ptrIKjEEEESF_NSB_INSC_IjEEEEPS5_SI_SI_NS9_4lessIjEEEE10hipError_tPvRmT0_T1_T2_T3_T4_T5_mmT6_P12ihipStream_tbEUlT_E0_NS1_11comp_targetILNS1_3genE5ELNS1_11target_archE942ELNS1_3gpuE9ELNS1_3repE0EEENS1_30default_config_static_selectorELNS0_4arch9wavefront6targetE1EEEvSP_
	.globl	_ZN7rocprim17ROCPRIM_400000_NS6detail17trampoline_kernelINS0_14default_configENS1_21merge_config_selectorIjNS0_10empty_typeEEEZNS1_10merge_implIS3_N6thrust23THRUST_200600_302600_NS6detail15normal_iteratorINS9_10device_ptrIKjEEEESF_NSB_INSC_IjEEEEPS5_SI_SI_NS9_4lessIjEEEE10hipError_tPvRmT0_T1_T2_T3_T4_T5_mmT6_P12ihipStream_tbEUlT_E0_NS1_11comp_targetILNS1_3genE5ELNS1_11target_archE942ELNS1_3gpuE9ELNS1_3repE0EEENS1_30default_config_static_selectorELNS0_4arch9wavefront6targetE1EEEvSP_
	.p2align	8
	.type	_ZN7rocprim17ROCPRIM_400000_NS6detail17trampoline_kernelINS0_14default_configENS1_21merge_config_selectorIjNS0_10empty_typeEEEZNS1_10merge_implIS3_N6thrust23THRUST_200600_302600_NS6detail15normal_iteratorINS9_10device_ptrIKjEEEESF_NSB_INSC_IjEEEEPS5_SI_SI_NS9_4lessIjEEEE10hipError_tPvRmT0_T1_T2_T3_T4_T5_mmT6_P12ihipStream_tbEUlT_E0_NS1_11comp_targetILNS1_3genE5ELNS1_11target_archE942ELNS1_3gpuE9ELNS1_3repE0EEENS1_30default_config_static_selectorELNS0_4arch9wavefront6targetE1EEEvSP_,@function
_ZN7rocprim17ROCPRIM_400000_NS6detail17trampoline_kernelINS0_14default_configENS1_21merge_config_selectorIjNS0_10empty_typeEEEZNS1_10merge_implIS3_N6thrust23THRUST_200600_302600_NS6detail15normal_iteratorINS9_10device_ptrIKjEEEESF_NSB_INSC_IjEEEEPS5_SI_SI_NS9_4lessIjEEEE10hipError_tPvRmT0_T1_T2_T3_T4_T5_mmT6_P12ihipStream_tbEUlT_E0_NS1_11comp_targetILNS1_3genE5ELNS1_11target_archE942ELNS1_3gpuE9ELNS1_3repE0EEENS1_30default_config_static_selectorELNS0_4arch9wavefront6targetE1EEEvSP_: ; @_ZN7rocprim17ROCPRIM_400000_NS6detail17trampoline_kernelINS0_14default_configENS1_21merge_config_selectorIjNS0_10empty_typeEEEZNS1_10merge_implIS3_N6thrust23THRUST_200600_302600_NS6detail15normal_iteratorINS9_10device_ptrIKjEEEESF_NSB_INSC_IjEEEEPS5_SI_SI_NS9_4lessIjEEEE10hipError_tPvRmT0_T1_T2_T3_T4_T5_mmT6_P12ihipStream_tbEUlT_E0_NS1_11comp_targetILNS1_3genE5ELNS1_11target_archE942ELNS1_3gpuE9ELNS1_3repE0EEENS1_30default_config_static_selectorELNS0_4arch9wavefront6targetE1EEEvSP_
; %bb.0:
	.section	.rodata,"a",@progbits
	.p2align	6, 0x0
	.amdhsa_kernel _ZN7rocprim17ROCPRIM_400000_NS6detail17trampoline_kernelINS0_14default_configENS1_21merge_config_selectorIjNS0_10empty_typeEEEZNS1_10merge_implIS3_N6thrust23THRUST_200600_302600_NS6detail15normal_iteratorINS9_10device_ptrIKjEEEESF_NSB_INSC_IjEEEEPS5_SI_SI_NS9_4lessIjEEEE10hipError_tPvRmT0_T1_T2_T3_T4_T5_mmT6_P12ihipStream_tbEUlT_E0_NS1_11comp_targetILNS1_3genE5ELNS1_11target_archE942ELNS1_3gpuE9ELNS1_3repE0EEENS1_30default_config_static_selectorELNS0_4arch9wavefront6targetE1EEEvSP_
		.amdhsa_group_segment_fixed_size 0
		.amdhsa_private_segment_fixed_size 0
		.amdhsa_kernarg_size 88
		.amdhsa_user_sgpr_count 6
		.amdhsa_user_sgpr_private_segment_buffer 1
		.amdhsa_user_sgpr_dispatch_ptr 0
		.amdhsa_user_sgpr_queue_ptr 0
		.amdhsa_user_sgpr_kernarg_segment_ptr 1
		.amdhsa_user_sgpr_dispatch_id 0
		.amdhsa_user_sgpr_flat_scratch_init 0
		.amdhsa_user_sgpr_kernarg_preload_length 0
		.amdhsa_user_sgpr_kernarg_preload_offset 0
		.amdhsa_user_sgpr_private_segment_size 0
		.amdhsa_uses_dynamic_stack 0
		.amdhsa_system_sgpr_private_segment_wavefront_offset 0
		.amdhsa_system_sgpr_workgroup_id_x 1
		.amdhsa_system_sgpr_workgroup_id_y 0
		.amdhsa_system_sgpr_workgroup_id_z 0
		.amdhsa_system_sgpr_workgroup_info 0
		.amdhsa_system_vgpr_workitem_id 0
		.amdhsa_next_free_vgpr 1
		.amdhsa_next_free_sgpr 0
		.amdhsa_accum_offset 4
		.amdhsa_reserve_vcc 0
		.amdhsa_reserve_flat_scratch 0
		.amdhsa_float_round_mode_32 0
		.amdhsa_float_round_mode_16_64 0
		.amdhsa_float_denorm_mode_32 3
		.amdhsa_float_denorm_mode_16_64 3
		.amdhsa_dx10_clamp 1
		.amdhsa_ieee_mode 1
		.amdhsa_fp16_overflow 0
		.amdhsa_tg_split 0
		.amdhsa_exception_fp_ieee_invalid_op 0
		.amdhsa_exception_fp_denorm_src 0
		.amdhsa_exception_fp_ieee_div_zero 0
		.amdhsa_exception_fp_ieee_overflow 0
		.amdhsa_exception_fp_ieee_underflow 0
		.amdhsa_exception_fp_ieee_inexact 0
		.amdhsa_exception_int_div_zero 0
	.end_amdhsa_kernel
	.section	.text._ZN7rocprim17ROCPRIM_400000_NS6detail17trampoline_kernelINS0_14default_configENS1_21merge_config_selectorIjNS0_10empty_typeEEEZNS1_10merge_implIS3_N6thrust23THRUST_200600_302600_NS6detail15normal_iteratorINS9_10device_ptrIKjEEEESF_NSB_INSC_IjEEEEPS5_SI_SI_NS9_4lessIjEEEE10hipError_tPvRmT0_T1_T2_T3_T4_T5_mmT6_P12ihipStream_tbEUlT_E0_NS1_11comp_targetILNS1_3genE5ELNS1_11target_archE942ELNS1_3gpuE9ELNS1_3repE0EEENS1_30default_config_static_selectorELNS0_4arch9wavefront6targetE1EEEvSP_,"axG",@progbits,_ZN7rocprim17ROCPRIM_400000_NS6detail17trampoline_kernelINS0_14default_configENS1_21merge_config_selectorIjNS0_10empty_typeEEEZNS1_10merge_implIS3_N6thrust23THRUST_200600_302600_NS6detail15normal_iteratorINS9_10device_ptrIKjEEEESF_NSB_INSC_IjEEEEPS5_SI_SI_NS9_4lessIjEEEE10hipError_tPvRmT0_T1_T2_T3_T4_T5_mmT6_P12ihipStream_tbEUlT_E0_NS1_11comp_targetILNS1_3genE5ELNS1_11target_archE942ELNS1_3gpuE9ELNS1_3repE0EEENS1_30default_config_static_selectorELNS0_4arch9wavefront6targetE1EEEvSP_,comdat
.Lfunc_end143:
	.size	_ZN7rocprim17ROCPRIM_400000_NS6detail17trampoline_kernelINS0_14default_configENS1_21merge_config_selectorIjNS0_10empty_typeEEEZNS1_10merge_implIS3_N6thrust23THRUST_200600_302600_NS6detail15normal_iteratorINS9_10device_ptrIKjEEEESF_NSB_INSC_IjEEEEPS5_SI_SI_NS9_4lessIjEEEE10hipError_tPvRmT0_T1_T2_T3_T4_T5_mmT6_P12ihipStream_tbEUlT_E0_NS1_11comp_targetILNS1_3genE5ELNS1_11target_archE942ELNS1_3gpuE9ELNS1_3repE0EEENS1_30default_config_static_selectorELNS0_4arch9wavefront6targetE1EEEvSP_, .Lfunc_end143-_ZN7rocprim17ROCPRIM_400000_NS6detail17trampoline_kernelINS0_14default_configENS1_21merge_config_selectorIjNS0_10empty_typeEEEZNS1_10merge_implIS3_N6thrust23THRUST_200600_302600_NS6detail15normal_iteratorINS9_10device_ptrIKjEEEESF_NSB_INSC_IjEEEEPS5_SI_SI_NS9_4lessIjEEEE10hipError_tPvRmT0_T1_T2_T3_T4_T5_mmT6_P12ihipStream_tbEUlT_E0_NS1_11comp_targetILNS1_3genE5ELNS1_11target_archE942ELNS1_3gpuE9ELNS1_3repE0EEENS1_30default_config_static_selectorELNS0_4arch9wavefront6targetE1EEEvSP_
                                        ; -- End function
	.section	.AMDGPU.csdata,"",@progbits
; Kernel info:
; codeLenInByte = 0
; NumSgprs: 4
; NumVgprs: 0
; NumAgprs: 0
; TotalNumVgprs: 0
; ScratchSize: 0
; MemoryBound: 0
; FloatMode: 240
; IeeeMode: 1
; LDSByteSize: 0 bytes/workgroup (compile time only)
; SGPRBlocks: 0
; VGPRBlocks: 0
; NumSGPRsForWavesPerEU: 4
; NumVGPRsForWavesPerEU: 1
; AccumOffset: 4
; Occupancy: 8
; WaveLimiterHint : 0
; COMPUTE_PGM_RSRC2:SCRATCH_EN: 0
; COMPUTE_PGM_RSRC2:USER_SGPR: 6
; COMPUTE_PGM_RSRC2:TRAP_HANDLER: 0
; COMPUTE_PGM_RSRC2:TGID_X_EN: 1
; COMPUTE_PGM_RSRC2:TGID_Y_EN: 0
; COMPUTE_PGM_RSRC2:TGID_Z_EN: 0
; COMPUTE_PGM_RSRC2:TIDIG_COMP_CNT: 0
; COMPUTE_PGM_RSRC3_GFX90A:ACCUM_OFFSET: 0
; COMPUTE_PGM_RSRC3_GFX90A:TG_SPLIT: 0
	.section	.text._ZN7rocprim17ROCPRIM_400000_NS6detail17trampoline_kernelINS0_14default_configENS1_21merge_config_selectorIjNS0_10empty_typeEEEZNS1_10merge_implIS3_N6thrust23THRUST_200600_302600_NS6detail15normal_iteratorINS9_10device_ptrIKjEEEESF_NSB_INSC_IjEEEEPS5_SI_SI_NS9_4lessIjEEEE10hipError_tPvRmT0_T1_T2_T3_T4_T5_mmT6_P12ihipStream_tbEUlT_E0_NS1_11comp_targetILNS1_3genE4ELNS1_11target_archE910ELNS1_3gpuE8ELNS1_3repE0EEENS1_30default_config_static_selectorELNS0_4arch9wavefront6targetE1EEEvSP_,"axG",@progbits,_ZN7rocprim17ROCPRIM_400000_NS6detail17trampoline_kernelINS0_14default_configENS1_21merge_config_selectorIjNS0_10empty_typeEEEZNS1_10merge_implIS3_N6thrust23THRUST_200600_302600_NS6detail15normal_iteratorINS9_10device_ptrIKjEEEESF_NSB_INSC_IjEEEEPS5_SI_SI_NS9_4lessIjEEEE10hipError_tPvRmT0_T1_T2_T3_T4_T5_mmT6_P12ihipStream_tbEUlT_E0_NS1_11comp_targetILNS1_3genE4ELNS1_11target_archE910ELNS1_3gpuE8ELNS1_3repE0EEENS1_30default_config_static_selectorELNS0_4arch9wavefront6targetE1EEEvSP_,comdat
	.protected	_ZN7rocprim17ROCPRIM_400000_NS6detail17trampoline_kernelINS0_14default_configENS1_21merge_config_selectorIjNS0_10empty_typeEEEZNS1_10merge_implIS3_N6thrust23THRUST_200600_302600_NS6detail15normal_iteratorINS9_10device_ptrIKjEEEESF_NSB_INSC_IjEEEEPS5_SI_SI_NS9_4lessIjEEEE10hipError_tPvRmT0_T1_T2_T3_T4_T5_mmT6_P12ihipStream_tbEUlT_E0_NS1_11comp_targetILNS1_3genE4ELNS1_11target_archE910ELNS1_3gpuE8ELNS1_3repE0EEENS1_30default_config_static_selectorELNS0_4arch9wavefront6targetE1EEEvSP_ ; -- Begin function _ZN7rocprim17ROCPRIM_400000_NS6detail17trampoline_kernelINS0_14default_configENS1_21merge_config_selectorIjNS0_10empty_typeEEEZNS1_10merge_implIS3_N6thrust23THRUST_200600_302600_NS6detail15normal_iteratorINS9_10device_ptrIKjEEEESF_NSB_INSC_IjEEEEPS5_SI_SI_NS9_4lessIjEEEE10hipError_tPvRmT0_T1_T2_T3_T4_T5_mmT6_P12ihipStream_tbEUlT_E0_NS1_11comp_targetILNS1_3genE4ELNS1_11target_archE910ELNS1_3gpuE8ELNS1_3repE0EEENS1_30default_config_static_selectorELNS0_4arch9wavefront6targetE1EEEvSP_
	.globl	_ZN7rocprim17ROCPRIM_400000_NS6detail17trampoline_kernelINS0_14default_configENS1_21merge_config_selectorIjNS0_10empty_typeEEEZNS1_10merge_implIS3_N6thrust23THRUST_200600_302600_NS6detail15normal_iteratorINS9_10device_ptrIKjEEEESF_NSB_INSC_IjEEEEPS5_SI_SI_NS9_4lessIjEEEE10hipError_tPvRmT0_T1_T2_T3_T4_T5_mmT6_P12ihipStream_tbEUlT_E0_NS1_11comp_targetILNS1_3genE4ELNS1_11target_archE910ELNS1_3gpuE8ELNS1_3repE0EEENS1_30default_config_static_selectorELNS0_4arch9wavefront6targetE1EEEvSP_
	.p2align	8
	.type	_ZN7rocprim17ROCPRIM_400000_NS6detail17trampoline_kernelINS0_14default_configENS1_21merge_config_selectorIjNS0_10empty_typeEEEZNS1_10merge_implIS3_N6thrust23THRUST_200600_302600_NS6detail15normal_iteratorINS9_10device_ptrIKjEEEESF_NSB_INSC_IjEEEEPS5_SI_SI_NS9_4lessIjEEEE10hipError_tPvRmT0_T1_T2_T3_T4_T5_mmT6_P12ihipStream_tbEUlT_E0_NS1_11comp_targetILNS1_3genE4ELNS1_11target_archE910ELNS1_3gpuE8ELNS1_3repE0EEENS1_30default_config_static_selectorELNS0_4arch9wavefront6targetE1EEEvSP_,@function
_ZN7rocprim17ROCPRIM_400000_NS6detail17trampoline_kernelINS0_14default_configENS1_21merge_config_selectorIjNS0_10empty_typeEEEZNS1_10merge_implIS3_N6thrust23THRUST_200600_302600_NS6detail15normal_iteratorINS9_10device_ptrIKjEEEESF_NSB_INSC_IjEEEEPS5_SI_SI_NS9_4lessIjEEEE10hipError_tPvRmT0_T1_T2_T3_T4_T5_mmT6_P12ihipStream_tbEUlT_E0_NS1_11comp_targetILNS1_3genE4ELNS1_11target_archE910ELNS1_3gpuE8ELNS1_3repE0EEENS1_30default_config_static_selectorELNS0_4arch9wavefront6targetE1EEEvSP_: ; @_ZN7rocprim17ROCPRIM_400000_NS6detail17trampoline_kernelINS0_14default_configENS1_21merge_config_selectorIjNS0_10empty_typeEEEZNS1_10merge_implIS3_N6thrust23THRUST_200600_302600_NS6detail15normal_iteratorINS9_10device_ptrIKjEEEESF_NSB_INSC_IjEEEEPS5_SI_SI_NS9_4lessIjEEEE10hipError_tPvRmT0_T1_T2_T3_T4_T5_mmT6_P12ihipStream_tbEUlT_E0_NS1_11comp_targetILNS1_3genE4ELNS1_11target_archE910ELNS1_3gpuE8ELNS1_3repE0EEENS1_30default_config_static_selectorELNS0_4arch9wavefront6targetE1EEEvSP_
; %bb.0:
	s_load_dwordx4 s[0:3], s[4:5], 0x40
	s_load_dwordx8 s[12:19], s[4:5], 0x8
	s_mul_i32 s20, s6, 0xa00
	s_mov_b32 s23, 0
	s_waitcnt lgkmcnt(0)
	s_mov_b32 s3, s23
	s_add_i32 s21, s2, s0
	s_add_i32 s0, s21, 0x9ff
	s_mul_hi_u32 s0, s0, 0xcccccccd
	s_lshr_b32 s0, s0, 11
	s_min_u32 s1, s6, s0
	s_lshl_b32 s1, s1, 2
	s_load_dword s22, s[12:13], s1 offset:0x0
	s_add_i32 s6, s6, 1
	s_min_u32 s0, s6, s0
	s_lshl_b32 s0, s0, 2
	s_load_dword s6, s[12:13], s0 offset:0x0
	s_add_i32 s0, s20, 0xa00
	s_min_u32 s7, s21, s0
	s_waitcnt lgkmcnt(0)
	s_sub_i32 s2, s20, s22
	s_lshl_b64 s[0:1], s[22:23], 2
	s_add_u32 s0, s14, s0
	s_addc_u32 s1, s15, s1
	s_lshl_b64 s[4:5], s[2:3], 2
	s_add_u32 s9, s16, s4
	s_addc_u32 s10, s17, s5
	s_add_i32 s2, s2, s6
	s_sub_i32 s22, s6, s22
	s_sub_i32 s8, s7, s2
	s_add_u32 s2, s8, s22
	s_addc_u32 s3, 0, 0
	v_mov_b32_e32 v1, 0
	v_cmp_le_u32_e32 vcc, s22, v0
	s_and_saveexec_b64 s[4:5], vcc
	s_xor_b64 s[4:5], exec, s[4:5]
	s_cbranch_execz .LBB144_4
; %bb.1:
	v_cmp_gt_u64_e32 vcc, s[2:3], v[0:1]
	s_and_saveexec_b64 s[6:7], vcc
	s_cbranch_execz .LBB144_3
; %bb.2:
	v_mov_b32_e32 v1, s23
	v_subrev_co_u32_e32 v2, vcc, s22, v0
	v_subb_co_u32_e32 v3, vcc, 0, v1, vcc
	v_lshlrev_b64 v[2:3], 2, v[2:3]
	v_mov_b32_e32 v1, s10
	v_add_co_u32_e32 v2, vcc, s9, v2
	v_addc_co_u32_e32 v3, vcc, v1, v3, vcc
	global_load_dword v1, v[2:3], off
	v_lshlrev_b32_e32 v2, 2, v0
	s_waitcnt vmcnt(0)
	ds_write_b32 v2, v1
.LBB144_3:
	s_or_b64 exec, exec, s[6:7]
.LBB144_4:
	s_or_saveexec_b64 s[4:5], s[4:5]
	v_lshlrev_b32_e32 v1, 2, v0
	s_xor_b64 exec, exec, s[4:5]
	s_cbranch_execz .LBB144_6
; %bb.5:
	global_load_dword v2, v1, s[0:1]
	s_waitcnt vmcnt(0)
	ds_write_b32 v1, v2
.LBB144_6:
	s_or_b64 exec, exec, s[4:5]
	v_or_b32_e32 v10, 0x100, v0
	v_mov_b32_e32 v11, 0
	v_cmp_le_u32_e32 vcc, s22, v10
	s_and_saveexec_b64 s[4:5], vcc
	s_xor_b64 s[4:5], exec, s[4:5]
	s_cbranch_execz .LBB144_10
; %bb.7:
	v_cmp_gt_u64_e32 vcc, s[2:3], v[10:11]
	s_and_saveexec_b64 s[6:7], vcc
	s_cbranch_execz .LBB144_9
; %bb.8:
	v_mov_b32_e32 v3, s23
	v_subrev_co_u32_e32 v2, vcc, s22, v0
	v_subb_co_u32_e32 v3, vcc, 0, v3, vcc
	v_lshlrev_b64 v[2:3], 2, v[2:3]
	v_mov_b32_e32 v4, s10
	v_add_co_u32_e32 v2, vcc, s9, v2
	v_addc_co_u32_e32 v3, vcc, v4, v3, vcc
	global_load_dword v2, v[2:3], off offset:1024
	s_waitcnt vmcnt(0)
	ds_write_b32 v1, v2 offset:1024
.LBB144_9:
	s_or_b64 exec, exec, s[6:7]
.LBB144_10:
	s_andn2_saveexec_b64 s[4:5], s[4:5]
	s_cbranch_execz .LBB144_12
; %bb.11:
	global_load_dword v2, v1, s[0:1] offset:1024
	s_waitcnt vmcnt(0)
	ds_write_b32 v1, v2 offset:1024
.LBB144_12:
	s_or_b64 exec, exec, s[4:5]
	v_or_b32_e32 v12, 0x200, v0
	v_mov_b32_e32 v13, 0
	v_cmp_le_u32_e32 vcc, s22, v12
	s_and_saveexec_b64 s[4:5], vcc
	s_xor_b64 s[4:5], exec, s[4:5]
	s_cbranch_execz .LBB144_16
; %bb.13:
	v_cmp_gt_u64_e32 vcc, s[2:3], v[12:13]
	s_and_saveexec_b64 s[6:7], vcc
	s_cbranch_execz .LBB144_15
; %bb.14:
	v_mov_b32_e32 v3, s23
	v_subrev_co_u32_e32 v2, vcc, s22, v0
	v_subb_co_u32_e32 v3, vcc, 0, v3, vcc
	v_lshlrev_b64 v[2:3], 2, v[2:3]
	v_mov_b32_e32 v4, s10
	v_add_co_u32_e32 v2, vcc, s9, v2
	v_addc_co_u32_e32 v3, vcc, v4, v3, vcc
	global_load_dword v2, v[2:3], off offset:2048
	s_waitcnt vmcnt(0)
	ds_write_b32 v1, v2 offset:2048
.LBB144_15:
	s_or_b64 exec, exec, s[6:7]
.LBB144_16:
	s_andn2_saveexec_b64 s[4:5], s[4:5]
	s_cbranch_execz .LBB144_18
; %bb.17:
	global_load_dword v2, v1, s[0:1] offset:2048
	s_waitcnt vmcnt(0)
	ds_write_b32 v1, v2 offset:2048
.LBB144_18:
	;; [unrolled: 32-line block ×3, first 2 shown]
	s_or_b64 exec, exec, s[4:5]
	v_or_b32_e32 v16, 0x400, v0
	v_mov_b32_e32 v17, 0
	v_cmp_le_u32_e32 vcc, s22, v16
	s_and_saveexec_b64 s[4:5], vcc
	s_xor_b64 s[4:5], exec, s[4:5]
	s_cbranch_execz .LBB144_28
; %bb.25:
	v_cmp_gt_u64_e32 vcc, s[2:3], v[16:17]
	s_and_saveexec_b64 s[6:7], vcc
	s_cbranch_execz .LBB144_27
; %bb.26:
	v_mov_b32_e32 v3, s23
	v_subrev_co_u32_e32 v2, vcc, s22, v16
	v_subb_co_u32_e32 v3, vcc, 0, v3, vcc
	v_lshlrev_b64 v[2:3], 2, v[2:3]
	v_mov_b32_e32 v4, s10
	v_add_co_u32_e32 v2, vcc, s9, v2
	v_addc_co_u32_e32 v3, vcc, v4, v3, vcc
	global_load_dword v2, v[2:3], off
	s_waitcnt vmcnt(0)
	ds_write_b32 v1, v2 offset:4096
.LBB144_27:
	s_or_b64 exec, exec, s[6:7]
.LBB144_28:
	s_andn2_saveexec_b64 s[4:5], s[4:5]
	s_cbranch_execz .LBB144_30
; %bb.29:
	v_lshlrev_b32_e32 v2, 2, v16
	global_load_dword v2, v2, s[0:1]
	s_waitcnt vmcnt(0)
	ds_write_b32 v1, v2 offset:4096
.LBB144_30:
	s_or_b64 exec, exec, s[4:5]
	v_or_b32_e32 v18, 0x500, v0
	v_mov_b32_e32 v19, 0
	v_cmp_le_u32_e32 vcc, s22, v18
	s_and_saveexec_b64 s[4:5], vcc
	s_xor_b64 s[4:5], exec, s[4:5]
	s_cbranch_execz .LBB144_34
; %bb.31:
	v_cmp_gt_u64_e32 vcc, s[2:3], v[18:19]
	s_and_saveexec_b64 s[6:7], vcc
	s_cbranch_execz .LBB144_33
; %bb.32:
	v_mov_b32_e32 v3, s23
	v_subrev_co_u32_e32 v2, vcc, s22, v18
	v_subb_co_u32_e32 v3, vcc, 0, v3, vcc
	v_lshlrev_b64 v[2:3], 2, v[2:3]
	v_mov_b32_e32 v4, s10
	v_add_co_u32_e32 v2, vcc, s9, v2
	v_addc_co_u32_e32 v3, vcc, v4, v3, vcc
	global_load_dword v2, v[2:3], off
	s_waitcnt vmcnt(0)
	ds_write_b32 v1, v2 offset:5120
.LBB144_33:
	s_or_b64 exec, exec, s[6:7]
.LBB144_34:
	s_andn2_saveexec_b64 s[4:5], s[4:5]
	s_cbranch_execz .LBB144_36
; %bb.35:
	v_lshlrev_b32_e32 v2, 2, v18
	global_load_dword v2, v2, s[0:1]
	s_waitcnt vmcnt(0)
	ds_write_b32 v1, v2 offset:5120
.LBB144_36:
	;; [unrolled: 33-line block ×6, first 2 shown]
	s_or_b64 exec, exec, s[2:3]
	v_mul_u32_u24_e32 v2, 10, v0
	v_sub_u32_e64 v13, v2, s8 clamp
	v_min_u32_e32 v3, s22, v2
	v_cmp_lt_u32_e32 vcc, v13, v3
	v_lshlrev_b32_e32 v11, 2, v2
	s_waitcnt lgkmcnt(0)
	s_barrier
	s_and_saveexec_b64 s[0:1], vcc
	s_cbranch_execz .LBB144_64
; %bb.61:
	v_lshl_add_u32 v4, s22, 2, v11
	s_mov_b64 s[2:3], 0
.LBB144_62:                             ; =>This Inner Loop Header: Depth=1
	v_add_u32_e32 v5, v3, v13
	v_lshrrev_b32_e32 v5, 1, v5
	v_not_b32_e32 v6, v5
	v_lshlrev_b32_e32 v7, 2, v5
	v_lshl_add_u32 v6, v6, 2, v4
	ds_read_b32 v7, v7
	ds_read_b32 v6, v6
	v_add_u32_e32 v8, 1, v5
	s_waitcnt lgkmcnt(0)
	v_cmp_lt_u32_e32 vcc, v6, v7
	v_cndmask_b32_e32 v3, v3, v5, vcc
	v_cndmask_b32_e32 v13, v8, v13, vcc
	v_cmp_ge_u32_e32 vcc, v13, v3
	s_or_b64 s[2:3], vcc, s[2:3]
	s_andn2_b64 exec, exec, s[2:3]
	s_cbranch_execnz .LBB144_62
; %bb.63:
	s_or_b64 exec, exec, s[2:3]
.LBB144_64:
	s_or_b64 exec, exec, s[0:1]
	v_add_u32_e32 v2, s22, v2
	s_add_i32 s23, s8, s22
	v_sub_u32_e32 v15, v2, v13
	v_cmp_ge_u32_e32 vcc, s22, v13
	v_cmp_ge_u32_e64 s[0:1], s23, v15
	s_or_b64 s[0:1], vcc, s[0:1]
                                        ; implicit-def: $vgpr31
                                        ; implicit-def: $vgpr33
                                        ; implicit-def: $vgpr29
	s_and_saveexec_b64 s[16:17], s[0:1]
                                        ; implicit-def: $vgpr6_vgpr7_vgpr8_vgpr9
                                        ; implicit-def: $vgpr2_vgpr3_vgpr4_vgpr5
	s_cbranch_execz .LBB144_70
; %bb.65:
	v_cmp_gt_u32_e32 vcc, s22, v13
                                        ; implicit-def: $vgpr2
	s_and_saveexec_b64 s[0:1], vcc
	s_cbranch_execz .LBB144_67
; %bb.66:
	v_lshlrev_b32_e32 v2, 2, v13
	ds_read_b32 v2, v2
.LBB144_67:
	s_or_b64 exec, exec, s[0:1]
	v_cmp_le_u32_e64 s[0:1], s23, v15
	v_cmp_gt_u32_e64 s[2:3], s23, v15
                                        ; implicit-def: $vgpr3
	s_and_saveexec_b64 s[4:5], s[2:3]
	s_cbranch_execz .LBB144_69
; %bb.68:
	v_lshlrev_b32_e32 v3, 2, v15
	ds_read_b32 v3, v3
.LBB144_69:
	s_or_b64 exec, exec, s[4:5]
	s_waitcnt lgkmcnt(0)
	v_cmp_ge_u32_e64 s[2:3], v3, v2
	s_and_b64 s[2:3], vcc, s[2:3]
	s_or_b64 vcc, s[0:1], s[2:3]
	v_mov_b32_e32 v5, s23
	v_mov_b32_e32 v7, s22
	v_cndmask_b32_e32 v4, v15, v13, vcc
	v_cndmask_b32_e32 v6, v5, v7, vcc
	v_add_u32_e32 v4, 1, v4
	v_add_u32_e32 v6, -1, v6
	v_min_u32_e32 v6, v4, v6
	v_lshlrev_b32_e32 v6, 2, v6
	ds_read_b32 v6, v6
	v_cndmask_b32_e32 v9, v4, v15, vcc
	v_cndmask_b32_e32 v4, v13, v4, vcc
	v_cmp_gt_u32_e64 s[2:3], s22, v4
	v_cmp_le_u32_e64 s[0:1], s23, v9
	s_waitcnt lgkmcnt(0)
	v_cndmask_b32_e32 v8, v6, v3, vcc
	v_cndmask_b32_e32 v6, v2, v6, vcc
	v_cmp_ge_u32_e64 s[4:5], v8, v6
	s_and_b64 s[2:3], s[2:3], s[4:5]
	s_or_b64 s[0:1], s[0:1], s[2:3]
	v_cndmask_b32_e64 v13, v9, v4, s[0:1]
	v_cndmask_b32_e64 v15, v5, v7, s[0:1]
	v_add_u32_e32 v13, 1, v13
	v_add_u32_e32 v15, -1, v15
	v_min_u32_e32 v15, v13, v15
	v_lshlrev_b32_e32 v15, 2, v15
	ds_read_b32 v15, v15
	v_cndmask_b32_e64 v4, v4, v13, s[0:1]
	v_cndmask_b32_e64 v9, v13, v9, s[0:1]
	v_cmp_gt_u32_e64 s[4:5], s22, v4
	v_cmp_le_u32_e64 s[2:3], s23, v9
	s_waitcnt lgkmcnt(0)
	v_cndmask_b32_e64 v17, v15, v8, s[0:1]
	v_cndmask_b32_e64 v15, v6, v15, s[0:1]
	v_cmp_ge_u32_e64 s[6:7], v17, v15
	s_and_b64 s[4:5], s[4:5], s[6:7]
	s_or_b64 s[2:3], s[2:3], s[4:5]
	v_cndmask_b32_e64 v13, v9, v4, s[2:3]
	v_cndmask_b32_e64 v19, v5, v7, s[2:3]
	v_add_u32_e32 v13, 1, v13
	v_add_u32_e32 v19, -1, v19
	v_min_u32_e32 v19, v13, v19
	v_lshlrev_b32_e32 v19, 2, v19
	ds_read_b32 v19, v19
	v_cndmask_b32_e64 v4, v4, v13, s[2:3]
	v_cndmask_b32_e64 v9, v13, v9, s[2:3]
	v_cmp_gt_u32_e64 s[6:7], s22, v4
	v_cmp_le_u32_e64 s[4:5], s23, v9
	s_waitcnt lgkmcnt(0)
	v_cndmask_b32_e64 v21, v19, v17, s[2:3]
	v_cndmask_b32_e64 v19, v15, v19, s[2:3]
	;; [unrolled: 17-line block ×5, first 2 shown]
	v_cmp_ge_u32_e64 s[14:15], v31, v32
	s_and_b64 s[12:13], s[12:13], s[14:15]
	s_or_b64 s[10:11], s[10:11], s[12:13]
	v_cndmask_b32_e64 v13, v9, v4, s[10:11]
	v_cndmask_b32_e64 v28, v5, v7, s[10:11]
	v_add_u32_e32 v13, 1, v13
	v_add_u32_e32 v28, -1, v28
	v_min_u32_e32 v28, v13, v28
	v_lshlrev_b32_e32 v28, 2, v28
	ds_read_b32 v28, v28
	v_cndmask_b32_e64 v4, v4, v13, s[10:11]
	v_cndmask_b32_e64 v9, v13, v9, s[10:11]
	v_cmp_gt_u32_e64 s[12:13], s22, v4
	v_cndmask_b32_e32 v2, v3, v2, vcc
	s_waitcnt lgkmcnt(0)
	v_cndmask_b32_e64 v33, v28, v31, s[10:11]
	v_cndmask_b32_e64 v34, v32, v28, s[10:11]
	v_cmp_ge_u32_e64 s[14:15], v33, v34
	v_cmp_le_u32_e32 vcc, s23, v9
	s_and_b64 s[12:13], s[12:13], s[14:15]
	s_or_b64 vcc, vcc, s[12:13]
	v_cndmask_b32_e32 v3, v9, v4, vcc
	v_cndmask_b32_e32 v13, v5, v7, vcc
	v_add_u32_e32 v35, 1, v3
	v_add_u32_e32 v3, -1, v13
	v_min_u32_e32 v3, v35, v3
	v_lshlrev_b32_e32 v3, 2, v3
	ds_read_b32 v13, v3
	v_cndmask_b32_e64 v3, v8, v6, s[0:1]
	v_cndmask_b32_e32 v4, v4, v35, vcc
	v_cndmask_b32_e64 v28, v17, v15, s[2:3]
	v_cndmask_b32_e64 v29, v21, v19, s[4:5]
	s_waitcnt lgkmcnt(0)
	v_cndmask_b32_e32 v8, v13, v33, vcc
	v_cndmask_b32_e32 v13, v34, v13, vcc
	;; [unrolled: 1-line block ×3, first 2 shown]
	v_cmp_gt_u32_e64 s[2:3], s22, v4
	v_cmp_ge_u32_e64 s[4:5], v8, v13
	v_cmp_le_u32_e64 s[0:1], s23, v9
	s_and_b64 s[2:3], s[2:3], s[4:5]
	s_or_b64 s[0:1], s[0:1], s[2:3]
	v_cndmask_b32_e64 v15, v9, v4, s[0:1]
	v_cndmask_b32_e64 v5, v5, v7, s[0:1]
	v_add_u32_e32 v15, 1, v15
	v_add_u32_e32 v5, -1, v5
	v_min_u32_e32 v5, v15, v5
	v_lshlrev_b32_e32 v5, 2, v5
	ds_read_b32 v5, v5
	v_cndmask_b32_e64 v7, v30, v27, s[8:9]
	v_cndmask_b32_e64 v30, v8, v13, s[0:1]
	v_cndmask_b32_e64 v4, v4, v15, s[0:1]
	v_cndmask_b32_e64 v9, v15, v9, s[0:1]
	s_waitcnt lgkmcnt(0)
	v_cndmask_b32_e64 v8, v5, v8, s[0:1]
	v_cndmask_b32_e64 v5, v13, v5, s[0:1]
	v_cmp_gt_u32_e64 s[0:1], s22, v4
	v_cmp_ge_u32_e64 s[2:3], v8, v5
	v_cndmask_b32_e32 v33, v33, v34, vcc
	v_cmp_le_u32_e32 vcc, s23, v9
	s_and_b64 s[0:1], s[0:1], s[2:3]
	s_or_b64 vcc, vcc, s[0:1]
	v_cndmask_b32_e64 v6, v25, v23, s[6:7]
	v_cndmask_b32_e64 v32, v31, v32, s[10:11]
	v_cndmask_b32_e32 v31, v8, v5, vcc
.LBB144_70:
	s_or_b64 exec, exec, s[16:17]
	s_sub_i32 s6, s21, s20
	s_mov_b32 s21, 0
	s_lshl_b64 s[0:1], s[20:21], 2
	s_add_u32 s0, s18, s0
	s_addc_u32 s1, s19, s1
	s_cmpk_gt_u32 s6, 0x9ff
	s_barrier
	ds_write2_b64 v11, v[2:3], v[28:29] offset1:1
	ds_write2_b64 v11, v[6:7], v[32:33] offset0:2 offset1:3
	ds_write_b64 v11, v[30:31] offset:32
	s_waitcnt lgkmcnt(0)
	s_cbranch_scc0 .LBB144_72
; %bb.71:
	s_movk_i32 s2, 0xffdc
	v_mad_i32_i24 v2, v0, s2, v11
	s_barrier
	ds_read2st64_b32 v[4:5], v2 offset1:4
	ds_read2st64_b32 v[6:7], v2 offset0:8 offset1:12
	ds_read2st64_b32 v[8:9], v2 offset0:16 offset1:20
	;; [unrolled: 1-line block ×4, first 2 shown]
	v_mov_b32_e32 v13, s1
	v_add_co_u32_e32 v15, vcc, s0, v1
	v_addc_co_u32_e32 v13, vcc, 0, v13, vcc
	s_movk_i32 s2, 0x1000
	s_waitcnt lgkmcnt(4)
	global_store_dword v1, v4, s[0:1]
	global_store_dword v1, v5, s[0:1] offset:1024
	s_waitcnt lgkmcnt(3)
	global_store_dword v1, v6, s[0:1] offset:2048
	global_store_dword v1, v7, s[0:1] offset:3072
	v_add_co_u32_e32 v4, vcc, s2, v15
	v_addc_co_u32_e32 v5, vcc, 0, v13, vcc
	s_waitcnt lgkmcnt(2)
	global_store_dword v[4:5], v8, off
	global_store_dword v[4:5], v9, off offset:1024
	s_waitcnt lgkmcnt(1)
	global_store_dword v[4:5], v28, off offset:2048
	global_store_dword v[4:5], v29, off offset:3072
	v_add_co_u32_e32 v4, vcc, 0x2000, v15
	v_addc_co_u32_e32 v5, vcc, 0, v13, vcc
	s_waitcnt lgkmcnt(0)
	global_store_dword v[4:5], v2, off
	s_mov_b64 s[2:3], -1
	s_cbranch_execz .LBB144_73
	s_branch .LBB144_84
.LBB144_72:
	s_mov_b64 s[2:3], 0
                                        ; implicit-def: $vgpr3
.LBB144_73:
	s_movk_i32 s2, 0xffdc
	v_mad_i32_i24 v2, v0, s2, v11
	s_barrier
	ds_read2st64_b32 v[30:31], v2 offset0:4 offset1:8
	ds_read2st64_b32 v[28:29], v2 offset0:12 offset1:16
	;; [unrolled: 1-line block ×4, first 2 shown]
	ds_read_b32 v3, v2 offset:9216
	v_mov_b32_e32 v2, s1
	v_add_co_u32_e32 v6, vcc, s0, v1
	v_addc_co_u32_e32 v7, vcc, 0, v2, vcc
	v_cmp_gt_u32_e32 vcc, s6, v0
	s_and_saveexec_b64 s[2:3], vcc
	s_cbranch_execnz .LBB144_87
; %bb.74:
	s_or_b64 exec, exec, s[2:3]
	v_cmp_gt_u32_e32 vcc, s6, v10
	s_and_saveexec_b64 s[2:3], vcc
	s_cbranch_execnz .LBB144_88
.LBB144_75:
	s_or_b64 exec, exec, s[2:3]
	v_cmp_gt_u32_e32 vcc, s6, v12
	s_and_saveexec_b64 s[2:3], vcc
	s_cbranch_execnz .LBB144_89
.LBB144_76:
	s_or_b64 exec, exec, s[2:3]
	v_cmp_gt_u32_e32 vcc, s6, v14
	s_and_saveexec_b64 s[2:3], vcc
	s_cbranch_execnz .LBB144_90
.LBB144_77:
	s_or_b64 exec, exec, s[2:3]
	v_cmp_gt_u32_e32 vcc, s6, v16
	s_and_saveexec_b64 s[2:3], vcc
	s_cbranch_execnz .LBB144_91
.LBB144_78:
	s_or_b64 exec, exec, s[2:3]
	v_cmp_gt_u32_e32 vcc, s6, v18
	s_and_saveexec_b64 s[2:3], vcc
	s_cbranch_execnz .LBB144_92
.LBB144_79:
	s_or_b64 exec, exec, s[2:3]
	v_cmp_gt_u32_e32 vcc, s6, v20
	s_and_saveexec_b64 s[2:3], vcc
	s_cbranch_execnz .LBB144_93
.LBB144_80:
	s_or_b64 exec, exec, s[2:3]
	v_cmp_gt_u32_e32 vcc, s6, v22
	s_and_saveexec_b64 s[2:3], vcc
	s_cbranch_execnz .LBB144_94
.LBB144_81:
	s_or_b64 exec, exec, s[2:3]
	v_cmp_gt_u32_e32 vcc, s6, v24
	s_and_saveexec_b64 s[2:3], vcc
	s_cbranch_execz .LBB144_83
.LBB144_82:
	v_add_co_u32_e32 v6, vcc, 0x2000, v6
	v_addc_co_u32_e32 v7, vcc, 0, v7, vcc
	s_waitcnt lgkmcnt(1)
	global_store_dword v[6:7], v5, off
.LBB144_83:
	s_or_b64 exec, exec, s[2:3]
	v_cmp_gt_u32_e64 s[2:3], s6, v26
.LBB144_84:
	s_and_saveexec_b64 s[4:5], s[2:3]
	s_cbranch_execnz .LBB144_86
; %bb.85:
	s_endpgm
.LBB144_86:
	v_mov_b32_e32 v0, s1
	v_add_co_u32_e32 v1, vcc, s0, v1
	v_addc_co_u32_e32 v2, vcc, 0, v0, vcc
	v_add_co_u32_e32 v0, vcc, 0x2000, v1
	v_addc_co_u32_e32 v1, vcc, 0, v2, vcc
	s_waitcnt lgkmcnt(0)
	global_store_dword v[0:1], v3, off offset:1024
	s_endpgm
.LBB144_87:
	v_mul_i32_i24_e32 v0, 0xffffffdc, v0
	v_add_u32_e32 v0, v11, v0
	ds_read_b32 v0, v0
	s_waitcnt lgkmcnt(0)
	global_store_dword v[6:7], v0, off
	s_or_b64 exec, exec, s[2:3]
	v_cmp_gt_u32_e32 vcc, s6, v10
	s_and_saveexec_b64 s[2:3], vcc
	s_cbranch_execz .LBB144_75
.LBB144_88:
	s_waitcnt lgkmcnt(4)
	global_store_dword v[6:7], v30, off offset:1024
	s_or_b64 exec, exec, s[2:3]
	v_cmp_gt_u32_e32 vcc, s6, v12
	s_and_saveexec_b64 s[2:3], vcc
	s_cbranch_execz .LBB144_76
.LBB144_89:
	s_waitcnt lgkmcnt(4)
	global_store_dword v[6:7], v31, off offset:2048
	s_or_b64 exec, exec, s[2:3]
	v_cmp_gt_u32_e32 vcc, s6, v14
	s_and_saveexec_b64 s[2:3], vcc
	s_cbranch_execz .LBB144_77
.LBB144_90:
	s_waitcnt lgkmcnt(3)
	global_store_dword v[6:7], v28, off offset:3072
	s_or_b64 exec, exec, s[2:3]
	v_cmp_gt_u32_e32 vcc, s6, v16
	s_and_saveexec_b64 s[2:3], vcc
	s_cbranch_execz .LBB144_78
.LBB144_91:
	v_add_co_u32_e32 v10, vcc, 0x1000, v6
	v_addc_co_u32_e32 v11, vcc, 0, v7, vcc
	s_waitcnt lgkmcnt(3)
	global_store_dword v[10:11], v29, off
	s_or_b64 exec, exec, s[2:3]
	v_cmp_gt_u32_e32 vcc, s6, v18
	s_and_saveexec_b64 s[2:3], vcc
	s_cbranch_execz .LBB144_79
.LBB144_92:
	v_add_co_u32_e32 v10, vcc, 0x1000, v6
	v_addc_co_u32_e32 v11, vcc, 0, v7, vcc
	s_waitcnt lgkmcnt(2)
	global_store_dword v[10:11], v8, off offset:1024
	s_or_b64 exec, exec, s[2:3]
	v_cmp_gt_u32_e32 vcc, s6, v20
	s_and_saveexec_b64 s[2:3], vcc
	s_cbranch_execz .LBB144_80
.LBB144_93:
	v_add_co_u32_e32 v10, vcc, 0x1000, v6
	v_addc_co_u32_e32 v11, vcc, 0, v7, vcc
	s_waitcnt lgkmcnt(2)
	global_store_dword v[10:11], v9, off offset:2048
	s_or_b64 exec, exec, s[2:3]
	v_cmp_gt_u32_e32 vcc, s6, v22
	s_and_saveexec_b64 s[2:3], vcc
	s_cbranch_execz .LBB144_81
.LBB144_94:
	s_waitcnt lgkmcnt(2)
	v_add_co_u32_e32 v8, vcc, 0x1000, v6
	v_addc_co_u32_e32 v9, vcc, 0, v7, vcc
	s_waitcnt lgkmcnt(1)
	global_store_dword v[8:9], v4, off offset:3072
	s_or_b64 exec, exec, s[2:3]
	v_cmp_gt_u32_e32 vcc, s6, v24
	s_and_saveexec_b64 s[2:3], vcc
	s_cbranch_execnz .LBB144_82
	s_branch .LBB144_83
	.section	.rodata,"a",@progbits
	.p2align	6, 0x0
	.amdhsa_kernel _ZN7rocprim17ROCPRIM_400000_NS6detail17trampoline_kernelINS0_14default_configENS1_21merge_config_selectorIjNS0_10empty_typeEEEZNS1_10merge_implIS3_N6thrust23THRUST_200600_302600_NS6detail15normal_iteratorINS9_10device_ptrIKjEEEESF_NSB_INSC_IjEEEEPS5_SI_SI_NS9_4lessIjEEEE10hipError_tPvRmT0_T1_T2_T3_T4_T5_mmT6_P12ihipStream_tbEUlT_E0_NS1_11comp_targetILNS1_3genE4ELNS1_11target_archE910ELNS1_3gpuE8ELNS1_3repE0EEENS1_30default_config_static_selectorELNS0_4arch9wavefront6targetE1EEEvSP_
		.amdhsa_group_segment_fixed_size 10256
		.amdhsa_private_segment_fixed_size 0
		.amdhsa_kernarg_size 88
		.amdhsa_user_sgpr_count 6
		.amdhsa_user_sgpr_private_segment_buffer 1
		.amdhsa_user_sgpr_dispatch_ptr 0
		.amdhsa_user_sgpr_queue_ptr 0
		.amdhsa_user_sgpr_kernarg_segment_ptr 1
		.amdhsa_user_sgpr_dispatch_id 0
		.amdhsa_user_sgpr_flat_scratch_init 0
		.amdhsa_user_sgpr_kernarg_preload_length 0
		.amdhsa_user_sgpr_kernarg_preload_offset 0
		.amdhsa_user_sgpr_private_segment_size 0
		.amdhsa_uses_dynamic_stack 0
		.amdhsa_system_sgpr_private_segment_wavefront_offset 0
		.amdhsa_system_sgpr_workgroup_id_x 1
		.amdhsa_system_sgpr_workgroup_id_y 0
		.amdhsa_system_sgpr_workgroup_id_z 0
		.amdhsa_system_sgpr_workgroup_info 0
		.amdhsa_system_vgpr_workitem_id 0
		.amdhsa_next_free_vgpr 36
		.amdhsa_next_free_sgpr 24
		.amdhsa_accum_offset 36
		.amdhsa_reserve_vcc 1
		.amdhsa_reserve_flat_scratch 0
		.amdhsa_float_round_mode_32 0
		.amdhsa_float_round_mode_16_64 0
		.amdhsa_float_denorm_mode_32 3
		.amdhsa_float_denorm_mode_16_64 3
		.amdhsa_dx10_clamp 1
		.amdhsa_ieee_mode 1
		.amdhsa_fp16_overflow 0
		.amdhsa_tg_split 0
		.amdhsa_exception_fp_ieee_invalid_op 0
		.amdhsa_exception_fp_denorm_src 0
		.amdhsa_exception_fp_ieee_div_zero 0
		.amdhsa_exception_fp_ieee_overflow 0
		.amdhsa_exception_fp_ieee_underflow 0
		.amdhsa_exception_fp_ieee_inexact 0
		.amdhsa_exception_int_div_zero 0
	.end_amdhsa_kernel
	.section	.text._ZN7rocprim17ROCPRIM_400000_NS6detail17trampoline_kernelINS0_14default_configENS1_21merge_config_selectorIjNS0_10empty_typeEEEZNS1_10merge_implIS3_N6thrust23THRUST_200600_302600_NS6detail15normal_iteratorINS9_10device_ptrIKjEEEESF_NSB_INSC_IjEEEEPS5_SI_SI_NS9_4lessIjEEEE10hipError_tPvRmT0_T1_T2_T3_T4_T5_mmT6_P12ihipStream_tbEUlT_E0_NS1_11comp_targetILNS1_3genE4ELNS1_11target_archE910ELNS1_3gpuE8ELNS1_3repE0EEENS1_30default_config_static_selectorELNS0_4arch9wavefront6targetE1EEEvSP_,"axG",@progbits,_ZN7rocprim17ROCPRIM_400000_NS6detail17trampoline_kernelINS0_14default_configENS1_21merge_config_selectorIjNS0_10empty_typeEEEZNS1_10merge_implIS3_N6thrust23THRUST_200600_302600_NS6detail15normal_iteratorINS9_10device_ptrIKjEEEESF_NSB_INSC_IjEEEEPS5_SI_SI_NS9_4lessIjEEEE10hipError_tPvRmT0_T1_T2_T3_T4_T5_mmT6_P12ihipStream_tbEUlT_E0_NS1_11comp_targetILNS1_3genE4ELNS1_11target_archE910ELNS1_3gpuE8ELNS1_3repE0EEENS1_30default_config_static_selectorELNS0_4arch9wavefront6targetE1EEEvSP_,comdat
.Lfunc_end144:
	.size	_ZN7rocprim17ROCPRIM_400000_NS6detail17trampoline_kernelINS0_14default_configENS1_21merge_config_selectorIjNS0_10empty_typeEEEZNS1_10merge_implIS3_N6thrust23THRUST_200600_302600_NS6detail15normal_iteratorINS9_10device_ptrIKjEEEESF_NSB_INSC_IjEEEEPS5_SI_SI_NS9_4lessIjEEEE10hipError_tPvRmT0_T1_T2_T3_T4_T5_mmT6_P12ihipStream_tbEUlT_E0_NS1_11comp_targetILNS1_3genE4ELNS1_11target_archE910ELNS1_3gpuE8ELNS1_3repE0EEENS1_30default_config_static_selectorELNS0_4arch9wavefront6targetE1EEEvSP_, .Lfunc_end144-_ZN7rocprim17ROCPRIM_400000_NS6detail17trampoline_kernelINS0_14default_configENS1_21merge_config_selectorIjNS0_10empty_typeEEEZNS1_10merge_implIS3_N6thrust23THRUST_200600_302600_NS6detail15normal_iteratorINS9_10device_ptrIKjEEEESF_NSB_INSC_IjEEEEPS5_SI_SI_NS9_4lessIjEEEE10hipError_tPvRmT0_T1_T2_T3_T4_T5_mmT6_P12ihipStream_tbEUlT_E0_NS1_11comp_targetILNS1_3genE4ELNS1_11target_archE910ELNS1_3gpuE8ELNS1_3repE0EEENS1_30default_config_static_selectorELNS0_4arch9wavefront6targetE1EEEvSP_
                                        ; -- End function
	.section	.AMDGPU.csdata,"",@progbits
; Kernel info:
; codeLenInByte = 3580
; NumSgprs: 28
; NumVgprs: 36
; NumAgprs: 0
; TotalNumVgprs: 36
; ScratchSize: 0
; MemoryBound: 0
; FloatMode: 240
; IeeeMode: 1
; LDSByteSize: 10256 bytes/workgroup (compile time only)
; SGPRBlocks: 3
; VGPRBlocks: 4
; NumSGPRsForWavesPerEU: 28
; NumVGPRsForWavesPerEU: 36
; AccumOffset: 36
; Occupancy: 6
; WaveLimiterHint : 1
; COMPUTE_PGM_RSRC2:SCRATCH_EN: 0
; COMPUTE_PGM_RSRC2:USER_SGPR: 6
; COMPUTE_PGM_RSRC2:TRAP_HANDLER: 0
; COMPUTE_PGM_RSRC2:TGID_X_EN: 1
; COMPUTE_PGM_RSRC2:TGID_Y_EN: 0
; COMPUTE_PGM_RSRC2:TGID_Z_EN: 0
; COMPUTE_PGM_RSRC2:TIDIG_COMP_CNT: 0
; COMPUTE_PGM_RSRC3_GFX90A:ACCUM_OFFSET: 8
; COMPUTE_PGM_RSRC3_GFX90A:TG_SPLIT: 0
	.section	.text._ZN7rocprim17ROCPRIM_400000_NS6detail17trampoline_kernelINS0_14default_configENS1_21merge_config_selectorIjNS0_10empty_typeEEEZNS1_10merge_implIS3_N6thrust23THRUST_200600_302600_NS6detail15normal_iteratorINS9_10device_ptrIKjEEEESF_NSB_INSC_IjEEEEPS5_SI_SI_NS9_4lessIjEEEE10hipError_tPvRmT0_T1_T2_T3_T4_T5_mmT6_P12ihipStream_tbEUlT_E0_NS1_11comp_targetILNS1_3genE3ELNS1_11target_archE908ELNS1_3gpuE7ELNS1_3repE0EEENS1_30default_config_static_selectorELNS0_4arch9wavefront6targetE1EEEvSP_,"axG",@progbits,_ZN7rocprim17ROCPRIM_400000_NS6detail17trampoline_kernelINS0_14default_configENS1_21merge_config_selectorIjNS0_10empty_typeEEEZNS1_10merge_implIS3_N6thrust23THRUST_200600_302600_NS6detail15normal_iteratorINS9_10device_ptrIKjEEEESF_NSB_INSC_IjEEEEPS5_SI_SI_NS9_4lessIjEEEE10hipError_tPvRmT0_T1_T2_T3_T4_T5_mmT6_P12ihipStream_tbEUlT_E0_NS1_11comp_targetILNS1_3genE3ELNS1_11target_archE908ELNS1_3gpuE7ELNS1_3repE0EEENS1_30default_config_static_selectorELNS0_4arch9wavefront6targetE1EEEvSP_,comdat
	.protected	_ZN7rocprim17ROCPRIM_400000_NS6detail17trampoline_kernelINS0_14default_configENS1_21merge_config_selectorIjNS0_10empty_typeEEEZNS1_10merge_implIS3_N6thrust23THRUST_200600_302600_NS6detail15normal_iteratorINS9_10device_ptrIKjEEEESF_NSB_INSC_IjEEEEPS5_SI_SI_NS9_4lessIjEEEE10hipError_tPvRmT0_T1_T2_T3_T4_T5_mmT6_P12ihipStream_tbEUlT_E0_NS1_11comp_targetILNS1_3genE3ELNS1_11target_archE908ELNS1_3gpuE7ELNS1_3repE0EEENS1_30default_config_static_selectorELNS0_4arch9wavefront6targetE1EEEvSP_ ; -- Begin function _ZN7rocprim17ROCPRIM_400000_NS6detail17trampoline_kernelINS0_14default_configENS1_21merge_config_selectorIjNS0_10empty_typeEEEZNS1_10merge_implIS3_N6thrust23THRUST_200600_302600_NS6detail15normal_iteratorINS9_10device_ptrIKjEEEESF_NSB_INSC_IjEEEEPS5_SI_SI_NS9_4lessIjEEEE10hipError_tPvRmT0_T1_T2_T3_T4_T5_mmT6_P12ihipStream_tbEUlT_E0_NS1_11comp_targetILNS1_3genE3ELNS1_11target_archE908ELNS1_3gpuE7ELNS1_3repE0EEENS1_30default_config_static_selectorELNS0_4arch9wavefront6targetE1EEEvSP_
	.globl	_ZN7rocprim17ROCPRIM_400000_NS6detail17trampoline_kernelINS0_14default_configENS1_21merge_config_selectorIjNS0_10empty_typeEEEZNS1_10merge_implIS3_N6thrust23THRUST_200600_302600_NS6detail15normal_iteratorINS9_10device_ptrIKjEEEESF_NSB_INSC_IjEEEEPS5_SI_SI_NS9_4lessIjEEEE10hipError_tPvRmT0_T1_T2_T3_T4_T5_mmT6_P12ihipStream_tbEUlT_E0_NS1_11comp_targetILNS1_3genE3ELNS1_11target_archE908ELNS1_3gpuE7ELNS1_3repE0EEENS1_30default_config_static_selectorELNS0_4arch9wavefront6targetE1EEEvSP_
	.p2align	8
	.type	_ZN7rocprim17ROCPRIM_400000_NS6detail17trampoline_kernelINS0_14default_configENS1_21merge_config_selectorIjNS0_10empty_typeEEEZNS1_10merge_implIS3_N6thrust23THRUST_200600_302600_NS6detail15normal_iteratorINS9_10device_ptrIKjEEEESF_NSB_INSC_IjEEEEPS5_SI_SI_NS9_4lessIjEEEE10hipError_tPvRmT0_T1_T2_T3_T4_T5_mmT6_P12ihipStream_tbEUlT_E0_NS1_11comp_targetILNS1_3genE3ELNS1_11target_archE908ELNS1_3gpuE7ELNS1_3repE0EEENS1_30default_config_static_selectorELNS0_4arch9wavefront6targetE1EEEvSP_,@function
_ZN7rocprim17ROCPRIM_400000_NS6detail17trampoline_kernelINS0_14default_configENS1_21merge_config_selectorIjNS0_10empty_typeEEEZNS1_10merge_implIS3_N6thrust23THRUST_200600_302600_NS6detail15normal_iteratorINS9_10device_ptrIKjEEEESF_NSB_INSC_IjEEEEPS5_SI_SI_NS9_4lessIjEEEE10hipError_tPvRmT0_T1_T2_T3_T4_T5_mmT6_P12ihipStream_tbEUlT_E0_NS1_11comp_targetILNS1_3genE3ELNS1_11target_archE908ELNS1_3gpuE7ELNS1_3repE0EEENS1_30default_config_static_selectorELNS0_4arch9wavefront6targetE1EEEvSP_: ; @_ZN7rocprim17ROCPRIM_400000_NS6detail17trampoline_kernelINS0_14default_configENS1_21merge_config_selectorIjNS0_10empty_typeEEEZNS1_10merge_implIS3_N6thrust23THRUST_200600_302600_NS6detail15normal_iteratorINS9_10device_ptrIKjEEEESF_NSB_INSC_IjEEEEPS5_SI_SI_NS9_4lessIjEEEE10hipError_tPvRmT0_T1_T2_T3_T4_T5_mmT6_P12ihipStream_tbEUlT_E0_NS1_11comp_targetILNS1_3genE3ELNS1_11target_archE908ELNS1_3gpuE7ELNS1_3repE0EEENS1_30default_config_static_selectorELNS0_4arch9wavefront6targetE1EEEvSP_
; %bb.0:
	.section	.rodata,"a",@progbits
	.p2align	6, 0x0
	.amdhsa_kernel _ZN7rocprim17ROCPRIM_400000_NS6detail17trampoline_kernelINS0_14default_configENS1_21merge_config_selectorIjNS0_10empty_typeEEEZNS1_10merge_implIS3_N6thrust23THRUST_200600_302600_NS6detail15normal_iteratorINS9_10device_ptrIKjEEEESF_NSB_INSC_IjEEEEPS5_SI_SI_NS9_4lessIjEEEE10hipError_tPvRmT0_T1_T2_T3_T4_T5_mmT6_P12ihipStream_tbEUlT_E0_NS1_11comp_targetILNS1_3genE3ELNS1_11target_archE908ELNS1_3gpuE7ELNS1_3repE0EEENS1_30default_config_static_selectorELNS0_4arch9wavefront6targetE1EEEvSP_
		.amdhsa_group_segment_fixed_size 0
		.amdhsa_private_segment_fixed_size 0
		.amdhsa_kernarg_size 88
		.amdhsa_user_sgpr_count 6
		.amdhsa_user_sgpr_private_segment_buffer 1
		.amdhsa_user_sgpr_dispatch_ptr 0
		.amdhsa_user_sgpr_queue_ptr 0
		.amdhsa_user_sgpr_kernarg_segment_ptr 1
		.amdhsa_user_sgpr_dispatch_id 0
		.amdhsa_user_sgpr_flat_scratch_init 0
		.amdhsa_user_sgpr_kernarg_preload_length 0
		.amdhsa_user_sgpr_kernarg_preload_offset 0
		.amdhsa_user_sgpr_private_segment_size 0
		.amdhsa_uses_dynamic_stack 0
		.amdhsa_system_sgpr_private_segment_wavefront_offset 0
		.amdhsa_system_sgpr_workgroup_id_x 1
		.amdhsa_system_sgpr_workgroup_id_y 0
		.amdhsa_system_sgpr_workgroup_id_z 0
		.amdhsa_system_sgpr_workgroup_info 0
		.amdhsa_system_vgpr_workitem_id 0
		.amdhsa_next_free_vgpr 1
		.amdhsa_next_free_sgpr 0
		.amdhsa_accum_offset 4
		.amdhsa_reserve_vcc 0
		.amdhsa_reserve_flat_scratch 0
		.amdhsa_float_round_mode_32 0
		.amdhsa_float_round_mode_16_64 0
		.amdhsa_float_denorm_mode_32 3
		.amdhsa_float_denorm_mode_16_64 3
		.amdhsa_dx10_clamp 1
		.amdhsa_ieee_mode 1
		.amdhsa_fp16_overflow 0
		.amdhsa_tg_split 0
		.amdhsa_exception_fp_ieee_invalid_op 0
		.amdhsa_exception_fp_denorm_src 0
		.amdhsa_exception_fp_ieee_div_zero 0
		.amdhsa_exception_fp_ieee_overflow 0
		.amdhsa_exception_fp_ieee_underflow 0
		.amdhsa_exception_fp_ieee_inexact 0
		.amdhsa_exception_int_div_zero 0
	.end_amdhsa_kernel
	.section	.text._ZN7rocprim17ROCPRIM_400000_NS6detail17trampoline_kernelINS0_14default_configENS1_21merge_config_selectorIjNS0_10empty_typeEEEZNS1_10merge_implIS3_N6thrust23THRUST_200600_302600_NS6detail15normal_iteratorINS9_10device_ptrIKjEEEESF_NSB_INSC_IjEEEEPS5_SI_SI_NS9_4lessIjEEEE10hipError_tPvRmT0_T1_T2_T3_T4_T5_mmT6_P12ihipStream_tbEUlT_E0_NS1_11comp_targetILNS1_3genE3ELNS1_11target_archE908ELNS1_3gpuE7ELNS1_3repE0EEENS1_30default_config_static_selectorELNS0_4arch9wavefront6targetE1EEEvSP_,"axG",@progbits,_ZN7rocprim17ROCPRIM_400000_NS6detail17trampoline_kernelINS0_14default_configENS1_21merge_config_selectorIjNS0_10empty_typeEEEZNS1_10merge_implIS3_N6thrust23THRUST_200600_302600_NS6detail15normal_iteratorINS9_10device_ptrIKjEEEESF_NSB_INSC_IjEEEEPS5_SI_SI_NS9_4lessIjEEEE10hipError_tPvRmT0_T1_T2_T3_T4_T5_mmT6_P12ihipStream_tbEUlT_E0_NS1_11comp_targetILNS1_3genE3ELNS1_11target_archE908ELNS1_3gpuE7ELNS1_3repE0EEENS1_30default_config_static_selectorELNS0_4arch9wavefront6targetE1EEEvSP_,comdat
.Lfunc_end145:
	.size	_ZN7rocprim17ROCPRIM_400000_NS6detail17trampoline_kernelINS0_14default_configENS1_21merge_config_selectorIjNS0_10empty_typeEEEZNS1_10merge_implIS3_N6thrust23THRUST_200600_302600_NS6detail15normal_iteratorINS9_10device_ptrIKjEEEESF_NSB_INSC_IjEEEEPS5_SI_SI_NS9_4lessIjEEEE10hipError_tPvRmT0_T1_T2_T3_T4_T5_mmT6_P12ihipStream_tbEUlT_E0_NS1_11comp_targetILNS1_3genE3ELNS1_11target_archE908ELNS1_3gpuE7ELNS1_3repE0EEENS1_30default_config_static_selectorELNS0_4arch9wavefront6targetE1EEEvSP_, .Lfunc_end145-_ZN7rocprim17ROCPRIM_400000_NS6detail17trampoline_kernelINS0_14default_configENS1_21merge_config_selectorIjNS0_10empty_typeEEEZNS1_10merge_implIS3_N6thrust23THRUST_200600_302600_NS6detail15normal_iteratorINS9_10device_ptrIKjEEEESF_NSB_INSC_IjEEEEPS5_SI_SI_NS9_4lessIjEEEE10hipError_tPvRmT0_T1_T2_T3_T4_T5_mmT6_P12ihipStream_tbEUlT_E0_NS1_11comp_targetILNS1_3genE3ELNS1_11target_archE908ELNS1_3gpuE7ELNS1_3repE0EEENS1_30default_config_static_selectorELNS0_4arch9wavefront6targetE1EEEvSP_
                                        ; -- End function
	.section	.AMDGPU.csdata,"",@progbits
; Kernel info:
; codeLenInByte = 0
; NumSgprs: 4
; NumVgprs: 0
; NumAgprs: 0
; TotalNumVgprs: 0
; ScratchSize: 0
; MemoryBound: 0
; FloatMode: 240
; IeeeMode: 1
; LDSByteSize: 0 bytes/workgroup (compile time only)
; SGPRBlocks: 0
; VGPRBlocks: 0
; NumSGPRsForWavesPerEU: 4
; NumVGPRsForWavesPerEU: 1
; AccumOffset: 4
; Occupancy: 8
; WaveLimiterHint : 0
; COMPUTE_PGM_RSRC2:SCRATCH_EN: 0
; COMPUTE_PGM_RSRC2:USER_SGPR: 6
; COMPUTE_PGM_RSRC2:TRAP_HANDLER: 0
; COMPUTE_PGM_RSRC2:TGID_X_EN: 1
; COMPUTE_PGM_RSRC2:TGID_Y_EN: 0
; COMPUTE_PGM_RSRC2:TGID_Z_EN: 0
; COMPUTE_PGM_RSRC2:TIDIG_COMP_CNT: 0
; COMPUTE_PGM_RSRC3_GFX90A:ACCUM_OFFSET: 0
; COMPUTE_PGM_RSRC3_GFX90A:TG_SPLIT: 0
	.section	.text._ZN7rocprim17ROCPRIM_400000_NS6detail17trampoline_kernelINS0_14default_configENS1_21merge_config_selectorIjNS0_10empty_typeEEEZNS1_10merge_implIS3_N6thrust23THRUST_200600_302600_NS6detail15normal_iteratorINS9_10device_ptrIKjEEEESF_NSB_INSC_IjEEEEPS5_SI_SI_NS9_4lessIjEEEE10hipError_tPvRmT0_T1_T2_T3_T4_T5_mmT6_P12ihipStream_tbEUlT_E0_NS1_11comp_targetILNS1_3genE2ELNS1_11target_archE906ELNS1_3gpuE6ELNS1_3repE0EEENS1_30default_config_static_selectorELNS0_4arch9wavefront6targetE1EEEvSP_,"axG",@progbits,_ZN7rocprim17ROCPRIM_400000_NS6detail17trampoline_kernelINS0_14default_configENS1_21merge_config_selectorIjNS0_10empty_typeEEEZNS1_10merge_implIS3_N6thrust23THRUST_200600_302600_NS6detail15normal_iteratorINS9_10device_ptrIKjEEEESF_NSB_INSC_IjEEEEPS5_SI_SI_NS9_4lessIjEEEE10hipError_tPvRmT0_T1_T2_T3_T4_T5_mmT6_P12ihipStream_tbEUlT_E0_NS1_11comp_targetILNS1_3genE2ELNS1_11target_archE906ELNS1_3gpuE6ELNS1_3repE0EEENS1_30default_config_static_selectorELNS0_4arch9wavefront6targetE1EEEvSP_,comdat
	.protected	_ZN7rocprim17ROCPRIM_400000_NS6detail17trampoline_kernelINS0_14default_configENS1_21merge_config_selectorIjNS0_10empty_typeEEEZNS1_10merge_implIS3_N6thrust23THRUST_200600_302600_NS6detail15normal_iteratorINS9_10device_ptrIKjEEEESF_NSB_INSC_IjEEEEPS5_SI_SI_NS9_4lessIjEEEE10hipError_tPvRmT0_T1_T2_T3_T4_T5_mmT6_P12ihipStream_tbEUlT_E0_NS1_11comp_targetILNS1_3genE2ELNS1_11target_archE906ELNS1_3gpuE6ELNS1_3repE0EEENS1_30default_config_static_selectorELNS0_4arch9wavefront6targetE1EEEvSP_ ; -- Begin function _ZN7rocprim17ROCPRIM_400000_NS6detail17trampoline_kernelINS0_14default_configENS1_21merge_config_selectorIjNS0_10empty_typeEEEZNS1_10merge_implIS3_N6thrust23THRUST_200600_302600_NS6detail15normal_iteratorINS9_10device_ptrIKjEEEESF_NSB_INSC_IjEEEEPS5_SI_SI_NS9_4lessIjEEEE10hipError_tPvRmT0_T1_T2_T3_T4_T5_mmT6_P12ihipStream_tbEUlT_E0_NS1_11comp_targetILNS1_3genE2ELNS1_11target_archE906ELNS1_3gpuE6ELNS1_3repE0EEENS1_30default_config_static_selectorELNS0_4arch9wavefront6targetE1EEEvSP_
	.globl	_ZN7rocprim17ROCPRIM_400000_NS6detail17trampoline_kernelINS0_14default_configENS1_21merge_config_selectorIjNS0_10empty_typeEEEZNS1_10merge_implIS3_N6thrust23THRUST_200600_302600_NS6detail15normal_iteratorINS9_10device_ptrIKjEEEESF_NSB_INSC_IjEEEEPS5_SI_SI_NS9_4lessIjEEEE10hipError_tPvRmT0_T1_T2_T3_T4_T5_mmT6_P12ihipStream_tbEUlT_E0_NS1_11comp_targetILNS1_3genE2ELNS1_11target_archE906ELNS1_3gpuE6ELNS1_3repE0EEENS1_30default_config_static_selectorELNS0_4arch9wavefront6targetE1EEEvSP_
	.p2align	8
	.type	_ZN7rocprim17ROCPRIM_400000_NS6detail17trampoline_kernelINS0_14default_configENS1_21merge_config_selectorIjNS0_10empty_typeEEEZNS1_10merge_implIS3_N6thrust23THRUST_200600_302600_NS6detail15normal_iteratorINS9_10device_ptrIKjEEEESF_NSB_INSC_IjEEEEPS5_SI_SI_NS9_4lessIjEEEE10hipError_tPvRmT0_T1_T2_T3_T4_T5_mmT6_P12ihipStream_tbEUlT_E0_NS1_11comp_targetILNS1_3genE2ELNS1_11target_archE906ELNS1_3gpuE6ELNS1_3repE0EEENS1_30default_config_static_selectorELNS0_4arch9wavefront6targetE1EEEvSP_,@function
_ZN7rocprim17ROCPRIM_400000_NS6detail17trampoline_kernelINS0_14default_configENS1_21merge_config_selectorIjNS0_10empty_typeEEEZNS1_10merge_implIS3_N6thrust23THRUST_200600_302600_NS6detail15normal_iteratorINS9_10device_ptrIKjEEEESF_NSB_INSC_IjEEEEPS5_SI_SI_NS9_4lessIjEEEE10hipError_tPvRmT0_T1_T2_T3_T4_T5_mmT6_P12ihipStream_tbEUlT_E0_NS1_11comp_targetILNS1_3genE2ELNS1_11target_archE906ELNS1_3gpuE6ELNS1_3repE0EEENS1_30default_config_static_selectorELNS0_4arch9wavefront6targetE1EEEvSP_: ; @_ZN7rocprim17ROCPRIM_400000_NS6detail17trampoline_kernelINS0_14default_configENS1_21merge_config_selectorIjNS0_10empty_typeEEEZNS1_10merge_implIS3_N6thrust23THRUST_200600_302600_NS6detail15normal_iteratorINS9_10device_ptrIKjEEEESF_NSB_INSC_IjEEEEPS5_SI_SI_NS9_4lessIjEEEE10hipError_tPvRmT0_T1_T2_T3_T4_T5_mmT6_P12ihipStream_tbEUlT_E0_NS1_11comp_targetILNS1_3genE2ELNS1_11target_archE906ELNS1_3gpuE6ELNS1_3repE0EEENS1_30default_config_static_selectorELNS0_4arch9wavefront6targetE1EEEvSP_
; %bb.0:
	.section	.rodata,"a",@progbits
	.p2align	6, 0x0
	.amdhsa_kernel _ZN7rocprim17ROCPRIM_400000_NS6detail17trampoline_kernelINS0_14default_configENS1_21merge_config_selectorIjNS0_10empty_typeEEEZNS1_10merge_implIS3_N6thrust23THRUST_200600_302600_NS6detail15normal_iteratorINS9_10device_ptrIKjEEEESF_NSB_INSC_IjEEEEPS5_SI_SI_NS9_4lessIjEEEE10hipError_tPvRmT0_T1_T2_T3_T4_T5_mmT6_P12ihipStream_tbEUlT_E0_NS1_11comp_targetILNS1_3genE2ELNS1_11target_archE906ELNS1_3gpuE6ELNS1_3repE0EEENS1_30default_config_static_selectorELNS0_4arch9wavefront6targetE1EEEvSP_
		.amdhsa_group_segment_fixed_size 0
		.amdhsa_private_segment_fixed_size 0
		.amdhsa_kernarg_size 88
		.amdhsa_user_sgpr_count 6
		.amdhsa_user_sgpr_private_segment_buffer 1
		.amdhsa_user_sgpr_dispatch_ptr 0
		.amdhsa_user_sgpr_queue_ptr 0
		.amdhsa_user_sgpr_kernarg_segment_ptr 1
		.amdhsa_user_sgpr_dispatch_id 0
		.amdhsa_user_sgpr_flat_scratch_init 0
		.amdhsa_user_sgpr_kernarg_preload_length 0
		.amdhsa_user_sgpr_kernarg_preload_offset 0
		.amdhsa_user_sgpr_private_segment_size 0
		.amdhsa_uses_dynamic_stack 0
		.amdhsa_system_sgpr_private_segment_wavefront_offset 0
		.amdhsa_system_sgpr_workgroup_id_x 1
		.amdhsa_system_sgpr_workgroup_id_y 0
		.amdhsa_system_sgpr_workgroup_id_z 0
		.amdhsa_system_sgpr_workgroup_info 0
		.amdhsa_system_vgpr_workitem_id 0
		.amdhsa_next_free_vgpr 1
		.amdhsa_next_free_sgpr 0
		.amdhsa_accum_offset 4
		.amdhsa_reserve_vcc 0
		.amdhsa_reserve_flat_scratch 0
		.amdhsa_float_round_mode_32 0
		.amdhsa_float_round_mode_16_64 0
		.amdhsa_float_denorm_mode_32 3
		.amdhsa_float_denorm_mode_16_64 3
		.amdhsa_dx10_clamp 1
		.amdhsa_ieee_mode 1
		.amdhsa_fp16_overflow 0
		.amdhsa_tg_split 0
		.amdhsa_exception_fp_ieee_invalid_op 0
		.amdhsa_exception_fp_denorm_src 0
		.amdhsa_exception_fp_ieee_div_zero 0
		.amdhsa_exception_fp_ieee_overflow 0
		.amdhsa_exception_fp_ieee_underflow 0
		.amdhsa_exception_fp_ieee_inexact 0
		.amdhsa_exception_int_div_zero 0
	.end_amdhsa_kernel
	.section	.text._ZN7rocprim17ROCPRIM_400000_NS6detail17trampoline_kernelINS0_14default_configENS1_21merge_config_selectorIjNS0_10empty_typeEEEZNS1_10merge_implIS3_N6thrust23THRUST_200600_302600_NS6detail15normal_iteratorINS9_10device_ptrIKjEEEESF_NSB_INSC_IjEEEEPS5_SI_SI_NS9_4lessIjEEEE10hipError_tPvRmT0_T1_T2_T3_T4_T5_mmT6_P12ihipStream_tbEUlT_E0_NS1_11comp_targetILNS1_3genE2ELNS1_11target_archE906ELNS1_3gpuE6ELNS1_3repE0EEENS1_30default_config_static_selectorELNS0_4arch9wavefront6targetE1EEEvSP_,"axG",@progbits,_ZN7rocprim17ROCPRIM_400000_NS6detail17trampoline_kernelINS0_14default_configENS1_21merge_config_selectorIjNS0_10empty_typeEEEZNS1_10merge_implIS3_N6thrust23THRUST_200600_302600_NS6detail15normal_iteratorINS9_10device_ptrIKjEEEESF_NSB_INSC_IjEEEEPS5_SI_SI_NS9_4lessIjEEEE10hipError_tPvRmT0_T1_T2_T3_T4_T5_mmT6_P12ihipStream_tbEUlT_E0_NS1_11comp_targetILNS1_3genE2ELNS1_11target_archE906ELNS1_3gpuE6ELNS1_3repE0EEENS1_30default_config_static_selectorELNS0_4arch9wavefront6targetE1EEEvSP_,comdat
.Lfunc_end146:
	.size	_ZN7rocprim17ROCPRIM_400000_NS6detail17trampoline_kernelINS0_14default_configENS1_21merge_config_selectorIjNS0_10empty_typeEEEZNS1_10merge_implIS3_N6thrust23THRUST_200600_302600_NS6detail15normal_iteratorINS9_10device_ptrIKjEEEESF_NSB_INSC_IjEEEEPS5_SI_SI_NS9_4lessIjEEEE10hipError_tPvRmT0_T1_T2_T3_T4_T5_mmT6_P12ihipStream_tbEUlT_E0_NS1_11comp_targetILNS1_3genE2ELNS1_11target_archE906ELNS1_3gpuE6ELNS1_3repE0EEENS1_30default_config_static_selectorELNS0_4arch9wavefront6targetE1EEEvSP_, .Lfunc_end146-_ZN7rocprim17ROCPRIM_400000_NS6detail17trampoline_kernelINS0_14default_configENS1_21merge_config_selectorIjNS0_10empty_typeEEEZNS1_10merge_implIS3_N6thrust23THRUST_200600_302600_NS6detail15normal_iteratorINS9_10device_ptrIKjEEEESF_NSB_INSC_IjEEEEPS5_SI_SI_NS9_4lessIjEEEE10hipError_tPvRmT0_T1_T2_T3_T4_T5_mmT6_P12ihipStream_tbEUlT_E0_NS1_11comp_targetILNS1_3genE2ELNS1_11target_archE906ELNS1_3gpuE6ELNS1_3repE0EEENS1_30default_config_static_selectorELNS0_4arch9wavefront6targetE1EEEvSP_
                                        ; -- End function
	.section	.AMDGPU.csdata,"",@progbits
; Kernel info:
; codeLenInByte = 0
; NumSgprs: 4
; NumVgprs: 0
; NumAgprs: 0
; TotalNumVgprs: 0
; ScratchSize: 0
; MemoryBound: 0
; FloatMode: 240
; IeeeMode: 1
; LDSByteSize: 0 bytes/workgroup (compile time only)
; SGPRBlocks: 0
; VGPRBlocks: 0
; NumSGPRsForWavesPerEU: 4
; NumVGPRsForWavesPerEU: 1
; AccumOffset: 4
; Occupancy: 8
; WaveLimiterHint : 0
; COMPUTE_PGM_RSRC2:SCRATCH_EN: 0
; COMPUTE_PGM_RSRC2:USER_SGPR: 6
; COMPUTE_PGM_RSRC2:TRAP_HANDLER: 0
; COMPUTE_PGM_RSRC2:TGID_X_EN: 1
; COMPUTE_PGM_RSRC2:TGID_Y_EN: 0
; COMPUTE_PGM_RSRC2:TGID_Z_EN: 0
; COMPUTE_PGM_RSRC2:TIDIG_COMP_CNT: 0
; COMPUTE_PGM_RSRC3_GFX90A:ACCUM_OFFSET: 0
; COMPUTE_PGM_RSRC3_GFX90A:TG_SPLIT: 0
	.section	.text._ZN7rocprim17ROCPRIM_400000_NS6detail17trampoline_kernelINS0_14default_configENS1_21merge_config_selectorIjNS0_10empty_typeEEEZNS1_10merge_implIS3_N6thrust23THRUST_200600_302600_NS6detail15normal_iteratorINS9_10device_ptrIKjEEEESF_NSB_INSC_IjEEEEPS5_SI_SI_NS9_4lessIjEEEE10hipError_tPvRmT0_T1_T2_T3_T4_T5_mmT6_P12ihipStream_tbEUlT_E0_NS1_11comp_targetILNS1_3genE10ELNS1_11target_archE1201ELNS1_3gpuE5ELNS1_3repE0EEENS1_30default_config_static_selectorELNS0_4arch9wavefront6targetE1EEEvSP_,"axG",@progbits,_ZN7rocprim17ROCPRIM_400000_NS6detail17trampoline_kernelINS0_14default_configENS1_21merge_config_selectorIjNS0_10empty_typeEEEZNS1_10merge_implIS3_N6thrust23THRUST_200600_302600_NS6detail15normal_iteratorINS9_10device_ptrIKjEEEESF_NSB_INSC_IjEEEEPS5_SI_SI_NS9_4lessIjEEEE10hipError_tPvRmT0_T1_T2_T3_T4_T5_mmT6_P12ihipStream_tbEUlT_E0_NS1_11comp_targetILNS1_3genE10ELNS1_11target_archE1201ELNS1_3gpuE5ELNS1_3repE0EEENS1_30default_config_static_selectorELNS0_4arch9wavefront6targetE1EEEvSP_,comdat
	.protected	_ZN7rocprim17ROCPRIM_400000_NS6detail17trampoline_kernelINS0_14default_configENS1_21merge_config_selectorIjNS0_10empty_typeEEEZNS1_10merge_implIS3_N6thrust23THRUST_200600_302600_NS6detail15normal_iteratorINS9_10device_ptrIKjEEEESF_NSB_INSC_IjEEEEPS5_SI_SI_NS9_4lessIjEEEE10hipError_tPvRmT0_T1_T2_T3_T4_T5_mmT6_P12ihipStream_tbEUlT_E0_NS1_11comp_targetILNS1_3genE10ELNS1_11target_archE1201ELNS1_3gpuE5ELNS1_3repE0EEENS1_30default_config_static_selectorELNS0_4arch9wavefront6targetE1EEEvSP_ ; -- Begin function _ZN7rocprim17ROCPRIM_400000_NS6detail17trampoline_kernelINS0_14default_configENS1_21merge_config_selectorIjNS0_10empty_typeEEEZNS1_10merge_implIS3_N6thrust23THRUST_200600_302600_NS6detail15normal_iteratorINS9_10device_ptrIKjEEEESF_NSB_INSC_IjEEEEPS5_SI_SI_NS9_4lessIjEEEE10hipError_tPvRmT0_T1_T2_T3_T4_T5_mmT6_P12ihipStream_tbEUlT_E0_NS1_11comp_targetILNS1_3genE10ELNS1_11target_archE1201ELNS1_3gpuE5ELNS1_3repE0EEENS1_30default_config_static_selectorELNS0_4arch9wavefront6targetE1EEEvSP_
	.globl	_ZN7rocprim17ROCPRIM_400000_NS6detail17trampoline_kernelINS0_14default_configENS1_21merge_config_selectorIjNS0_10empty_typeEEEZNS1_10merge_implIS3_N6thrust23THRUST_200600_302600_NS6detail15normal_iteratorINS9_10device_ptrIKjEEEESF_NSB_INSC_IjEEEEPS5_SI_SI_NS9_4lessIjEEEE10hipError_tPvRmT0_T1_T2_T3_T4_T5_mmT6_P12ihipStream_tbEUlT_E0_NS1_11comp_targetILNS1_3genE10ELNS1_11target_archE1201ELNS1_3gpuE5ELNS1_3repE0EEENS1_30default_config_static_selectorELNS0_4arch9wavefront6targetE1EEEvSP_
	.p2align	8
	.type	_ZN7rocprim17ROCPRIM_400000_NS6detail17trampoline_kernelINS0_14default_configENS1_21merge_config_selectorIjNS0_10empty_typeEEEZNS1_10merge_implIS3_N6thrust23THRUST_200600_302600_NS6detail15normal_iteratorINS9_10device_ptrIKjEEEESF_NSB_INSC_IjEEEEPS5_SI_SI_NS9_4lessIjEEEE10hipError_tPvRmT0_T1_T2_T3_T4_T5_mmT6_P12ihipStream_tbEUlT_E0_NS1_11comp_targetILNS1_3genE10ELNS1_11target_archE1201ELNS1_3gpuE5ELNS1_3repE0EEENS1_30default_config_static_selectorELNS0_4arch9wavefront6targetE1EEEvSP_,@function
_ZN7rocprim17ROCPRIM_400000_NS6detail17trampoline_kernelINS0_14default_configENS1_21merge_config_selectorIjNS0_10empty_typeEEEZNS1_10merge_implIS3_N6thrust23THRUST_200600_302600_NS6detail15normal_iteratorINS9_10device_ptrIKjEEEESF_NSB_INSC_IjEEEEPS5_SI_SI_NS9_4lessIjEEEE10hipError_tPvRmT0_T1_T2_T3_T4_T5_mmT6_P12ihipStream_tbEUlT_E0_NS1_11comp_targetILNS1_3genE10ELNS1_11target_archE1201ELNS1_3gpuE5ELNS1_3repE0EEENS1_30default_config_static_selectorELNS0_4arch9wavefront6targetE1EEEvSP_: ; @_ZN7rocprim17ROCPRIM_400000_NS6detail17trampoline_kernelINS0_14default_configENS1_21merge_config_selectorIjNS0_10empty_typeEEEZNS1_10merge_implIS3_N6thrust23THRUST_200600_302600_NS6detail15normal_iteratorINS9_10device_ptrIKjEEEESF_NSB_INSC_IjEEEEPS5_SI_SI_NS9_4lessIjEEEE10hipError_tPvRmT0_T1_T2_T3_T4_T5_mmT6_P12ihipStream_tbEUlT_E0_NS1_11comp_targetILNS1_3genE10ELNS1_11target_archE1201ELNS1_3gpuE5ELNS1_3repE0EEENS1_30default_config_static_selectorELNS0_4arch9wavefront6targetE1EEEvSP_
; %bb.0:
	.section	.rodata,"a",@progbits
	.p2align	6, 0x0
	.amdhsa_kernel _ZN7rocprim17ROCPRIM_400000_NS6detail17trampoline_kernelINS0_14default_configENS1_21merge_config_selectorIjNS0_10empty_typeEEEZNS1_10merge_implIS3_N6thrust23THRUST_200600_302600_NS6detail15normal_iteratorINS9_10device_ptrIKjEEEESF_NSB_INSC_IjEEEEPS5_SI_SI_NS9_4lessIjEEEE10hipError_tPvRmT0_T1_T2_T3_T4_T5_mmT6_P12ihipStream_tbEUlT_E0_NS1_11comp_targetILNS1_3genE10ELNS1_11target_archE1201ELNS1_3gpuE5ELNS1_3repE0EEENS1_30default_config_static_selectorELNS0_4arch9wavefront6targetE1EEEvSP_
		.amdhsa_group_segment_fixed_size 0
		.amdhsa_private_segment_fixed_size 0
		.amdhsa_kernarg_size 88
		.amdhsa_user_sgpr_count 6
		.amdhsa_user_sgpr_private_segment_buffer 1
		.amdhsa_user_sgpr_dispatch_ptr 0
		.amdhsa_user_sgpr_queue_ptr 0
		.amdhsa_user_sgpr_kernarg_segment_ptr 1
		.amdhsa_user_sgpr_dispatch_id 0
		.amdhsa_user_sgpr_flat_scratch_init 0
		.amdhsa_user_sgpr_kernarg_preload_length 0
		.amdhsa_user_sgpr_kernarg_preload_offset 0
		.amdhsa_user_sgpr_private_segment_size 0
		.amdhsa_uses_dynamic_stack 0
		.amdhsa_system_sgpr_private_segment_wavefront_offset 0
		.amdhsa_system_sgpr_workgroup_id_x 1
		.amdhsa_system_sgpr_workgroup_id_y 0
		.amdhsa_system_sgpr_workgroup_id_z 0
		.amdhsa_system_sgpr_workgroup_info 0
		.amdhsa_system_vgpr_workitem_id 0
		.amdhsa_next_free_vgpr 1
		.amdhsa_next_free_sgpr 0
		.amdhsa_accum_offset 4
		.amdhsa_reserve_vcc 0
		.amdhsa_reserve_flat_scratch 0
		.amdhsa_float_round_mode_32 0
		.amdhsa_float_round_mode_16_64 0
		.amdhsa_float_denorm_mode_32 3
		.amdhsa_float_denorm_mode_16_64 3
		.amdhsa_dx10_clamp 1
		.amdhsa_ieee_mode 1
		.amdhsa_fp16_overflow 0
		.amdhsa_tg_split 0
		.amdhsa_exception_fp_ieee_invalid_op 0
		.amdhsa_exception_fp_denorm_src 0
		.amdhsa_exception_fp_ieee_div_zero 0
		.amdhsa_exception_fp_ieee_overflow 0
		.amdhsa_exception_fp_ieee_underflow 0
		.amdhsa_exception_fp_ieee_inexact 0
		.amdhsa_exception_int_div_zero 0
	.end_amdhsa_kernel
	.section	.text._ZN7rocprim17ROCPRIM_400000_NS6detail17trampoline_kernelINS0_14default_configENS1_21merge_config_selectorIjNS0_10empty_typeEEEZNS1_10merge_implIS3_N6thrust23THRUST_200600_302600_NS6detail15normal_iteratorINS9_10device_ptrIKjEEEESF_NSB_INSC_IjEEEEPS5_SI_SI_NS9_4lessIjEEEE10hipError_tPvRmT0_T1_T2_T3_T4_T5_mmT6_P12ihipStream_tbEUlT_E0_NS1_11comp_targetILNS1_3genE10ELNS1_11target_archE1201ELNS1_3gpuE5ELNS1_3repE0EEENS1_30default_config_static_selectorELNS0_4arch9wavefront6targetE1EEEvSP_,"axG",@progbits,_ZN7rocprim17ROCPRIM_400000_NS6detail17trampoline_kernelINS0_14default_configENS1_21merge_config_selectorIjNS0_10empty_typeEEEZNS1_10merge_implIS3_N6thrust23THRUST_200600_302600_NS6detail15normal_iteratorINS9_10device_ptrIKjEEEESF_NSB_INSC_IjEEEEPS5_SI_SI_NS9_4lessIjEEEE10hipError_tPvRmT0_T1_T2_T3_T4_T5_mmT6_P12ihipStream_tbEUlT_E0_NS1_11comp_targetILNS1_3genE10ELNS1_11target_archE1201ELNS1_3gpuE5ELNS1_3repE0EEENS1_30default_config_static_selectorELNS0_4arch9wavefront6targetE1EEEvSP_,comdat
.Lfunc_end147:
	.size	_ZN7rocprim17ROCPRIM_400000_NS6detail17trampoline_kernelINS0_14default_configENS1_21merge_config_selectorIjNS0_10empty_typeEEEZNS1_10merge_implIS3_N6thrust23THRUST_200600_302600_NS6detail15normal_iteratorINS9_10device_ptrIKjEEEESF_NSB_INSC_IjEEEEPS5_SI_SI_NS9_4lessIjEEEE10hipError_tPvRmT0_T1_T2_T3_T4_T5_mmT6_P12ihipStream_tbEUlT_E0_NS1_11comp_targetILNS1_3genE10ELNS1_11target_archE1201ELNS1_3gpuE5ELNS1_3repE0EEENS1_30default_config_static_selectorELNS0_4arch9wavefront6targetE1EEEvSP_, .Lfunc_end147-_ZN7rocprim17ROCPRIM_400000_NS6detail17trampoline_kernelINS0_14default_configENS1_21merge_config_selectorIjNS0_10empty_typeEEEZNS1_10merge_implIS3_N6thrust23THRUST_200600_302600_NS6detail15normal_iteratorINS9_10device_ptrIKjEEEESF_NSB_INSC_IjEEEEPS5_SI_SI_NS9_4lessIjEEEE10hipError_tPvRmT0_T1_T2_T3_T4_T5_mmT6_P12ihipStream_tbEUlT_E0_NS1_11comp_targetILNS1_3genE10ELNS1_11target_archE1201ELNS1_3gpuE5ELNS1_3repE0EEENS1_30default_config_static_selectorELNS0_4arch9wavefront6targetE1EEEvSP_
                                        ; -- End function
	.section	.AMDGPU.csdata,"",@progbits
; Kernel info:
; codeLenInByte = 0
; NumSgprs: 4
; NumVgprs: 0
; NumAgprs: 0
; TotalNumVgprs: 0
; ScratchSize: 0
; MemoryBound: 0
; FloatMode: 240
; IeeeMode: 1
; LDSByteSize: 0 bytes/workgroup (compile time only)
; SGPRBlocks: 0
; VGPRBlocks: 0
; NumSGPRsForWavesPerEU: 4
; NumVGPRsForWavesPerEU: 1
; AccumOffset: 4
; Occupancy: 8
; WaveLimiterHint : 0
; COMPUTE_PGM_RSRC2:SCRATCH_EN: 0
; COMPUTE_PGM_RSRC2:USER_SGPR: 6
; COMPUTE_PGM_RSRC2:TRAP_HANDLER: 0
; COMPUTE_PGM_RSRC2:TGID_X_EN: 1
; COMPUTE_PGM_RSRC2:TGID_Y_EN: 0
; COMPUTE_PGM_RSRC2:TGID_Z_EN: 0
; COMPUTE_PGM_RSRC2:TIDIG_COMP_CNT: 0
; COMPUTE_PGM_RSRC3_GFX90A:ACCUM_OFFSET: 0
; COMPUTE_PGM_RSRC3_GFX90A:TG_SPLIT: 0
	.section	.text._ZN7rocprim17ROCPRIM_400000_NS6detail17trampoline_kernelINS0_14default_configENS1_21merge_config_selectorIjNS0_10empty_typeEEEZNS1_10merge_implIS3_N6thrust23THRUST_200600_302600_NS6detail15normal_iteratorINS9_10device_ptrIKjEEEESF_NSB_INSC_IjEEEEPS5_SI_SI_NS9_4lessIjEEEE10hipError_tPvRmT0_T1_T2_T3_T4_T5_mmT6_P12ihipStream_tbEUlT_E0_NS1_11comp_targetILNS1_3genE10ELNS1_11target_archE1200ELNS1_3gpuE4ELNS1_3repE0EEENS1_30default_config_static_selectorELNS0_4arch9wavefront6targetE1EEEvSP_,"axG",@progbits,_ZN7rocprim17ROCPRIM_400000_NS6detail17trampoline_kernelINS0_14default_configENS1_21merge_config_selectorIjNS0_10empty_typeEEEZNS1_10merge_implIS3_N6thrust23THRUST_200600_302600_NS6detail15normal_iteratorINS9_10device_ptrIKjEEEESF_NSB_INSC_IjEEEEPS5_SI_SI_NS9_4lessIjEEEE10hipError_tPvRmT0_T1_T2_T3_T4_T5_mmT6_P12ihipStream_tbEUlT_E0_NS1_11comp_targetILNS1_3genE10ELNS1_11target_archE1200ELNS1_3gpuE4ELNS1_3repE0EEENS1_30default_config_static_selectorELNS0_4arch9wavefront6targetE1EEEvSP_,comdat
	.protected	_ZN7rocprim17ROCPRIM_400000_NS6detail17trampoline_kernelINS0_14default_configENS1_21merge_config_selectorIjNS0_10empty_typeEEEZNS1_10merge_implIS3_N6thrust23THRUST_200600_302600_NS6detail15normal_iteratorINS9_10device_ptrIKjEEEESF_NSB_INSC_IjEEEEPS5_SI_SI_NS9_4lessIjEEEE10hipError_tPvRmT0_T1_T2_T3_T4_T5_mmT6_P12ihipStream_tbEUlT_E0_NS1_11comp_targetILNS1_3genE10ELNS1_11target_archE1200ELNS1_3gpuE4ELNS1_3repE0EEENS1_30default_config_static_selectorELNS0_4arch9wavefront6targetE1EEEvSP_ ; -- Begin function _ZN7rocprim17ROCPRIM_400000_NS6detail17trampoline_kernelINS0_14default_configENS1_21merge_config_selectorIjNS0_10empty_typeEEEZNS1_10merge_implIS3_N6thrust23THRUST_200600_302600_NS6detail15normal_iteratorINS9_10device_ptrIKjEEEESF_NSB_INSC_IjEEEEPS5_SI_SI_NS9_4lessIjEEEE10hipError_tPvRmT0_T1_T2_T3_T4_T5_mmT6_P12ihipStream_tbEUlT_E0_NS1_11comp_targetILNS1_3genE10ELNS1_11target_archE1200ELNS1_3gpuE4ELNS1_3repE0EEENS1_30default_config_static_selectorELNS0_4arch9wavefront6targetE1EEEvSP_
	.globl	_ZN7rocprim17ROCPRIM_400000_NS6detail17trampoline_kernelINS0_14default_configENS1_21merge_config_selectorIjNS0_10empty_typeEEEZNS1_10merge_implIS3_N6thrust23THRUST_200600_302600_NS6detail15normal_iteratorINS9_10device_ptrIKjEEEESF_NSB_INSC_IjEEEEPS5_SI_SI_NS9_4lessIjEEEE10hipError_tPvRmT0_T1_T2_T3_T4_T5_mmT6_P12ihipStream_tbEUlT_E0_NS1_11comp_targetILNS1_3genE10ELNS1_11target_archE1200ELNS1_3gpuE4ELNS1_3repE0EEENS1_30default_config_static_selectorELNS0_4arch9wavefront6targetE1EEEvSP_
	.p2align	8
	.type	_ZN7rocprim17ROCPRIM_400000_NS6detail17trampoline_kernelINS0_14default_configENS1_21merge_config_selectorIjNS0_10empty_typeEEEZNS1_10merge_implIS3_N6thrust23THRUST_200600_302600_NS6detail15normal_iteratorINS9_10device_ptrIKjEEEESF_NSB_INSC_IjEEEEPS5_SI_SI_NS9_4lessIjEEEE10hipError_tPvRmT0_T1_T2_T3_T4_T5_mmT6_P12ihipStream_tbEUlT_E0_NS1_11comp_targetILNS1_3genE10ELNS1_11target_archE1200ELNS1_3gpuE4ELNS1_3repE0EEENS1_30default_config_static_selectorELNS0_4arch9wavefront6targetE1EEEvSP_,@function
_ZN7rocprim17ROCPRIM_400000_NS6detail17trampoline_kernelINS0_14default_configENS1_21merge_config_selectorIjNS0_10empty_typeEEEZNS1_10merge_implIS3_N6thrust23THRUST_200600_302600_NS6detail15normal_iteratorINS9_10device_ptrIKjEEEESF_NSB_INSC_IjEEEEPS5_SI_SI_NS9_4lessIjEEEE10hipError_tPvRmT0_T1_T2_T3_T4_T5_mmT6_P12ihipStream_tbEUlT_E0_NS1_11comp_targetILNS1_3genE10ELNS1_11target_archE1200ELNS1_3gpuE4ELNS1_3repE0EEENS1_30default_config_static_selectorELNS0_4arch9wavefront6targetE1EEEvSP_: ; @_ZN7rocprim17ROCPRIM_400000_NS6detail17trampoline_kernelINS0_14default_configENS1_21merge_config_selectorIjNS0_10empty_typeEEEZNS1_10merge_implIS3_N6thrust23THRUST_200600_302600_NS6detail15normal_iteratorINS9_10device_ptrIKjEEEESF_NSB_INSC_IjEEEEPS5_SI_SI_NS9_4lessIjEEEE10hipError_tPvRmT0_T1_T2_T3_T4_T5_mmT6_P12ihipStream_tbEUlT_E0_NS1_11comp_targetILNS1_3genE10ELNS1_11target_archE1200ELNS1_3gpuE4ELNS1_3repE0EEENS1_30default_config_static_selectorELNS0_4arch9wavefront6targetE1EEEvSP_
; %bb.0:
	.section	.rodata,"a",@progbits
	.p2align	6, 0x0
	.amdhsa_kernel _ZN7rocprim17ROCPRIM_400000_NS6detail17trampoline_kernelINS0_14default_configENS1_21merge_config_selectorIjNS0_10empty_typeEEEZNS1_10merge_implIS3_N6thrust23THRUST_200600_302600_NS6detail15normal_iteratorINS9_10device_ptrIKjEEEESF_NSB_INSC_IjEEEEPS5_SI_SI_NS9_4lessIjEEEE10hipError_tPvRmT0_T1_T2_T3_T4_T5_mmT6_P12ihipStream_tbEUlT_E0_NS1_11comp_targetILNS1_3genE10ELNS1_11target_archE1200ELNS1_3gpuE4ELNS1_3repE0EEENS1_30default_config_static_selectorELNS0_4arch9wavefront6targetE1EEEvSP_
		.amdhsa_group_segment_fixed_size 0
		.amdhsa_private_segment_fixed_size 0
		.amdhsa_kernarg_size 88
		.amdhsa_user_sgpr_count 6
		.amdhsa_user_sgpr_private_segment_buffer 1
		.amdhsa_user_sgpr_dispatch_ptr 0
		.amdhsa_user_sgpr_queue_ptr 0
		.amdhsa_user_sgpr_kernarg_segment_ptr 1
		.amdhsa_user_sgpr_dispatch_id 0
		.amdhsa_user_sgpr_flat_scratch_init 0
		.amdhsa_user_sgpr_kernarg_preload_length 0
		.amdhsa_user_sgpr_kernarg_preload_offset 0
		.amdhsa_user_sgpr_private_segment_size 0
		.amdhsa_uses_dynamic_stack 0
		.amdhsa_system_sgpr_private_segment_wavefront_offset 0
		.amdhsa_system_sgpr_workgroup_id_x 1
		.amdhsa_system_sgpr_workgroup_id_y 0
		.amdhsa_system_sgpr_workgroup_id_z 0
		.amdhsa_system_sgpr_workgroup_info 0
		.amdhsa_system_vgpr_workitem_id 0
		.amdhsa_next_free_vgpr 1
		.amdhsa_next_free_sgpr 0
		.amdhsa_accum_offset 4
		.amdhsa_reserve_vcc 0
		.amdhsa_reserve_flat_scratch 0
		.amdhsa_float_round_mode_32 0
		.amdhsa_float_round_mode_16_64 0
		.amdhsa_float_denorm_mode_32 3
		.amdhsa_float_denorm_mode_16_64 3
		.amdhsa_dx10_clamp 1
		.amdhsa_ieee_mode 1
		.amdhsa_fp16_overflow 0
		.amdhsa_tg_split 0
		.amdhsa_exception_fp_ieee_invalid_op 0
		.amdhsa_exception_fp_denorm_src 0
		.amdhsa_exception_fp_ieee_div_zero 0
		.amdhsa_exception_fp_ieee_overflow 0
		.amdhsa_exception_fp_ieee_underflow 0
		.amdhsa_exception_fp_ieee_inexact 0
		.amdhsa_exception_int_div_zero 0
	.end_amdhsa_kernel
	.section	.text._ZN7rocprim17ROCPRIM_400000_NS6detail17trampoline_kernelINS0_14default_configENS1_21merge_config_selectorIjNS0_10empty_typeEEEZNS1_10merge_implIS3_N6thrust23THRUST_200600_302600_NS6detail15normal_iteratorINS9_10device_ptrIKjEEEESF_NSB_INSC_IjEEEEPS5_SI_SI_NS9_4lessIjEEEE10hipError_tPvRmT0_T1_T2_T3_T4_T5_mmT6_P12ihipStream_tbEUlT_E0_NS1_11comp_targetILNS1_3genE10ELNS1_11target_archE1200ELNS1_3gpuE4ELNS1_3repE0EEENS1_30default_config_static_selectorELNS0_4arch9wavefront6targetE1EEEvSP_,"axG",@progbits,_ZN7rocprim17ROCPRIM_400000_NS6detail17trampoline_kernelINS0_14default_configENS1_21merge_config_selectorIjNS0_10empty_typeEEEZNS1_10merge_implIS3_N6thrust23THRUST_200600_302600_NS6detail15normal_iteratorINS9_10device_ptrIKjEEEESF_NSB_INSC_IjEEEEPS5_SI_SI_NS9_4lessIjEEEE10hipError_tPvRmT0_T1_T2_T3_T4_T5_mmT6_P12ihipStream_tbEUlT_E0_NS1_11comp_targetILNS1_3genE10ELNS1_11target_archE1200ELNS1_3gpuE4ELNS1_3repE0EEENS1_30default_config_static_selectorELNS0_4arch9wavefront6targetE1EEEvSP_,comdat
.Lfunc_end148:
	.size	_ZN7rocprim17ROCPRIM_400000_NS6detail17trampoline_kernelINS0_14default_configENS1_21merge_config_selectorIjNS0_10empty_typeEEEZNS1_10merge_implIS3_N6thrust23THRUST_200600_302600_NS6detail15normal_iteratorINS9_10device_ptrIKjEEEESF_NSB_INSC_IjEEEEPS5_SI_SI_NS9_4lessIjEEEE10hipError_tPvRmT0_T1_T2_T3_T4_T5_mmT6_P12ihipStream_tbEUlT_E0_NS1_11comp_targetILNS1_3genE10ELNS1_11target_archE1200ELNS1_3gpuE4ELNS1_3repE0EEENS1_30default_config_static_selectorELNS0_4arch9wavefront6targetE1EEEvSP_, .Lfunc_end148-_ZN7rocprim17ROCPRIM_400000_NS6detail17trampoline_kernelINS0_14default_configENS1_21merge_config_selectorIjNS0_10empty_typeEEEZNS1_10merge_implIS3_N6thrust23THRUST_200600_302600_NS6detail15normal_iteratorINS9_10device_ptrIKjEEEESF_NSB_INSC_IjEEEEPS5_SI_SI_NS9_4lessIjEEEE10hipError_tPvRmT0_T1_T2_T3_T4_T5_mmT6_P12ihipStream_tbEUlT_E0_NS1_11comp_targetILNS1_3genE10ELNS1_11target_archE1200ELNS1_3gpuE4ELNS1_3repE0EEENS1_30default_config_static_selectorELNS0_4arch9wavefront6targetE1EEEvSP_
                                        ; -- End function
	.section	.AMDGPU.csdata,"",@progbits
; Kernel info:
; codeLenInByte = 0
; NumSgprs: 4
; NumVgprs: 0
; NumAgprs: 0
; TotalNumVgprs: 0
; ScratchSize: 0
; MemoryBound: 0
; FloatMode: 240
; IeeeMode: 1
; LDSByteSize: 0 bytes/workgroup (compile time only)
; SGPRBlocks: 0
; VGPRBlocks: 0
; NumSGPRsForWavesPerEU: 4
; NumVGPRsForWavesPerEU: 1
; AccumOffset: 4
; Occupancy: 8
; WaveLimiterHint : 0
; COMPUTE_PGM_RSRC2:SCRATCH_EN: 0
; COMPUTE_PGM_RSRC2:USER_SGPR: 6
; COMPUTE_PGM_RSRC2:TRAP_HANDLER: 0
; COMPUTE_PGM_RSRC2:TGID_X_EN: 1
; COMPUTE_PGM_RSRC2:TGID_Y_EN: 0
; COMPUTE_PGM_RSRC2:TGID_Z_EN: 0
; COMPUTE_PGM_RSRC2:TIDIG_COMP_CNT: 0
; COMPUTE_PGM_RSRC3_GFX90A:ACCUM_OFFSET: 0
; COMPUTE_PGM_RSRC3_GFX90A:TG_SPLIT: 0
	.section	.text._ZN7rocprim17ROCPRIM_400000_NS6detail17trampoline_kernelINS0_14default_configENS1_21merge_config_selectorIjNS0_10empty_typeEEEZNS1_10merge_implIS3_N6thrust23THRUST_200600_302600_NS6detail15normal_iteratorINS9_10device_ptrIKjEEEESF_NSB_INSC_IjEEEEPS5_SI_SI_NS9_4lessIjEEEE10hipError_tPvRmT0_T1_T2_T3_T4_T5_mmT6_P12ihipStream_tbEUlT_E0_NS1_11comp_targetILNS1_3genE9ELNS1_11target_archE1100ELNS1_3gpuE3ELNS1_3repE0EEENS1_30default_config_static_selectorELNS0_4arch9wavefront6targetE1EEEvSP_,"axG",@progbits,_ZN7rocprim17ROCPRIM_400000_NS6detail17trampoline_kernelINS0_14default_configENS1_21merge_config_selectorIjNS0_10empty_typeEEEZNS1_10merge_implIS3_N6thrust23THRUST_200600_302600_NS6detail15normal_iteratorINS9_10device_ptrIKjEEEESF_NSB_INSC_IjEEEEPS5_SI_SI_NS9_4lessIjEEEE10hipError_tPvRmT0_T1_T2_T3_T4_T5_mmT6_P12ihipStream_tbEUlT_E0_NS1_11comp_targetILNS1_3genE9ELNS1_11target_archE1100ELNS1_3gpuE3ELNS1_3repE0EEENS1_30default_config_static_selectorELNS0_4arch9wavefront6targetE1EEEvSP_,comdat
	.protected	_ZN7rocprim17ROCPRIM_400000_NS6detail17trampoline_kernelINS0_14default_configENS1_21merge_config_selectorIjNS0_10empty_typeEEEZNS1_10merge_implIS3_N6thrust23THRUST_200600_302600_NS6detail15normal_iteratorINS9_10device_ptrIKjEEEESF_NSB_INSC_IjEEEEPS5_SI_SI_NS9_4lessIjEEEE10hipError_tPvRmT0_T1_T2_T3_T4_T5_mmT6_P12ihipStream_tbEUlT_E0_NS1_11comp_targetILNS1_3genE9ELNS1_11target_archE1100ELNS1_3gpuE3ELNS1_3repE0EEENS1_30default_config_static_selectorELNS0_4arch9wavefront6targetE1EEEvSP_ ; -- Begin function _ZN7rocprim17ROCPRIM_400000_NS6detail17trampoline_kernelINS0_14default_configENS1_21merge_config_selectorIjNS0_10empty_typeEEEZNS1_10merge_implIS3_N6thrust23THRUST_200600_302600_NS6detail15normal_iteratorINS9_10device_ptrIKjEEEESF_NSB_INSC_IjEEEEPS5_SI_SI_NS9_4lessIjEEEE10hipError_tPvRmT0_T1_T2_T3_T4_T5_mmT6_P12ihipStream_tbEUlT_E0_NS1_11comp_targetILNS1_3genE9ELNS1_11target_archE1100ELNS1_3gpuE3ELNS1_3repE0EEENS1_30default_config_static_selectorELNS0_4arch9wavefront6targetE1EEEvSP_
	.globl	_ZN7rocprim17ROCPRIM_400000_NS6detail17trampoline_kernelINS0_14default_configENS1_21merge_config_selectorIjNS0_10empty_typeEEEZNS1_10merge_implIS3_N6thrust23THRUST_200600_302600_NS6detail15normal_iteratorINS9_10device_ptrIKjEEEESF_NSB_INSC_IjEEEEPS5_SI_SI_NS9_4lessIjEEEE10hipError_tPvRmT0_T1_T2_T3_T4_T5_mmT6_P12ihipStream_tbEUlT_E0_NS1_11comp_targetILNS1_3genE9ELNS1_11target_archE1100ELNS1_3gpuE3ELNS1_3repE0EEENS1_30default_config_static_selectorELNS0_4arch9wavefront6targetE1EEEvSP_
	.p2align	8
	.type	_ZN7rocprim17ROCPRIM_400000_NS6detail17trampoline_kernelINS0_14default_configENS1_21merge_config_selectorIjNS0_10empty_typeEEEZNS1_10merge_implIS3_N6thrust23THRUST_200600_302600_NS6detail15normal_iteratorINS9_10device_ptrIKjEEEESF_NSB_INSC_IjEEEEPS5_SI_SI_NS9_4lessIjEEEE10hipError_tPvRmT0_T1_T2_T3_T4_T5_mmT6_P12ihipStream_tbEUlT_E0_NS1_11comp_targetILNS1_3genE9ELNS1_11target_archE1100ELNS1_3gpuE3ELNS1_3repE0EEENS1_30default_config_static_selectorELNS0_4arch9wavefront6targetE1EEEvSP_,@function
_ZN7rocprim17ROCPRIM_400000_NS6detail17trampoline_kernelINS0_14default_configENS1_21merge_config_selectorIjNS0_10empty_typeEEEZNS1_10merge_implIS3_N6thrust23THRUST_200600_302600_NS6detail15normal_iteratorINS9_10device_ptrIKjEEEESF_NSB_INSC_IjEEEEPS5_SI_SI_NS9_4lessIjEEEE10hipError_tPvRmT0_T1_T2_T3_T4_T5_mmT6_P12ihipStream_tbEUlT_E0_NS1_11comp_targetILNS1_3genE9ELNS1_11target_archE1100ELNS1_3gpuE3ELNS1_3repE0EEENS1_30default_config_static_selectorELNS0_4arch9wavefront6targetE1EEEvSP_: ; @_ZN7rocprim17ROCPRIM_400000_NS6detail17trampoline_kernelINS0_14default_configENS1_21merge_config_selectorIjNS0_10empty_typeEEEZNS1_10merge_implIS3_N6thrust23THRUST_200600_302600_NS6detail15normal_iteratorINS9_10device_ptrIKjEEEESF_NSB_INSC_IjEEEEPS5_SI_SI_NS9_4lessIjEEEE10hipError_tPvRmT0_T1_T2_T3_T4_T5_mmT6_P12ihipStream_tbEUlT_E0_NS1_11comp_targetILNS1_3genE9ELNS1_11target_archE1100ELNS1_3gpuE3ELNS1_3repE0EEENS1_30default_config_static_selectorELNS0_4arch9wavefront6targetE1EEEvSP_
; %bb.0:
	.section	.rodata,"a",@progbits
	.p2align	6, 0x0
	.amdhsa_kernel _ZN7rocprim17ROCPRIM_400000_NS6detail17trampoline_kernelINS0_14default_configENS1_21merge_config_selectorIjNS0_10empty_typeEEEZNS1_10merge_implIS3_N6thrust23THRUST_200600_302600_NS6detail15normal_iteratorINS9_10device_ptrIKjEEEESF_NSB_INSC_IjEEEEPS5_SI_SI_NS9_4lessIjEEEE10hipError_tPvRmT0_T1_T2_T3_T4_T5_mmT6_P12ihipStream_tbEUlT_E0_NS1_11comp_targetILNS1_3genE9ELNS1_11target_archE1100ELNS1_3gpuE3ELNS1_3repE0EEENS1_30default_config_static_selectorELNS0_4arch9wavefront6targetE1EEEvSP_
		.amdhsa_group_segment_fixed_size 0
		.amdhsa_private_segment_fixed_size 0
		.amdhsa_kernarg_size 88
		.amdhsa_user_sgpr_count 6
		.amdhsa_user_sgpr_private_segment_buffer 1
		.amdhsa_user_sgpr_dispatch_ptr 0
		.amdhsa_user_sgpr_queue_ptr 0
		.amdhsa_user_sgpr_kernarg_segment_ptr 1
		.amdhsa_user_sgpr_dispatch_id 0
		.amdhsa_user_sgpr_flat_scratch_init 0
		.amdhsa_user_sgpr_kernarg_preload_length 0
		.amdhsa_user_sgpr_kernarg_preload_offset 0
		.amdhsa_user_sgpr_private_segment_size 0
		.amdhsa_uses_dynamic_stack 0
		.amdhsa_system_sgpr_private_segment_wavefront_offset 0
		.amdhsa_system_sgpr_workgroup_id_x 1
		.amdhsa_system_sgpr_workgroup_id_y 0
		.amdhsa_system_sgpr_workgroup_id_z 0
		.amdhsa_system_sgpr_workgroup_info 0
		.amdhsa_system_vgpr_workitem_id 0
		.amdhsa_next_free_vgpr 1
		.amdhsa_next_free_sgpr 0
		.amdhsa_accum_offset 4
		.amdhsa_reserve_vcc 0
		.amdhsa_reserve_flat_scratch 0
		.amdhsa_float_round_mode_32 0
		.amdhsa_float_round_mode_16_64 0
		.amdhsa_float_denorm_mode_32 3
		.amdhsa_float_denorm_mode_16_64 3
		.amdhsa_dx10_clamp 1
		.amdhsa_ieee_mode 1
		.amdhsa_fp16_overflow 0
		.amdhsa_tg_split 0
		.amdhsa_exception_fp_ieee_invalid_op 0
		.amdhsa_exception_fp_denorm_src 0
		.amdhsa_exception_fp_ieee_div_zero 0
		.amdhsa_exception_fp_ieee_overflow 0
		.amdhsa_exception_fp_ieee_underflow 0
		.amdhsa_exception_fp_ieee_inexact 0
		.amdhsa_exception_int_div_zero 0
	.end_amdhsa_kernel
	.section	.text._ZN7rocprim17ROCPRIM_400000_NS6detail17trampoline_kernelINS0_14default_configENS1_21merge_config_selectorIjNS0_10empty_typeEEEZNS1_10merge_implIS3_N6thrust23THRUST_200600_302600_NS6detail15normal_iteratorINS9_10device_ptrIKjEEEESF_NSB_INSC_IjEEEEPS5_SI_SI_NS9_4lessIjEEEE10hipError_tPvRmT0_T1_T2_T3_T4_T5_mmT6_P12ihipStream_tbEUlT_E0_NS1_11comp_targetILNS1_3genE9ELNS1_11target_archE1100ELNS1_3gpuE3ELNS1_3repE0EEENS1_30default_config_static_selectorELNS0_4arch9wavefront6targetE1EEEvSP_,"axG",@progbits,_ZN7rocprim17ROCPRIM_400000_NS6detail17trampoline_kernelINS0_14default_configENS1_21merge_config_selectorIjNS0_10empty_typeEEEZNS1_10merge_implIS3_N6thrust23THRUST_200600_302600_NS6detail15normal_iteratorINS9_10device_ptrIKjEEEESF_NSB_INSC_IjEEEEPS5_SI_SI_NS9_4lessIjEEEE10hipError_tPvRmT0_T1_T2_T3_T4_T5_mmT6_P12ihipStream_tbEUlT_E0_NS1_11comp_targetILNS1_3genE9ELNS1_11target_archE1100ELNS1_3gpuE3ELNS1_3repE0EEENS1_30default_config_static_selectorELNS0_4arch9wavefront6targetE1EEEvSP_,comdat
.Lfunc_end149:
	.size	_ZN7rocprim17ROCPRIM_400000_NS6detail17trampoline_kernelINS0_14default_configENS1_21merge_config_selectorIjNS0_10empty_typeEEEZNS1_10merge_implIS3_N6thrust23THRUST_200600_302600_NS6detail15normal_iteratorINS9_10device_ptrIKjEEEESF_NSB_INSC_IjEEEEPS5_SI_SI_NS9_4lessIjEEEE10hipError_tPvRmT0_T1_T2_T3_T4_T5_mmT6_P12ihipStream_tbEUlT_E0_NS1_11comp_targetILNS1_3genE9ELNS1_11target_archE1100ELNS1_3gpuE3ELNS1_3repE0EEENS1_30default_config_static_selectorELNS0_4arch9wavefront6targetE1EEEvSP_, .Lfunc_end149-_ZN7rocprim17ROCPRIM_400000_NS6detail17trampoline_kernelINS0_14default_configENS1_21merge_config_selectorIjNS0_10empty_typeEEEZNS1_10merge_implIS3_N6thrust23THRUST_200600_302600_NS6detail15normal_iteratorINS9_10device_ptrIKjEEEESF_NSB_INSC_IjEEEEPS5_SI_SI_NS9_4lessIjEEEE10hipError_tPvRmT0_T1_T2_T3_T4_T5_mmT6_P12ihipStream_tbEUlT_E0_NS1_11comp_targetILNS1_3genE9ELNS1_11target_archE1100ELNS1_3gpuE3ELNS1_3repE0EEENS1_30default_config_static_selectorELNS0_4arch9wavefront6targetE1EEEvSP_
                                        ; -- End function
	.section	.AMDGPU.csdata,"",@progbits
; Kernel info:
; codeLenInByte = 0
; NumSgprs: 4
; NumVgprs: 0
; NumAgprs: 0
; TotalNumVgprs: 0
; ScratchSize: 0
; MemoryBound: 0
; FloatMode: 240
; IeeeMode: 1
; LDSByteSize: 0 bytes/workgroup (compile time only)
; SGPRBlocks: 0
; VGPRBlocks: 0
; NumSGPRsForWavesPerEU: 4
; NumVGPRsForWavesPerEU: 1
; AccumOffset: 4
; Occupancy: 8
; WaveLimiterHint : 0
; COMPUTE_PGM_RSRC2:SCRATCH_EN: 0
; COMPUTE_PGM_RSRC2:USER_SGPR: 6
; COMPUTE_PGM_RSRC2:TRAP_HANDLER: 0
; COMPUTE_PGM_RSRC2:TGID_X_EN: 1
; COMPUTE_PGM_RSRC2:TGID_Y_EN: 0
; COMPUTE_PGM_RSRC2:TGID_Z_EN: 0
; COMPUTE_PGM_RSRC2:TIDIG_COMP_CNT: 0
; COMPUTE_PGM_RSRC3_GFX90A:ACCUM_OFFSET: 0
; COMPUTE_PGM_RSRC3_GFX90A:TG_SPLIT: 0
	.section	.text._ZN7rocprim17ROCPRIM_400000_NS6detail17trampoline_kernelINS0_14default_configENS1_21merge_config_selectorIjNS0_10empty_typeEEEZNS1_10merge_implIS3_N6thrust23THRUST_200600_302600_NS6detail15normal_iteratorINS9_10device_ptrIKjEEEESF_NSB_INSC_IjEEEEPS5_SI_SI_NS9_4lessIjEEEE10hipError_tPvRmT0_T1_T2_T3_T4_T5_mmT6_P12ihipStream_tbEUlT_E0_NS1_11comp_targetILNS1_3genE8ELNS1_11target_archE1030ELNS1_3gpuE2ELNS1_3repE0EEENS1_30default_config_static_selectorELNS0_4arch9wavefront6targetE1EEEvSP_,"axG",@progbits,_ZN7rocprim17ROCPRIM_400000_NS6detail17trampoline_kernelINS0_14default_configENS1_21merge_config_selectorIjNS0_10empty_typeEEEZNS1_10merge_implIS3_N6thrust23THRUST_200600_302600_NS6detail15normal_iteratorINS9_10device_ptrIKjEEEESF_NSB_INSC_IjEEEEPS5_SI_SI_NS9_4lessIjEEEE10hipError_tPvRmT0_T1_T2_T3_T4_T5_mmT6_P12ihipStream_tbEUlT_E0_NS1_11comp_targetILNS1_3genE8ELNS1_11target_archE1030ELNS1_3gpuE2ELNS1_3repE0EEENS1_30default_config_static_selectorELNS0_4arch9wavefront6targetE1EEEvSP_,comdat
	.protected	_ZN7rocprim17ROCPRIM_400000_NS6detail17trampoline_kernelINS0_14default_configENS1_21merge_config_selectorIjNS0_10empty_typeEEEZNS1_10merge_implIS3_N6thrust23THRUST_200600_302600_NS6detail15normal_iteratorINS9_10device_ptrIKjEEEESF_NSB_INSC_IjEEEEPS5_SI_SI_NS9_4lessIjEEEE10hipError_tPvRmT0_T1_T2_T3_T4_T5_mmT6_P12ihipStream_tbEUlT_E0_NS1_11comp_targetILNS1_3genE8ELNS1_11target_archE1030ELNS1_3gpuE2ELNS1_3repE0EEENS1_30default_config_static_selectorELNS0_4arch9wavefront6targetE1EEEvSP_ ; -- Begin function _ZN7rocprim17ROCPRIM_400000_NS6detail17trampoline_kernelINS0_14default_configENS1_21merge_config_selectorIjNS0_10empty_typeEEEZNS1_10merge_implIS3_N6thrust23THRUST_200600_302600_NS6detail15normal_iteratorINS9_10device_ptrIKjEEEESF_NSB_INSC_IjEEEEPS5_SI_SI_NS9_4lessIjEEEE10hipError_tPvRmT0_T1_T2_T3_T4_T5_mmT6_P12ihipStream_tbEUlT_E0_NS1_11comp_targetILNS1_3genE8ELNS1_11target_archE1030ELNS1_3gpuE2ELNS1_3repE0EEENS1_30default_config_static_selectorELNS0_4arch9wavefront6targetE1EEEvSP_
	.globl	_ZN7rocprim17ROCPRIM_400000_NS6detail17trampoline_kernelINS0_14default_configENS1_21merge_config_selectorIjNS0_10empty_typeEEEZNS1_10merge_implIS3_N6thrust23THRUST_200600_302600_NS6detail15normal_iteratorINS9_10device_ptrIKjEEEESF_NSB_INSC_IjEEEEPS5_SI_SI_NS9_4lessIjEEEE10hipError_tPvRmT0_T1_T2_T3_T4_T5_mmT6_P12ihipStream_tbEUlT_E0_NS1_11comp_targetILNS1_3genE8ELNS1_11target_archE1030ELNS1_3gpuE2ELNS1_3repE0EEENS1_30default_config_static_selectorELNS0_4arch9wavefront6targetE1EEEvSP_
	.p2align	8
	.type	_ZN7rocprim17ROCPRIM_400000_NS6detail17trampoline_kernelINS0_14default_configENS1_21merge_config_selectorIjNS0_10empty_typeEEEZNS1_10merge_implIS3_N6thrust23THRUST_200600_302600_NS6detail15normal_iteratorINS9_10device_ptrIKjEEEESF_NSB_INSC_IjEEEEPS5_SI_SI_NS9_4lessIjEEEE10hipError_tPvRmT0_T1_T2_T3_T4_T5_mmT6_P12ihipStream_tbEUlT_E0_NS1_11comp_targetILNS1_3genE8ELNS1_11target_archE1030ELNS1_3gpuE2ELNS1_3repE0EEENS1_30default_config_static_selectorELNS0_4arch9wavefront6targetE1EEEvSP_,@function
_ZN7rocprim17ROCPRIM_400000_NS6detail17trampoline_kernelINS0_14default_configENS1_21merge_config_selectorIjNS0_10empty_typeEEEZNS1_10merge_implIS3_N6thrust23THRUST_200600_302600_NS6detail15normal_iteratorINS9_10device_ptrIKjEEEESF_NSB_INSC_IjEEEEPS5_SI_SI_NS9_4lessIjEEEE10hipError_tPvRmT0_T1_T2_T3_T4_T5_mmT6_P12ihipStream_tbEUlT_E0_NS1_11comp_targetILNS1_3genE8ELNS1_11target_archE1030ELNS1_3gpuE2ELNS1_3repE0EEENS1_30default_config_static_selectorELNS0_4arch9wavefront6targetE1EEEvSP_: ; @_ZN7rocprim17ROCPRIM_400000_NS6detail17trampoline_kernelINS0_14default_configENS1_21merge_config_selectorIjNS0_10empty_typeEEEZNS1_10merge_implIS3_N6thrust23THRUST_200600_302600_NS6detail15normal_iteratorINS9_10device_ptrIKjEEEESF_NSB_INSC_IjEEEEPS5_SI_SI_NS9_4lessIjEEEE10hipError_tPvRmT0_T1_T2_T3_T4_T5_mmT6_P12ihipStream_tbEUlT_E0_NS1_11comp_targetILNS1_3genE8ELNS1_11target_archE1030ELNS1_3gpuE2ELNS1_3repE0EEENS1_30default_config_static_selectorELNS0_4arch9wavefront6targetE1EEEvSP_
; %bb.0:
	.section	.rodata,"a",@progbits
	.p2align	6, 0x0
	.amdhsa_kernel _ZN7rocprim17ROCPRIM_400000_NS6detail17trampoline_kernelINS0_14default_configENS1_21merge_config_selectorIjNS0_10empty_typeEEEZNS1_10merge_implIS3_N6thrust23THRUST_200600_302600_NS6detail15normal_iteratorINS9_10device_ptrIKjEEEESF_NSB_INSC_IjEEEEPS5_SI_SI_NS9_4lessIjEEEE10hipError_tPvRmT0_T1_T2_T3_T4_T5_mmT6_P12ihipStream_tbEUlT_E0_NS1_11comp_targetILNS1_3genE8ELNS1_11target_archE1030ELNS1_3gpuE2ELNS1_3repE0EEENS1_30default_config_static_selectorELNS0_4arch9wavefront6targetE1EEEvSP_
		.amdhsa_group_segment_fixed_size 0
		.amdhsa_private_segment_fixed_size 0
		.amdhsa_kernarg_size 88
		.amdhsa_user_sgpr_count 6
		.amdhsa_user_sgpr_private_segment_buffer 1
		.amdhsa_user_sgpr_dispatch_ptr 0
		.amdhsa_user_sgpr_queue_ptr 0
		.amdhsa_user_sgpr_kernarg_segment_ptr 1
		.amdhsa_user_sgpr_dispatch_id 0
		.amdhsa_user_sgpr_flat_scratch_init 0
		.amdhsa_user_sgpr_kernarg_preload_length 0
		.amdhsa_user_sgpr_kernarg_preload_offset 0
		.amdhsa_user_sgpr_private_segment_size 0
		.amdhsa_uses_dynamic_stack 0
		.amdhsa_system_sgpr_private_segment_wavefront_offset 0
		.amdhsa_system_sgpr_workgroup_id_x 1
		.amdhsa_system_sgpr_workgroup_id_y 0
		.amdhsa_system_sgpr_workgroup_id_z 0
		.amdhsa_system_sgpr_workgroup_info 0
		.amdhsa_system_vgpr_workitem_id 0
		.amdhsa_next_free_vgpr 1
		.amdhsa_next_free_sgpr 0
		.amdhsa_accum_offset 4
		.amdhsa_reserve_vcc 0
		.amdhsa_reserve_flat_scratch 0
		.amdhsa_float_round_mode_32 0
		.amdhsa_float_round_mode_16_64 0
		.amdhsa_float_denorm_mode_32 3
		.amdhsa_float_denorm_mode_16_64 3
		.amdhsa_dx10_clamp 1
		.amdhsa_ieee_mode 1
		.amdhsa_fp16_overflow 0
		.amdhsa_tg_split 0
		.amdhsa_exception_fp_ieee_invalid_op 0
		.amdhsa_exception_fp_denorm_src 0
		.amdhsa_exception_fp_ieee_div_zero 0
		.amdhsa_exception_fp_ieee_overflow 0
		.amdhsa_exception_fp_ieee_underflow 0
		.amdhsa_exception_fp_ieee_inexact 0
		.amdhsa_exception_int_div_zero 0
	.end_amdhsa_kernel
	.section	.text._ZN7rocprim17ROCPRIM_400000_NS6detail17trampoline_kernelINS0_14default_configENS1_21merge_config_selectorIjNS0_10empty_typeEEEZNS1_10merge_implIS3_N6thrust23THRUST_200600_302600_NS6detail15normal_iteratorINS9_10device_ptrIKjEEEESF_NSB_INSC_IjEEEEPS5_SI_SI_NS9_4lessIjEEEE10hipError_tPvRmT0_T1_T2_T3_T4_T5_mmT6_P12ihipStream_tbEUlT_E0_NS1_11comp_targetILNS1_3genE8ELNS1_11target_archE1030ELNS1_3gpuE2ELNS1_3repE0EEENS1_30default_config_static_selectorELNS0_4arch9wavefront6targetE1EEEvSP_,"axG",@progbits,_ZN7rocprim17ROCPRIM_400000_NS6detail17trampoline_kernelINS0_14default_configENS1_21merge_config_selectorIjNS0_10empty_typeEEEZNS1_10merge_implIS3_N6thrust23THRUST_200600_302600_NS6detail15normal_iteratorINS9_10device_ptrIKjEEEESF_NSB_INSC_IjEEEEPS5_SI_SI_NS9_4lessIjEEEE10hipError_tPvRmT0_T1_T2_T3_T4_T5_mmT6_P12ihipStream_tbEUlT_E0_NS1_11comp_targetILNS1_3genE8ELNS1_11target_archE1030ELNS1_3gpuE2ELNS1_3repE0EEENS1_30default_config_static_selectorELNS0_4arch9wavefront6targetE1EEEvSP_,comdat
.Lfunc_end150:
	.size	_ZN7rocprim17ROCPRIM_400000_NS6detail17trampoline_kernelINS0_14default_configENS1_21merge_config_selectorIjNS0_10empty_typeEEEZNS1_10merge_implIS3_N6thrust23THRUST_200600_302600_NS6detail15normal_iteratorINS9_10device_ptrIKjEEEESF_NSB_INSC_IjEEEEPS5_SI_SI_NS9_4lessIjEEEE10hipError_tPvRmT0_T1_T2_T3_T4_T5_mmT6_P12ihipStream_tbEUlT_E0_NS1_11comp_targetILNS1_3genE8ELNS1_11target_archE1030ELNS1_3gpuE2ELNS1_3repE0EEENS1_30default_config_static_selectorELNS0_4arch9wavefront6targetE1EEEvSP_, .Lfunc_end150-_ZN7rocprim17ROCPRIM_400000_NS6detail17trampoline_kernelINS0_14default_configENS1_21merge_config_selectorIjNS0_10empty_typeEEEZNS1_10merge_implIS3_N6thrust23THRUST_200600_302600_NS6detail15normal_iteratorINS9_10device_ptrIKjEEEESF_NSB_INSC_IjEEEEPS5_SI_SI_NS9_4lessIjEEEE10hipError_tPvRmT0_T1_T2_T3_T4_T5_mmT6_P12ihipStream_tbEUlT_E0_NS1_11comp_targetILNS1_3genE8ELNS1_11target_archE1030ELNS1_3gpuE2ELNS1_3repE0EEENS1_30default_config_static_selectorELNS0_4arch9wavefront6targetE1EEEvSP_
                                        ; -- End function
	.section	.AMDGPU.csdata,"",@progbits
; Kernel info:
; codeLenInByte = 0
; NumSgprs: 4
; NumVgprs: 0
; NumAgprs: 0
; TotalNumVgprs: 0
; ScratchSize: 0
; MemoryBound: 0
; FloatMode: 240
; IeeeMode: 1
; LDSByteSize: 0 bytes/workgroup (compile time only)
; SGPRBlocks: 0
; VGPRBlocks: 0
; NumSGPRsForWavesPerEU: 4
; NumVGPRsForWavesPerEU: 1
; AccumOffset: 4
; Occupancy: 8
; WaveLimiterHint : 0
; COMPUTE_PGM_RSRC2:SCRATCH_EN: 0
; COMPUTE_PGM_RSRC2:USER_SGPR: 6
; COMPUTE_PGM_RSRC2:TRAP_HANDLER: 0
; COMPUTE_PGM_RSRC2:TGID_X_EN: 1
; COMPUTE_PGM_RSRC2:TGID_Y_EN: 0
; COMPUTE_PGM_RSRC2:TGID_Z_EN: 0
; COMPUTE_PGM_RSRC2:TIDIG_COMP_CNT: 0
; COMPUTE_PGM_RSRC3_GFX90A:ACCUM_OFFSET: 0
; COMPUTE_PGM_RSRC3_GFX90A:TG_SPLIT: 0
	.section	.text._ZN7rocprim17ROCPRIM_400000_NS6detail17trampoline_kernelINS0_14default_configENS1_22reduce_config_selectorIN6thrust23THRUST_200600_302600_NS5tupleIblNS6_9null_typeES8_S8_S8_S8_S8_S8_S8_EEEEZNS1_11reduce_implILb1ES3_NS6_12zip_iteratorINS7_INS6_11hip_rocprim26transform_input_iterator_tIbNSD_35transform_pair_of_input_iterators_tIbNS6_6detail15normal_iteratorINS6_10device_ptrIKjEEEESL_NS6_8equal_toIjEEEENSG_9not_fun_tINSD_8identityEEEEENSD_19counting_iterator_tIlEES8_S8_S8_S8_S8_S8_S8_S8_EEEEPS9_S9_NSD_9__find_if7functorIS9_EEEE10hipError_tPvRmT1_T2_T3_mT4_P12ihipStream_tbEUlT_E0_NS1_11comp_targetILNS1_3genE0ELNS1_11target_archE4294967295ELNS1_3gpuE0ELNS1_3repE0EEENS1_30default_config_static_selectorELNS0_4arch9wavefront6targetE1EEEvS14_,"axG",@progbits,_ZN7rocprim17ROCPRIM_400000_NS6detail17trampoline_kernelINS0_14default_configENS1_22reduce_config_selectorIN6thrust23THRUST_200600_302600_NS5tupleIblNS6_9null_typeES8_S8_S8_S8_S8_S8_S8_EEEEZNS1_11reduce_implILb1ES3_NS6_12zip_iteratorINS7_INS6_11hip_rocprim26transform_input_iterator_tIbNSD_35transform_pair_of_input_iterators_tIbNS6_6detail15normal_iteratorINS6_10device_ptrIKjEEEESL_NS6_8equal_toIjEEEENSG_9not_fun_tINSD_8identityEEEEENSD_19counting_iterator_tIlEES8_S8_S8_S8_S8_S8_S8_S8_EEEEPS9_S9_NSD_9__find_if7functorIS9_EEEE10hipError_tPvRmT1_T2_T3_mT4_P12ihipStream_tbEUlT_E0_NS1_11comp_targetILNS1_3genE0ELNS1_11target_archE4294967295ELNS1_3gpuE0ELNS1_3repE0EEENS1_30default_config_static_selectorELNS0_4arch9wavefront6targetE1EEEvS14_,comdat
	.protected	_ZN7rocprim17ROCPRIM_400000_NS6detail17trampoline_kernelINS0_14default_configENS1_22reduce_config_selectorIN6thrust23THRUST_200600_302600_NS5tupleIblNS6_9null_typeES8_S8_S8_S8_S8_S8_S8_EEEEZNS1_11reduce_implILb1ES3_NS6_12zip_iteratorINS7_INS6_11hip_rocprim26transform_input_iterator_tIbNSD_35transform_pair_of_input_iterators_tIbNS6_6detail15normal_iteratorINS6_10device_ptrIKjEEEESL_NS6_8equal_toIjEEEENSG_9not_fun_tINSD_8identityEEEEENSD_19counting_iterator_tIlEES8_S8_S8_S8_S8_S8_S8_S8_EEEEPS9_S9_NSD_9__find_if7functorIS9_EEEE10hipError_tPvRmT1_T2_T3_mT4_P12ihipStream_tbEUlT_E0_NS1_11comp_targetILNS1_3genE0ELNS1_11target_archE4294967295ELNS1_3gpuE0ELNS1_3repE0EEENS1_30default_config_static_selectorELNS0_4arch9wavefront6targetE1EEEvS14_ ; -- Begin function _ZN7rocprim17ROCPRIM_400000_NS6detail17trampoline_kernelINS0_14default_configENS1_22reduce_config_selectorIN6thrust23THRUST_200600_302600_NS5tupleIblNS6_9null_typeES8_S8_S8_S8_S8_S8_S8_EEEEZNS1_11reduce_implILb1ES3_NS6_12zip_iteratorINS7_INS6_11hip_rocprim26transform_input_iterator_tIbNSD_35transform_pair_of_input_iterators_tIbNS6_6detail15normal_iteratorINS6_10device_ptrIKjEEEESL_NS6_8equal_toIjEEEENSG_9not_fun_tINSD_8identityEEEEENSD_19counting_iterator_tIlEES8_S8_S8_S8_S8_S8_S8_S8_EEEEPS9_S9_NSD_9__find_if7functorIS9_EEEE10hipError_tPvRmT1_T2_T3_mT4_P12ihipStream_tbEUlT_E0_NS1_11comp_targetILNS1_3genE0ELNS1_11target_archE4294967295ELNS1_3gpuE0ELNS1_3repE0EEENS1_30default_config_static_selectorELNS0_4arch9wavefront6targetE1EEEvS14_
	.globl	_ZN7rocprim17ROCPRIM_400000_NS6detail17trampoline_kernelINS0_14default_configENS1_22reduce_config_selectorIN6thrust23THRUST_200600_302600_NS5tupleIblNS6_9null_typeES8_S8_S8_S8_S8_S8_S8_EEEEZNS1_11reduce_implILb1ES3_NS6_12zip_iteratorINS7_INS6_11hip_rocprim26transform_input_iterator_tIbNSD_35transform_pair_of_input_iterators_tIbNS6_6detail15normal_iteratorINS6_10device_ptrIKjEEEESL_NS6_8equal_toIjEEEENSG_9not_fun_tINSD_8identityEEEEENSD_19counting_iterator_tIlEES8_S8_S8_S8_S8_S8_S8_S8_EEEEPS9_S9_NSD_9__find_if7functorIS9_EEEE10hipError_tPvRmT1_T2_T3_mT4_P12ihipStream_tbEUlT_E0_NS1_11comp_targetILNS1_3genE0ELNS1_11target_archE4294967295ELNS1_3gpuE0ELNS1_3repE0EEENS1_30default_config_static_selectorELNS0_4arch9wavefront6targetE1EEEvS14_
	.p2align	8
	.type	_ZN7rocprim17ROCPRIM_400000_NS6detail17trampoline_kernelINS0_14default_configENS1_22reduce_config_selectorIN6thrust23THRUST_200600_302600_NS5tupleIblNS6_9null_typeES8_S8_S8_S8_S8_S8_S8_EEEEZNS1_11reduce_implILb1ES3_NS6_12zip_iteratorINS7_INS6_11hip_rocprim26transform_input_iterator_tIbNSD_35transform_pair_of_input_iterators_tIbNS6_6detail15normal_iteratorINS6_10device_ptrIKjEEEESL_NS6_8equal_toIjEEEENSG_9not_fun_tINSD_8identityEEEEENSD_19counting_iterator_tIlEES8_S8_S8_S8_S8_S8_S8_S8_EEEEPS9_S9_NSD_9__find_if7functorIS9_EEEE10hipError_tPvRmT1_T2_T3_mT4_P12ihipStream_tbEUlT_E0_NS1_11comp_targetILNS1_3genE0ELNS1_11target_archE4294967295ELNS1_3gpuE0ELNS1_3repE0EEENS1_30default_config_static_selectorELNS0_4arch9wavefront6targetE1EEEvS14_,@function
_ZN7rocprim17ROCPRIM_400000_NS6detail17trampoline_kernelINS0_14default_configENS1_22reduce_config_selectorIN6thrust23THRUST_200600_302600_NS5tupleIblNS6_9null_typeES8_S8_S8_S8_S8_S8_S8_EEEEZNS1_11reduce_implILb1ES3_NS6_12zip_iteratorINS7_INS6_11hip_rocprim26transform_input_iterator_tIbNSD_35transform_pair_of_input_iterators_tIbNS6_6detail15normal_iteratorINS6_10device_ptrIKjEEEESL_NS6_8equal_toIjEEEENSG_9not_fun_tINSD_8identityEEEEENSD_19counting_iterator_tIlEES8_S8_S8_S8_S8_S8_S8_S8_EEEEPS9_S9_NSD_9__find_if7functorIS9_EEEE10hipError_tPvRmT1_T2_T3_mT4_P12ihipStream_tbEUlT_E0_NS1_11comp_targetILNS1_3genE0ELNS1_11target_archE4294967295ELNS1_3gpuE0ELNS1_3repE0EEENS1_30default_config_static_selectorELNS0_4arch9wavefront6targetE1EEEvS14_: ; @_ZN7rocprim17ROCPRIM_400000_NS6detail17trampoline_kernelINS0_14default_configENS1_22reduce_config_selectorIN6thrust23THRUST_200600_302600_NS5tupleIblNS6_9null_typeES8_S8_S8_S8_S8_S8_S8_EEEEZNS1_11reduce_implILb1ES3_NS6_12zip_iteratorINS7_INS6_11hip_rocprim26transform_input_iterator_tIbNSD_35transform_pair_of_input_iterators_tIbNS6_6detail15normal_iteratorINS6_10device_ptrIKjEEEESL_NS6_8equal_toIjEEEENSG_9not_fun_tINSD_8identityEEEEENSD_19counting_iterator_tIlEES8_S8_S8_S8_S8_S8_S8_S8_EEEEPS9_S9_NSD_9__find_if7functorIS9_EEEE10hipError_tPvRmT1_T2_T3_mT4_P12ihipStream_tbEUlT_E0_NS1_11comp_targetILNS1_3genE0ELNS1_11target_archE4294967295ELNS1_3gpuE0ELNS1_3repE0EEENS1_30default_config_static_selectorELNS0_4arch9wavefront6targetE1EEEvS14_
; %bb.0:
	.section	.rodata,"a",@progbits
	.p2align	6, 0x0
	.amdhsa_kernel _ZN7rocprim17ROCPRIM_400000_NS6detail17trampoline_kernelINS0_14default_configENS1_22reduce_config_selectorIN6thrust23THRUST_200600_302600_NS5tupleIblNS6_9null_typeES8_S8_S8_S8_S8_S8_S8_EEEEZNS1_11reduce_implILb1ES3_NS6_12zip_iteratorINS7_INS6_11hip_rocprim26transform_input_iterator_tIbNSD_35transform_pair_of_input_iterators_tIbNS6_6detail15normal_iteratorINS6_10device_ptrIKjEEEESL_NS6_8equal_toIjEEEENSG_9not_fun_tINSD_8identityEEEEENSD_19counting_iterator_tIlEES8_S8_S8_S8_S8_S8_S8_S8_EEEEPS9_S9_NSD_9__find_if7functorIS9_EEEE10hipError_tPvRmT1_T2_T3_mT4_P12ihipStream_tbEUlT_E0_NS1_11comp_targetILNS1_3genE0ELNS1_11target_archE4294967295ELNS1_3gpuE0ELNS1_3repE0EEENS1_30default_config_static_selectorELNS0_4arch9wavefront6targetE1EEEvS14_
		.amdhsa_group_segment_fixed_size 0
		.amdhsa_private_segment_fixed_size 0
		.amdhsa_kernarg_size 104
		.amdhsa_user_sgpr_count 6
		.amdhsa_user_sgpr_private_segment_buffer 1
		.amdhsa_user_sgpr_dispatch_ptr 0
		.amdhsa_user_sgpr_queue_ptr 0
		.amdhsa_user_sgpr_kernarg_segment_ptr 1
		.amdhsa_user_sgpr_dispatch_id 0
		.amdhsa_user_sgpr_flat_scratch_init 0
		.amdhsa_user_sgpr_kernarg_preload_length 0
		.amdhsa_user_sgpr_kernarg_preload_offset 0
		.amdhsa_user_sgpr_private_segment_size 0
		.amdhsa_uses_dynamic_stack 0
		.amdhsa_system_sgpr_private_segment_wavefront_offset 0
		.amdhsa_system_sgpr_workgroup_id_x 1
		.amdhsa_system_sgpr_workgroup_id_y 0
		.amdhsa_system_sgpr_workgroup_id_z 0
		.amdhsa_system_sgpr_workgroup_info 0
		.amdhsa_system_vgpr_workitem_id 0
		.amdhsa_next_free_vgpr 1
		.amdhsa_next_free_sgpr 0
		.amdhsa_accum_offset 4
		.amdhsa_reserve_vcc 0
		.amdhsa_reserve_flat_scratch 0
		.amdhsa_float_round_mode_32 0
		.amdhsa_float_round_mode_16_64 0
		.amdhsa_float_denorm_mode_32 3
		.amdhsa_float_denorm_mode_16_64 3
		.amdhsa_dx10_clamp 1
		.amdhsa_ieee_mode 1
		.amdhsa_fp16_overflow 0
		.amdhsa_tg_split 0
		.amdhsa_exception_fp_ieee_invalid_op 0
		.amdhsa_exception_fp_denorm_src 0
		.amdhsa_exception_fp_ieee_div_zero 0
		.amdhsa_exception_fp_ieee_overflow 0
		.amdhsa_exception_fp_ieee_underflow 0
		.amdhsa_exception_fp_ieee_inexact 0
		.amdhsa_exception_int_div_zero 0
	.end_amdhsa_kernel
	.section	.text._ZN7rocprim17ROCPRIM_400000_NS6detail17trampoline_kernelINS0_14default_configENS1_22reduce_config_selectorIN6thrust23THRUST_200600_302600_NS5tupleIblNS6_9null_typeES8_S8_S8_S8_S8_S8_S8_EEEEZNS1_11reduce_implILb1ES3_NS6_12zip_iteratorINS7_INS6_11hip_rocprim26transform_input_iterator_tIbNSD_35transform_pair_of_input_iterators_tIbNS6_6detail15normal_iteratorINS6_10device_ptrIKjEEEESL_NS6_8equal_toIjEEEENSG_9not_fun_tINSD_8identityEEEEENSD_19counting_iterator_tIlEES8_S8_S8_S8_S8_S8_S8_S8_EEEEPS9_S9_NSD_9__find_if7functorIS9_EEEE10hipError_tPvRmT1_T2_T3_mT4_P12ihipStream_tbEUlT_E0_NS1_11comp_targetILNS1_3genE0ELNS1_11target_archE4294967295ELNS1_3gpuE0ELNS1_3repE0EEENS1_30default_config_static_selectorELNS0_4arch9wavefront6targetE1EEEvS14_,"axG",@progbits,_ZN7rocprim17ROCPRIM_400000_NS6detail17trampoline_kernelINS0_14default_configENS1_22reduce_config_selectorIN6thrust23THRUST_200600_302600_NS5tupleIblNS6_9null_typeES8_S8_S8_S8_S8_S8_S8_EEEEZNS1_11reduce_implILb1ES3_NS6_12zip_iteratorINS7_INS6_11hip_rocprim26transform_input_iterator_tIbNSD_35transform_pair_of_input_iterators_tIbNS6_6detail15normal_iteratorINS6_10device_ptrIKjEEEESL_NS6_8equal_toIjEEEENSG_9not_fun_tINSD_8identityEEEEENSD_19counting_iterator_tIlEES8_S8_S8_S8_S8_S8_S8_S8_EEEEPS9_S9_NSD_9__find_if7functorIS9_EEEE10hipError_tPvRmT1_T2_T3_mT4_P12ihipStream_tbEUlT_E0_NS1_11comp_targetILNS1_3genE0ELNS1_11target_archE4294967295ELNS1_3gpuE0ELNS1_3repE0EEENS1_30default_config_static_selectorELNS0_4arch9wavefront6targetE1EEEvS14_,comdat
.Lfunc_end151:
	.size	_ZN7rocprim17ROCPRIM_400000_NS6detail17trampoline_kernelINS0_14default_configENS1_22reduce_config_selectorIN6thrust23THRUST_200600_302600_NS5tupleIblNS6_9null_typeES8_S8_S8_S8_S8_S8_S8_EEEEZNS1_11reduce_implILb1ES3_NS6_12zip_iteratorINS7_INS6_11hip_rocprim26transform_input_iterator_tIbNSD_35transform_pair_of_input_iterators_tIbNS6_6detail15normal_iteratorINS6_10device_ptrIKjEEEESL_NS6_8equal_toIjEEEENSG_9not_fun_tINSD_8identityEEEEENSD_19counting_iterator_tIlEES8_S8_S8_S8_S8_S8_S8_S8_EEEEPS9_S9_NSD_9__find_if7functorIS9_EEEE10hipError_tPvRmT1_T2_T3_mT4_P12ihipStream_tbEUlT_E0_NS1_11comp_targetILNS1_3genE0ELNS1_11target_archE4294967295ELNS1_3gpuE0ELNS1_3repE0EEENS1_30default_config_static_selectorELNS0_4arch9wavefront6targetE1EEEvS14_, .Lfunc_end151-_ZN7rocprim17ROCPRIM_400000_NS6detail17trampoline_kernelINS0_14default_configENS1_22reduce_config_selectorIN6thrust23THRUST_200600_302600_NS5tupleIblNS6_9null_typeES8_S8_S8_S8_S8_S8_S8_EEEEZNS1_11reduce_implILb1ES3_NS6_12zip_iteratorINS7_INS6_11hip_rocprim26transform_input_iterator_tIbNSD_35transform_pair_of_input_iterators_tIbNS6_6detail15normal_iteratorINS6_10device_ptrIKjEEEESL_NS6_8equal_toIjEEEENSG_9not_fun_tINSD_8identityEEEEENSD_19counting_iterator_tIlEES8_S8_S8_S8_S8_S8_S8_S8_EEEEPS9_S9_NSD_9__find_if7functorIS9_EEEE10hipError_tPvRmT1_T2_T3_mT4_P12ihipStream_tbEUlT_E0_NS1_11comp_targetILNS1_3genE0ELNS1_11target_archE4294967295ELNS1_3gpuE0ELNS1_3repE0EEENS1_30default_config_static_selectorELNS0_4arch9wavefront6targetE1EEEvS14_
                                        ; -- End function
	.section	.AMDGPU.csdata,"",@progbits
; Kernel info:
; codeLenInByte = 0
; NumSgprs: 4
; NumVgprs: 0
; NumAgprs: 0
; TotalNumVgprs: 0
; ScratchSize: 0
; MemoryBound: 0
; FloatMode: 240
; IeeeMode: 1
; LDSByteSize: 0 bytes/workgroup (compile time only)
; SGPRBlocks: 0
; VGPRBlocks: 0
; NumSGPRsForWavesPerEU: 4
; NumVGPRsForWavesPerEU: 1
; AccumOffset: 4
; Occupancy: 8
; WaveLimiterHint : 0
; COMPUTE_PGM_RSRC2:SCRATCH_EN: 0
; COMPUTE_PGM_RSRC2:USER_SGPR: 6
; COMPUTE_PGM_RSRC2:TRAP_HANDLER: 0
; COMPUTE_PGM_RSRC2:TGID_X_EN: 1
; COMPUTE_PGM_RSRC2:TGID_Y_EN: 0
; COMPUTE_PGM_RSRC2:TGID_Z_EN: 0
; COMPUTE_PGM_RSRC2:TIDIG_COMP_CNT: 0
; COMPUTE_PGM_RSRC3_GFX90A:ACCUM_OFFSET: 0
; COMPUTE_PGM_RSRC3_GFX90A:TG_SPLIT: 0
	.section	.text._ZN7rocprim17ROCPRIM_400000_NS6detail17trampoline_kernelINS0_14default_configENS1_22reduce_config_selectorIN6thrust23THRUST_200600_302600_NS5tupleIblNS6_9null_typeES8_S8_S8_S8_S8_S8_S8_EEEEZNS1_11reduce_implILb1ES3_NS6_12zip_iteratorINS7_INS6_11hip_rocprim26transform_input_iterator_tIbNSD_35transform_pair_of_input_iterators_tIbNS6_6detail15normal_iteratorINS6_10device_ptrIKjEEEESL_NS6_8equal_toIjEEEENSG_9not_fun_tINSD_8identityEEEEENSD_19counting_iterator_tIlEES8_S8_S8_S8_S8_S8_S8_S8_EEEEPS9_S9_NSD_9__find_if7functorIS9_EEEE10hipError_tPvRmT1_T2_T3_mT4_P12ihipStream_tbEUlT_E0_NS1_11comp_targetILNS1_3genE5ELNS1_11target_archE942ELNS1_3gpuE9ELNS1_3repE0EEENS1_30default_config_static_selectorELNS0_4arch9wavefront6targetE1EEEvS14_,"axG",@progbits,_ZN7rocprim17ROCPRIM_400000_NS6detail17trampoline_kernelINS0_14default_configENS1_22reduce_config_selectorIN6thrust23THRUST_200600_302600_NS5tupleIblNS6_9null_typeES8_S8_S8_S8_S8_S8_S8_EEEEZNS1_11reduce_implILb1ES3_NS6_12zip_iteratorINS7_INS6_11hip_rocprim26transform_input_iterator_tIbNSD_35transform_pair_of_input_iterators_tIbNS6_6detail15normal_iteratorINS6_10device_ptrIKjEEEESL_NS6_8equal_toIjEEEENSG_9not_fun_tINSD_8identityEEEEENSD_19counting_iterator_tIlEES8_S8_S8_S8_S8_S8_S8_S8_EEEEPS9_S9_NSD_9__find_if7functorIS9_EEEE10hipError_tPvRmT1_T2_T3_mT4_P12ihipStream_tbEUlT_E0_NS1_11comp_targetILNS1_3genE5ELNS1_11target_archE942ELNS1_3gpuE9ELNS1_3repE0EEENS1_30default_config_static_selectorELNS0_4arch9wavefront6targetE1EEEvS14_,comdat
	.protected	_ZN7rocprim17ROCPRIM_400000_NS6detail17trampoline_kernelINS0_14default_configENS1_22reduce_config_selectorIN6thrust23THRUST_200600_302600_NS5tupleIblNS6_9null_typeES8_S8_S8_S8_S8_S8_S8_EEEEZNS1_11reduce_implILb1ES3_NS6_12zip_iteratorINS7_INS6_11hip_rocprim26transform_input_iterator_tIbNSD_35transform_pair_of_input_iterators_tIbNS6_6detail15normal_iteratorINS6_10device_ptrIKjEEEESL_NS6_8equal_toIjEEEENSG_9not_fun_tINSD_8identityEEEEENSD_19counting_iterator_tIlEES8_S8_S8_S8_S8_S8_S8_S8_EEEEPS9_S9_NSD_9__find_if7functorIS9_EEEE10hipError_tPvRmT1_T2_T3_mT4_P12ihipStream_tbEUlT_E0_NS1_11comp_targetILNS1_3genE5ELNS1_11target_archE942ELNS1_3gpuE9ELNS1_3repE0EEENS1_30default_config_static_selectorELNS0_4arch9wavefront6targetE1EEEvS14_ ; -- Begin function _ZN7rocprim17ROCPRIM_400000_NS6detail17trampoline_kernelINS0_14default_configENS1_22reduce_config_selectorIN6thrust23THRUST_200600_302600_NS5tupleIblNS6_9null_typeES8_S8_S8_S8_S8_S8_S8_EEEEZNS1_11reduce_implILb1ES3_NS6_12zip_iteratorINS7_INS6_11hip_rocprim26transform_input_iterator_tIbNSD_35transform_pair_of_input_iterators_tIbNS6_6detail15normal_iteratorINS6_10device_ptrIKjEEEESL_NS6_8equal_toIjEEEENSG_9not_fun_tINSD_8identityEEEEENSD_19counting_iterator_tIlEES8_S8_S8_S8_S8_S8_S8_S8_EEEEPS9_S9_NSD_9__find_if7functorIS9_EEEE10hipError_tPvRmT1_T2_T3_mT4_P12ihipStream_tbEUlT_E0_NS1_11comp_targetILNS1_3genE5ELNS1_11target_archE942ELNS1_3gpuE9ELNS1_3repE0EEENS1_30default_config_static_selectorELNS0_4arch9wavefront6targetE1EEEvS14_
	.globl	_ZN7rocprim17ROCPRIM_400000_NS6detail17trampoline_kernelINS0_14default_configENS1_22reduce_config_selectorIN6thrust23THRUST_200600_302600_NS5tupleIblNS6_9null_typeES8_S8_S8_S8_S8_S8_S8_EEEEZNS1_11reduce_implILb1ES3_NS6_12zip_iteratorINS7_INS6_11hip_rocprim26transform_input_iterator_tIbNSD_35transform_pair_of_input_iterators_tIbNS6_6detail15normal_iteratorINS6_10device_ptrIKjEEEESL_NS6_8equal_toIjEEEENSG_9not_fun_tINSD_8identityEEEEENSD_19counting_iterator_tIlEES8_S8_S8_S8_S8_S8_S8_S8_EEEEPS9_S9_NSD_9__find_if7functorIS9_EEEE10hipError_tPvRmT1_T2_T3_mT4_P12ihipStream_tbEUlT_E0_NS1_11comp_targetILNS1_3genE5ELNS1_11target_archE942ELNS1_3gpuE9ELNS1_3repE0EEENS1_30default_config_static_selectorELNS0_4arch9wavefront6targetE1EEEvS14_
	.p2align	8
	.type	_ZN7rocprim17ROCPRIM_400000_NS6detail17trampoline_kernelINS0_14default_configENS1_22reduce_config_selectorIN6thrust23THRUST_200600_302600_NS5tupleIblNS6_9null_typeES8_S8_S8_S8_S8_S8_S8_EEEEZNS1_11reduce_implILb1ES3_NS6_12zip_iteratorINS7_INS6_11hip_rocprim26transform_input_iterator_tIbNSD_35transform_pair_of_input_iterators_tIbNS6_6detail15normal_iteratorINS6_10device_ptrIKjEEEESL_NS6_8equal_toIjEEEENSG_9not_fun_tINSD_8identityEEEEENSD_19counting_iterator_tIlEES8_S8_S8_S8_S8_S8_S8_S8_EEEEPS9_S9_NSD_9__find_if7functorIS9_EEEE10hipError_tPvRmT1_T2_T3_mT4_P12ihipStream_tbEUlT_E0_NS1_11comp_targetILNS1_3genE5ELNS1_11target_archE942ELNS1_3gpuE9ELNS1_3repE0EEENS1_30default_config_static_selectorELNS0_4arch9wavefront6targetE1EEEvS14_,@function
_ZN7rocprim17ROCPRIM_400000_NS6detail17trampoline_kernelINS0_14default_configENS1_22reduce_config_selectorIN6thrust23THRUST_200600_302600_NS5tupleIblNS6_9null_typeES8_S8_S8_S8_S8_S8_S8_EEEEZNS1_11reduce_implILb1ES3_NS6_12zip_iteratorINS7_INS6_11hip_rocprim26transform_input_iterator_tIbNSD_35transform_pair_of_input_iterators_tIbNS6_6detail15normal_iteratorINS6_10device_ptrIKjEEEESL_NS6_8equal_toIjEEEENSG_9not_fun_tINSD_8identityEEEEENSD_19counting_iterator_tIlEES8_S8_S8_S8_S8_S8_S8_S8_EEEEPS9_S9_NSD_9__find_if7functorIS9_EEEE10hipError_tPvRmT1_T2_T3_mT4_P12ihipStream_tbEUlT_E0_NS1_11comp_targetILNS1_3genE5ELNS1_11target_archE942ELNS1_3gpuE9ELNS1_3repE0EEENS1_30default_config_static_selectorELNS0_4arch9wavefront6targetE1EEEvS14_: ; @_ZN7rocprim17ROCPRIM_400000_NS6detail17trampoline_kernelINS0_14default_configENS1_22reduce_config_selectorIN6thrust23THRUST_200600_302600_NS5tupleIblNS6_9null_typeES8_S8_S8_S8_S8_S8_S8_EEEEZNS1_11reduce_implILb1ES3_NS6_12zip_iteratorINS7_INS6_11hip_rocprim26transform_input_iterator_tIbNSD_35transform_pair_of_input_iterators_tIbNS6_6detail15normal_iteratorINS6_10device_ptrIKjEEEESL_NS6_8equal_toIjEEEENSG_9not_fun_tINSD_8identityEEEEENSD_19counting_iterator_tIlEES8_S8_S8_S8_S8_S8_S8_S8_EEEEPS9_S9_NSD_9__find_if7functorIS9_EEEE10hipError_tPvRmT1_T2_T3_mT4_P12ihipStream_tbEUlT_E0_NS1_11comp_targetILNS1_3genE5ELNS1_11target_archE942ELNS1_3gpuE9ELNS1_3repE0EEENS1_30default_config_static_selectorELNS0_4arch9wavefront6targetE1EEEvS14_
; %bb.0:
	.section	.rodata,"a",@progbits
	.p2align	6, 0x0
	.amdhsa_kernel _ZN7rocprim17ROCPRIM_400000_NS6detail17trampoline_kernelINS0_14default_configENS1_22reduce_config_selectorIN6thrust23THRUST_200600_302600_NS5tupleIblNS6_9null_typeES8_S8_S8_S8_S8_S8_S8_EEEEZNS1_11reduce_implILb1ES3_NS6_12zip_iteratorINS7_INS6_11hip_rocprim26transform_input_iterator_tIbNSD_35transform_pair_of_input_iterators_tIbNS6_6detail15normal_iteratorINS6_10device_ptrIKjEEEESL_NS6_8equal_toIjEEEENSG_9not_fun_tINSD_8identityEEEEENSD_19counting_iterator_tIlEES8_S8_S8_S8_S8_S8_S8_S8_EEEEPS9_S9_NSD_9__find_if7functorIS9_EEEE10hipError_tPvRmT1_T2_T3_mT4_P12ihipStream_tbEUlT_E0_NS1_11comp_targetILNS1_3genE5ELNS1_11target_archE942ELNS1_3gpuE9ELNS1_3repE0EEENS1_30default_config_static_selectorELNS0_4arch9wavefront6targetE1EEEvS14_
		.amdhsa_group_segment_fixed_size 0
		.amdhsa_private_segment_fixed_size 0
		.amdhsa_kernarg_size 104
		.amdhsa_user_sgpr_count 6
		.amdhsa_user_sgpr_private_segment_buffer 1
		.amdhsa_user_sgpr_dispatch_ptr 0
		.amdhsa_user_sgpr_queue_ptr 0
		.amdhsa_user_sgpr_kernarg_segment_ptr 1
		.amdhsa_user_sgpr_dispatch_id 0
		.amdhsa_user_sgpr_flat_scratch_init 0
		.amdhsa_user_sgpr_kernarg_preload_length 0
		.amdhsa_user_sgpr_kernarg_preload_offset 0
		.amdhsa_user_sgpr_private_segment_size 0
		.amdhsa_uses_dynamic_stack 0
		.amdhsa_system_sgpr_private_segment_wavefront_offset 0
		.amdhsa_system_sgpr_workgroup_id_x 1
		.amdhsa_system_sgpr_workgroup_id_y 0
		.amdhsa_system_sgpr_workgroup_id_z 0
		.amdhsa_system_sgpr_workgroup_info 0
		.amdhsa_system_vgpr_workitem_id 0
		.amdhsa_next_free_vgpr 1
		.amdhsa_next_free_sgpr 0
		.amdhsa_accum_offset 4
		.amdhsa_reserve_vcc 0
		.amdhsa_reserve_flat_scratch 0
		.amdhsa_float_round_mode_32 0
		.amdhsa_float_round_mode_16_64 0
		.amdhsa_float_denorm_mode_32 3
		.amdhsa_float_denorm_mode_16_64 3
		.amdhsa_dx10_clamp 1
		.amdhsa_ieee_mode 1
		.amdhsa_fp16_overflow 0
		.amdhsa_tg_split 0
		.amdhsa_exception_fp_ieee_invalid_op 0
		.amdhsa_exception_fp_denorm_src 0
		.amdhsa_exception_fp_ieee_div_zero 0
		.amdhsa_exception_fp_ieee_overflow 0
		.amdhsa_exception_fp_ieee_underflow 0
		.amdhsa_exception_fp_ieee_inexact 0
		.amdhsa_exception_int_div_zero 0
	.end_amdhsa_kernel
	.section	.text._ZN7rocprim17ROCPRIM_400000_NS6detail17trampoline_kernelINS0_14default_configENS1_22reduce_config_selectorIN6thrust23THRUST_200600_302600_NS5tupleIblNS6_9null_typeES8_S8_S8_S8_S8_S8_S8_EEEEZNS1_11reduce_implILb1ES3_NS6_12zip_iteratorINS7_INS6_11hip_rocprim26transform_input_iterator_tIbNSD_35transform_pair_of_input_iterators_tIbNS6_6detail15normal_iteratorINS6_10device_ptrIKjEEEESL_NS6_8equal_toIjEEEENSG_9not_fun_tINSD_8identityEEEEENSD_19counting_iterator_tIlEES8_S8_S8_S8_S8_S8_S8_S8_EEEEPS9_S9_NSD_9__find_if7functorIS9_EEEE10hipError_tPvRmT1_T2_T3_mT4_P12ihipStream_tbEUlT_E0_NS1_11comp_targetILNS1_3genE5ELNS1_11target_archE942ELNS1_3gpuE9ELNS1_3repE0EEENS1_30default_config_static_selectorELNS0_4arch9wavefront6targetE1EEEvS14_,"axG",@progbits,_ZN7rocprim17ROCPRIM_400000_NS6detail17trampoline_kernelINS0_14default_configENS1_22reduce_config_selectorIN6thrust23THRUST_200600_302600_NS5tupleIblNS6_9null_typeES8_S8_S8_S8_S8_S8_S8_EEEEZNS1_11reduce_implILb1ES3_NS6_12zip_iteratorINS7_INS6_11hip_rocprim26transform_input_iterator_tIbNSD_35transform_pair_of_input_iterators_tIbNS6_6detail15normal_iteratorINS6_10device_ptrIKjEEEESL_NS6_8equal_toIjEEEENSG_9not_fun_tINSD_8identityEEEEENSD_19counting_iterator_tIlEES8_S8_S8_S8_S8_S8_S8_S8_EEEEPS9_S9_NSD_9__find_if7functorIS9_EEEE10hipError_tPvRmT1_T2_T3_mT4_P12ihipStream_tbEUlT_E0_NS1_11comp_targetILNS1_3genE5ELNS1_11target_archE942ELNS1_3gpuE9ELNS1_3repE0EEENS1_30default_config_static_selectorELNS0_4arch9wavefront6targetE1EEEvS14_,comdat
.Lfunc_end152:
	.size	_ZN7rocprim17ROCPRIM_400000_NS6detail17trampoline_kernelINS0_14default_configENS1_22reduce_config_selectorIN6thrust23THRUST_200600_302600_NS5tupleIblNS6_9null_typeES8_S8_S8_S8_S8_S8_S8_EEEEZNS1_11reduce_implILb1ES3_NS6_12zip_iteratorINS7_INS6_11hip_rocprim26transform_input_iterator_tIbNSD_35transform_pair_of_input_iterators_tIbNS6_6detail15normal_iteratorINS6_10device_ptrIKjEEEESL_NS6_8equal_toIjEEEENSG_9not_fun_tINSD_8identityEEEEENSD_19counting_iterator_tIlEES8_S8_S8_S8_S8_S8_S8_S8_EEEEPS9_S9_NSD_9__find_if7functorIS9_EEEE10hipError_tPvRmT1_T2_T3_mT4_P12ihipStream_tbEUlT_E0_NS1_11comp_targetILNS1_3genE5ELNS1_11target_archE942ELNS1_3gpuE9ELNS1_3repE0EEENS1_30default_config_static_selectorELNS0_4arch9wavefront6targetE1EEEvS14_, .Lfunc_end152-_ZN7rocprim17ROCPRIM_400000_NS6detail17trampoline_kernelINS0_14default_configENS1_22reduce_config_selectorIN6thrust23THRUST_200600_302600_NS5tupleIblNS6_9null_typeES8_S8_S8_S8_S8_S8_S8_EEEEZNS1_11reduce_implILb1ES3_NS6_12zip_iteratorINS7_INS6_11hip_rocprim26transform_input_iterator_tIbNSD_35transform_pair_of_input_iterators_tIbNS6_6detail15normal_iteratorINS6_10device_ptrIKjEEEESL_NS6_8equal_toIjEEEENSG_9not_fun_tINSD_8identityEEEEENSD_19counting_iterator_tIlEES8_S8_S8_S8_S8_S8_S8_S8_EEEEPS9_S9_NSD_9__find_if7functorIS9_EEEE10hipError_tPvRmT1_T2_T3_mT4_P12ihipStream_tbEUlT_E0_NS1_11comp_targetILNS1_3genE5ELNS1_11target_archE942ELNS1_3gpuE9ELNS1_3repE0EEENS1_30default_config_static_selectorELNS0_4arch9wavefront6targetE1EEEvS14_
                                        ; -- End function
	.section	.AMDGPU.csdata,"",@progbits
; Kernel info:
; codeLenInByte = 0
; NumSgprs: 4
; NumVgprs: 0
; NumAgprs: 0
; TotalNumVgprs: 0
; ScratchSize: 0
; MemoryBound: 0
; FloatMode: 240
; IeeeMode: 1
; LDSByteSize: 0 bytes/workgroup (compile time only)
; SGPRBlocks: 0
; VGPRBlocks: 0
; NumSGPRsForWavesPerEU: 4
; NumVGPRsForWavesPerEU: 1
; AccumOffset: 4
; Occupancy: 8
; WaveLimiterHint : 0
; COMPUTE_PGM_RSRC2:SCRATCH_EN: 0
; COMPUTE_PGM_RSRC2:USER_SGPR: 6
; COMPUTE_PGM_RSRC2:TRAP_HANDLER: 0
; COMPUTE_PGM_RSRC2:TGID_X_EN: 1
; COMPUTE_PGM_RSRC2:TGID_Y_EN: 0
; COMPUTE_PGM_RSRC2:TGID_Z_EN: 0
; COMPUTE_PGM_RSRC2:TIDIG_COMP_CNT: 0
; COMPUTE_PGM_RSRC3_GFX90A:ACCUM_OFFSET: 0
; COMPUTE_PGM_RSRC3_GFX90A:TG_SPLIT: 0
	.section	.text._ZN7rocprim17ROCPRIM_400000_NS6detail17trampoline_kernelINS0_14default_configENS1_22reduce_config_selectorIN6thrust23THRUST_200600_302600_NS5tupleIblNS6_9null_typeES8_S8_S8_S8_S8_S8_S8_EEEEZNS1_11reduce_implILb1ES3_NS6_12zip_iteratorINS7_INS6_11hip_rocprim26transform_input_iterator_tIbNSD_35transform_pair_of_input_iterators_tIbNS6_6detail15normal_iteratorINS6_10device_ptrIKjEEEESL_NS6_8equal_toIjEEEENSG_9not_fun_tINSD_8identityEEEEENSD_19counting_iterator_tIlEES8_S8_S8_S8_S8_S8_S8_S8_EEEEPS9_S9_NSD_9__find_if7functorIS9_EEEE10hipError_tPvRmT1_T2_T3_mT4_P12ihipStream_tbEUlT_E0_NS1_11comp_targetILNS1_3genE4ELNS1_11target_archE910ELNS1_3gpuE8ELNS1_3repE0EEENS1_30default_config_static_selectorELNS0_4arch9wavefront6targetE1EEEvS14_,"axG",@progbits,_ZN7rocprim17ROCPRIM_400000_NS6detail17trampoline_kernelINS0_14default_configENS1_22reduce_config_selectorIN6thrust23THRUST_200600_302600_NS5tupleIblNS6_9null_typeES8_S8_S8_S8_S8_S8_S8_EEEEZNS1_11reduce_implILb1ES3_NS6_12zip_iteratorINS7_INS6_11hip_rocprim26transform_input_iterator_tIbNSD_35transform_pair_of_input_iterators_tIbNS6_6detail15normal_iteratorINS6_10device_ptrIKjEEEESL_NS6_8equal_toIjEEEENSG_9not_fun_tINSD_8identityEEEEENSD_19counting_iterator_tIlEES8_S8_S8_S8_S8_S8_S8_S8_EEEEPS9_S9_NSD_9__find_if7functorIS9_EEEE10hipError_tPvRmT1_T2_T3_mT4_P12ihipStream_tbEUlT_E0_NS1_11comp_targetILNS1_3genE4ELNS1_11target_archE910ELNS1_3gpuE8ELNS1_3repE0EEENS1_30default_config_static_selectorELNS0_4arch9wavefront6targetE1EEEvS14_,comdat
	.protected	_ZN7rocprim17ROCPRIM_400000_NS6detail17trampoline_kernelINS0_14default_configENS1_22reduce_config_selectorIN6thrust23THRUST_200600_302600_NS5tupleIblNS6_9null_typeES8_S8_S8_S8_S8_S8_S8_EEEEZNS1_11reduce_implILb1ES3_NS6_12zip_iteratorINS7_INS6_11hip_rocprim26transform_input_iterator_tIbNSD_35transform_pair_of_input_iterators_tIbNS6_6detail15normal_iteratorINS6_10device_ptrIKjEEEESL_NS6_8equal_toIjEEEENSG_9not_fun_tINSD_8identityEEEEENSD_19counting_iterator_tIlEES8_S8_S8_S8_S8_S8_S8_S8_EEEEPS9_S9_NSD_9__find_if7functorIS9_EEEE10hipError_tPvRmT1_T2_T3_mT4_P12ihipStream_tbEUlT_E0_NS1_11comp_targetILNS1_3genE4ELNS1_11target_archE910ELNS1_3gpuE8ELNS1_3repE0EEENS1_30default_config_static_selectorELNS0_4arch9wavefront6targetE1EEEvS14_ ; -- Begin function _ZN7rocprim17ROCPRIM_400000_NS6detail17trampoline_kernelINS0_14default_configENS1_22reduce_config_selectorIN6thrust23THRUST_200600_302600_NS5tupleIblNS6_9null_typeES8_S8_S8_S8_S8_S8_S8_EEEEZNS1_11reduce_implILb1ES3_NS6_12zip_iteratorINS7_INS6_11hip_rocprim26transform_input_iterator_tIbNSD_35transform_pair_of_input_iterators_tIbNS6_6detail15normal_iteratorINS6_10device_ptrIKjEEEESL_NS6_8equal_toIjEEEENSG_9not_fun_tINSD_8identityEEEEENSD_19counting_iterator_tIlEES8_S8_S8_S8_S8_S8_S8_S8_EEEEPS9_S9_NSD_9__find_if7functorIS9_EEEE10hipError_tPvRmT1_T2_T3_mT4_P12ihipStream_tbEUlT_E0_NS1_11comp_targetILNS1_3genE4ELNS1_11target_archE910ELNS1_3gpuE8ELNS1_3repE0EEENS1_30default_config_static_selectorELNS0_4arch9wavefront6targetE1EEEvS14_
	.globl	_ZN7rocprim17ROCPRIM_400000_NS6detail17trampoline_kernelINS0_14default_configENS1_22reduce_config_selectorIN6thrust23THRUST_200600_302600_NS5tupleIblNS6_9null_typeES8_S8_S8_S8_S8_S8_S8_EEEEZNS1_11reduce_implILb1ES3_NS6_12zip_iteratorINS7_INS6_11hip_rocprim26transform_input_iterator_tIbNSD_35transform_pair_of_input_iterators_tIbNS6_6detail15normal_iteratorINS6_10device_ptrIKjEEEESL_NS6_8equal_toIjEEEENSG_9not_fun_tINSD_8identityEEEEENSD_19counting_iterator_tIlEES8_S8_S8_S8_S8_S8_S8_S8_EEEEPS9_S9_NSD_9__find_if7functorIS9_EEEE10hipError_tPvRmT1_T2_T3_mT4_P12ihipStream_tbEUlT_E0_NS1_11comp_targetILNS1_3genE4ELNS1_11target_archE910ELNS1_3gpuE8ELNS1_3repE0EEENS1_30default_config_static_selectorELNS0_4arch9wavefront6targetE1EEEvS14_
	.p2align	8
	.type	_ZN7rocprim17ROCPRIM_400000_NS6detail17trampoline_kernelINS0_14default_configENS1_22reduce_config_selectorIN6thrust23THRUST_200600_302600_NS5tupleIblNS6_9null_typeES8_S8_S8_S8_S8_S8_S8_EEEEZNS1_11reduce_implILb1ES3_NS6_12zip_iteratorINS7_INS6_11hip_rocprim26transform_input_iterator_tIbNSD_35transform_pair_of_input_iterators_tIbNS6_6detail15normal_iteratorINS6_10device_ptrIKjEEEESL_NS6_8equal_toIjEEEENSG_9not_fun_tINSD_8identityEEEEENSD_19counting_iterator_tIlEES8_S8_S8_S8_S8_S8_S8_S8_EEEEPS9_S9_NSD_9__find_if7functorIS9_EEEE10hipError_tPvRmT1_T2_T3_mT4_P12ihipStream_tbEUlT_E0_NS1_11comp_targetILNS1_3genE4ELNS1_11target_archE910ELNS1_3gpuE8ELNS1_3repE0EEENS1_30default_config_static_selectorELNS0_4arch9wavefront6targetE1EEEvS14_,@function
_ZN7rocprim17ROCPRIM_400000_NS6detail17trampoline_kernelINS0_14default_configENS1_22reduce_config_selectorIN6thrust23THRUST_200600_302600_NS5tupleIblNS6_9null_typeES8_S8_S8_S8_S8_S8_S8_EEEEZNS1_11reduce_implILb1ES3_NS6_12zip_iteratorINS7_INS6_11hip_rocprim26transform_input_iterator_tIbNSD_35transform_pair_of_input_iterators_tIbNS6_6detail15normal_iteratorINS6_10device_ptrIKjEEEESL_NS6_8equal_toIjEEEENSG_9not_fun_tINSD_8identityEEEEENSD_19counting_iterator_tIlEES8_S8_S8_S8_S8_S8_S8_S8_EEEEPS9_S9_NSD_9__find_if7functorIS9_EEEE10hipError_tPvRmT1_T2_T3_mT4_P12ihipStream_tbEUlT_E0_NS1_11comp_targetILNS1_3genE4ELNS1_11target_archE910ELNS1_3gpuE8ELNS1_3repE0EEENS1_30default_config_static_selectorELNS0_4arch9wavefront6targetE1EEEvS14_: ; @_ZN7rocprim17ROCPRIM_400000_NS6detail17trampoline_kernelINS0_14default_configENS1_22reduce_config_selectorIN6thrust23THRUST_200600_302600_NS5tupleIblNS6_9null_typeES8_S8_S8_S8_S8_S8_S8_EEEEZNS1_11reduce_implILb1ES3_NS6_12zip_iteratorINS7_INS6_11hip_rocprim26transform_input_iterator_tIbNSD_35transform_pair_of_input_iterators_tIbNS6_6detail15normal_iteratorINS6_10device_ptrIKjEEEESL_NS6_8equal_toIjEEEENSG_9not_fun_tINSD_8identityEEEEENSD_19counting_iterator_tIlEES8_S8_S8_S8_S8_S8_S8_S8_EEEEPS9_S9_NSD_9__find_if7functorIS9_EEEE10hipError_tPvRmT1_T2_T3_mT4_P12ihipStream_tbEUlT_E0_NS1_11comp_targetILNS1_3genE4ELNS1_11target_archE910ELNS1_3gpuE8ELNS1_3repE0EEENS1_30default_config_static_selectorELNS0_4arch9wavefront6targetE1EEEvS14_
; %bb.0:
	s_load_dwordx8 s[8:15], s[4:5], 0x20
	s_load_dwordx4 s[0:3], s[4:5], 0x0
	s_load_dwordx4 s[16:19], s[4:5], 0x40
	s_mov_b32 s25, 0
	s_mov_b32 s7, s25
	s_waitcnt lgkmcnt(0)
	s_lshl_b64 s[20:21], s[10:11], 2
	s_add_u32 s22, s0, s20
	s_addc_u32 s23, s1, s21
	s_add_u32 s26, s2, s20
	s_addc_u32 s27, s3, s21
	s_lshl_b32 s24, s6, 9
	s_lshr_b64 s[0:1], s[12:13], 9
	s_lshl_b64 s[2:3], s[24:25], 2
	s_add_u32 s20, s22, s2
	s_addc_u32 s21, s23, s3
	s_add_u32 s22, s26, s2
	s_addc_u32 s23, s27, s3
	;; [unrolled: 2-line block ×4, first 2 shown]
	s_cmp_lg_u64 s[0:1], s[6:7]
	v_lshlrev_b32_e32 v1, 2, v0
	s_cbranch_scc0 .LBB153_18
; %bb.1:
	global_load_dword v2, v1, s[22:23] offset:1024
	global_load_dword v3, v1, s[22:23]
	global_load_dword v4, v1, s[20:21] offset:1024
	global_load_dword v5, v1, s[20:21]
	v_mov_b32_e32 v6, s9
	v_add_co_u32_e32 v7, vcc, s8, v0
	v_addc_co_u32_e32 v6, vcc, 0, v6, vcc
	v_add_co_u32_e32 v8, vcc, 0x100, v7
	v_addc_co_u32_e32 v9, vcc, 0, v6, vcc
	s_waitcnt vmcnt(1)
	v_cmp_ne_u32_e32 vcc, v4, v2
	s_waitcnt vmcnt(0)
	v_cmp_ne_u32_e64 s[0:1], v5, v3
	v_cndmask_b32_e64 v3, v9, v6, s[0:1]
	v_cndmask_b32_e64 v2, v8, v7, s[0:1]
	s_or_b64 s[0:1], s[0:1], vcc
	v_cndmask_b32_e64 v6, 0, 1, s[0:1]
	v_mov_b32_dpp v4, v2 quad_perm:[1,0,3,2] row_mask:0xf bank_mask:0xf bound_ctrl:1
	v_mov_b32_dpp v5, v3 quad_perm:[1,0,3,2] row_mask:0xf bank_mask:0xf bound_ctrl:1
	;; [unrolled: 1-line block ×3, first 2 shown]
	v_and_b32_e32 v8, 1, v7
	v_cmp_eq_u32_e32 vcc, 1, v8
	s_and_saveexec_b64 s[2:3], vcc
; %bb.2:
	v_cmp_lt_i64_e32 vcc, v[2:3], v[4:5]
	v_cndmask_b32_e64 v7, v7, 1, s[0:1]
	s_and_b64 vcc, s[0:1], vcc
	v_cndmask_b32_e32 v2, v4, v2, vcc
	v_and_b32_e32 v4, 1, v7
	v_cndmask_b32_e32 v3, v5, v3, vcc
	v_cmp_eq_u32_e32 vcc, 1, v4
	s_andn2_b64 s[0:1], s[0:1], exec
	s_and_b64 s[10:11], vcc, exec
	v_and_b32_e32 v6, 0xff, v7
	s_or_b64 s[0:1], s[0:1], s[10:11]
; %bb.3:
	s_or_b64 exec, exec, s[2:3]
	v_mov_b32_dpp v7, v6 quad_perm:[2,3,0,1] row_mask:0xf bank_mask:0xf bound_ctrl:1
	v_and_b32_e32 v8, 1, v7
	v_mov_b32_dpp v4, v2 quad_perm:[2,3,0,1] row_mask:0xf bank_mask:0xf bound_ctrl:1
	v_mov_b32_dpp v5, v3 quad_perm:[2,3,0,1] row_mask:0xf bank_mask:0xf bound_ctrl:1
	v_cmp_eq_u32_e32 vcc, 1, v8
	s_and_saveexec_b64 s[2:3], vcc
; %bb.4:
	v_cmp_lt_i64_e32 vcc, v[2:3], v[4:5]
	v_cndmask_b32_e64 v7, v7, 1, s[0:1]
	s_and_b64 vcc, s[0:1], vcc
	v_cndmask_b32_e32 v2, v4, v2, vcc
	v_and_b32_e32 v4, 1, v7
	v_cndmask_b32_e32 v3, v5, v3, vcc
	v_cmp_eq_u32_e32 vcc, 1, v4
	s_andn2_b64 s[0:1], s[0:1], exec
	s_and_b64 s[10:11], vcc, exec
	v_and_b32_e32 v6, 0xff, v7
	s_or_b64 s[0:1], s[0:1], s[10:11]
; %bb.5:
	s_or_b64 exec, exec, s[2:3]
	v_mov_b32_dpp v7, v6 row_ror:4 row_mask:0xf bank_mask:0xf bound_ctrl:1
	v_and_b32_e32 v8, 1, v7
	v_mov_b32_dpp v4, v2 row_ror:4 row_mask:0xf bank_mask:0xf bound_ctrl:1
	v_mov_b32_dpp v5, v3 row_ror:4 row_mask:0xf bank_mask:0xf bound_ctrl:1
	v_cmp_eq_u32_e32 vcc, 1, v8
	s_and_saveexec_b64 s[2:3], vcc
; %bb.6:
	v_cmp_lt_i64_e32 vcc, v[2:3], v[4:5]
	v_cndmask_b32_e64 v7, v7, 1, s[0:1]
	s_and_b64 vcc, s[0:1], vcc
	v_cndmask_b32_e32 v2, v4, v2, vcc
	v_and_b32_e32 v4, 1, v7
	v_cndmask_b32_e32 v3, v5, v3, vcc
	v_cmp_eq_u32_e32 vcc, 1, v4
	s_andn2_b64 s[0:1], s[0:1], exec
	s_and_b64 s[10:11], vcc, exec
	v_and_b32_e32 v6, 0xff, v7
	s_or_b64 s[0:1], s[0:1], s[10:11]
; %bb.7:
	s_or_b64 exec, exec, s[2:3]
	v_mov_b32_dpp v7, v6 row_ror:8 row_mask:0xf bank_mask:0xf bound_ctrl:1
	v_and_b32_e32 v8, 1, v7
	v_mov_b32_dpp v4, v2 row_ror:8 row_mask:0xf bank_mask:0xf bound_ctrl:1
	v_mov_b32_dpp v5, v3 row_ror:8 row_mask:0xf bank_mask:0xf bound_ctrl:1
	v_cmp_eq_u32_e32 vcc, 1, v8
	s_and_saveexec_b64 s[2:3], vcc
; %bb.8:
	v_cmp_lt_i64_e32 vcc, v[2:3], v[4:5]
	v_cndmask_b32_e64 v7, v7, 1, s[0:1]
	s_and_b64 vcc, s[0:1], vcc
	v_cndmask_b32_e32 v2, v4, v2, vcc
	v_and_b32_e32 v4, 1, v7
	v_cndmask_b32_e32 v3, v5, v3, vcc
	v_cmp_eq_u32_e32 vcc, 1, v4
	s_andn2_b64 s[0:1], s[0:1], exec
	s_and_b64 s[10:11], vcc, exec
	v_and_b32_e32 v6, 0xff, v7
	s_or_b64 s[0:1], s[0:1], s[10:11]
; %bb.9:
	s_or_b64 exec, exec, s[2:3]
	v_mov_b32_dpp v7, v6 row_bcast:15 row_mask:0xf bank_mask:0xf bound_ctrl:1
	v_and_b32_e32 v8, 1, v7
	v_mov_b32_dpp v4, v2 row_bcast:15 row_mask:0xf bank_mask:0xf bound_ctrl:1
	v_mov_b32_dpp v5, v3 row_bcast:15 row_mask:0xf bank_mask:0xf bound_ctrl:1
	v_cmp_eq_u32_e32 vcc, 1, v8
	s_and_saveexec_b64 s[2:3], vcc
; %bb.10:
	v_cmp_lt_i64_e32 vcc, v[2:3], v[4:5]
	v_cndmask_b32_e64 v7, v7, 1, s[0:1]
	s_and_b64 vcc, s[0:1], vcc
	v_cndmask_b32_e32 v2, v4, v2, vcc
	v_and_b32_e32 v4, 1, v7
	v_cndmask_b32_e32 v3, v5, v3, vcc
	v_cmp_eq_u32_e32 vcc, 1, v4
	s_andn2_b64 s[0:1], s[0:1], exec
	s_and_b64 s[10:11], vcc, exec
	v_and_b32_e32 v6, 0xff, v7
	s_or_b64 s[0:1], s[0:1], s[10:11]
; %bb.11:
	s_or_b64 exec, exec, s[2:3]
	v_mov_b32_dpp v7, v6 row_bcast:31 row_mask:0xf bank_mask:0xf bound_ctrl:1
	v_and_b32_e32 v8, 1, v7
	v_mov_b32_dpp v4, v2 row_bcast:31 row_mask:0xf bank_mask:0xf bound_ctrl:1
	v_mov_b32_dpp v5, v3 row_bcast:31 row_mask:0xf bank_mask:0xf bound_ctrl:1
	v_cmp_eq_u32_e32 vcc, 1, v8
	s_and_saveexec_b64 s[2:3], vcc
; %bb.12:
	v_cmp_lt_i64_e32 vcc, v[2:3], v[4:5]
	v_and_b32_e32 v6, 0xff, v7
	s_and_b64 vcc, s[0:1], vcc
	v_cndmask_b32_e32 v2, v4, v2, vcc
	v_cndmask_b32_e32 v3, v5, v3, vcc
	v_cndmask_b32_e64 v6, v6, 1, s[0:1]
; %bb.13:
	s_or_b64 exec, exec, s[2:3]
	v_mbcnt_lo_u32_b32 v4, -1, 0
	v_mbcnt_hi_u32_b32 v4, -1, v4
	v_bfrev_b32_e32 v5, 0.5
	v_lshl_or_b32 v5, v4, 2, v5
	ds_bpermute_b32 v6, v5, v6
	ds_bpermute_b32 v2, v5, v2
	;; [unrolled: 1-line block ×3, first 2 shown]
	v_cmp_eq_u32_e32 vcc, 0, v4
	s_and_saveexec_b64 s[0:1], vcc
	s_cbranch_execz .LBB153_15
; %bb.14:
	v_lshrrev_b32_e32 v5, 2, v0
	v_and_b32_e32 v5, 48, v5
	s_waitcnt lgkmcnt(2)
	ds_write_b8 v5, v6
	s_waitcnt lgkmcnt(1)
	ds_write_b64 v5, v[2:3] offset:8
.LBB153_15:
	s_or_b64 exec, exec, s[0:1]
	v_cmp_gt_u32_e32 vcc, 64, v0
	s_waitcnt lgkmcnt(0)
	s_barrier
	s_and_saveexec_b64 s[2:3], vcc
	s_cbranch_execz .LBB153_17
; %bb.16:
	v_and_b32_e32 v5, 3, v4
	v_lshlrev_b32_e32 v2, 4, v5
	ds_read_u8 v8, v2
	ds_read_b64 v[2:3], v2 offset:8
	v_cmp_ne_u32_e32 vcc, 3, v5
	v_addc_co_u32_e32 v6, vcc, 0, v4, vcc
	s_waitcnt lgkmcnt(1)
	v_and_b32_e32 v7, 0xff, v8
	v_lshlrev_b32_e32 v9, 2, v6
	ds_bpermute_b32 v10, v9, v7
	s_waitcnt lgkmcnt(1)
	ds_bpermute_b32 v6, v9, v2
	ds_bpermute_b32 v7, v9, v3
	v_and_b32_e32 v9, 1, v8
	s_waitcnt lgkmcnt(2)
	v_and_b32_e32 v11, 1, v10
	v_cmp_eq_u32_e64 s[0:1], 1, v11
	s_waitcnt lgkmcnt(0)
	v_cmp_lt_i64_e32 vcc, v[6:7], v[2:3]
	s_and_b64 vcc, s[0:1], vcc
	v_cndmask_b32_e64 v8, v8, 1, s[0:1]
	v_cndmask_b32_e32 v2, v2, v6, vcc
	v_cndmask_b32_e32 v3, v3, v7, vcc
	v_cmp_eq_u32_e32 vcc, 1, v9
	v_cndmask_b32_e32 v8, v10, v8, vcc
	v_cndmask_b32_e32 v3, v7, v3, vcc
	v_cndmask_b32_e32 v2, v6, v2, vcc
	v_cmp_gt_u32_e32 vcc, 2, v5
	v_cndmask_b32_e64 v5, 0, 1, vcc
	v_lshlrev_b32_e32 v5, 1, v5
	v_and_b32_e32 v6, 0xff, v8
	v_add_lshl_u32 v5, v5, v4, 2
	ds_bpermute_b32 v6, v5, v6
	ds_bpermute_b32 v4, v5, v2
	;; [unrolled: 1-line block ×3, first 2 shown]
	v_and_b32_e32 v7, 1, v8
	s_waitcnt lgkmcnt(2)
	v_and_b32_e32 v9, 1, v6
	v_cmp_eq_u32_e64 s[0:1], 1, v9
	s_waitcnt lgkmcnt(0)
	v_cmp_lt_i64_e32 vcc, v[4:5], v[2:3]
	s_and_b64 vcc, s[0:1], vcc
	v_cndmask_b32_e64 v8, v8, 1, s[0:1]
	v_cndmask_b32_e32 v2, v2, v4, vcc
	v_cndmask_b32_e32 v3, v3, v5, vcc
	v_cmp_eq_u32_e32 vcc, 1, v7
	v_cndmask_b32_e32 v6, v6, v8, vcc
	v_cndmask_b32_e32 v3, v5, v3, vcc
	;; [unrolled: 1-line block ×3, first 2 shown]
	v_and_b32_e32 v6, 0xff, v6
.LBB153_17:
	s_or_b64 exec, exec, s[2:3]
	s_load_dword s10, s[4:5], 0x50
	s_load_dwordx2 s[2:3], s[4:5], 0x58
	s_branch .LBB153_46
.LBB153_18:
                                        ; implicit-def: $vgpr2_vgpr3
                                        ; implicit-def: $vgpr6
	s_load_dword s10, s[4:5], 0x50
	s_load_dwordx2 s[2:3], s[4:5], 0x58
	s_cbranch_execz .LBB153_46
; %bb.19:
	s_sub_i32 s11, s12, s24
	v_pk_mov_b32 v[4:5], 0, 0
	v_cmp_gt_u32_e32 vcc, s11, v0
	v_mov_b32_e32 v6, 0
	v_pk_mov_b32 v[2:3], v[4:5], v[4:5] op_sel:[0,1]
	v_mov_b32_e32 v7, 0
	s_and_saveexec_b64 s[0:1], vcc
	s_cbranch_execz .LBB153_21
; %bb.20:
	global_load_dword v7, v1, s[20:21]
	global_load_dword v8, v1, s[22:23]
	v_mov_b32_e32 v3, s9
	v_add_co_u32_e32 v2, vcc, s8, v0
	v_addc_co_u32_e32 v3, vcc, 0, v3, vcc
	s_waitcnt vmcnt(0)
	v_cmp_ne_u32_e32 vcc, v7, v8
	v_cndmask_b32_e64 v7, 0, 1, vcc
.LBB153_21:
	s_or_b64 exec, exec, s[0:1]
	v_or_b32_e32 v8, 0x100, v0
	v_cmp_gt_u32_e32 vcc, s11, v8
	s_and_saveexec_b64 s[4:5], vcc
	s_cbranch_execz .LBB153_23
; %bb.22:
	global_load_dword v6, v1, s[20:21] offset:1024
	global_load_dword v9, v1, s[22:23] offset:1024
	v_mov_b32_e32 v1, s9
	v_add_co_u32_e64 v4, s[0:1], s8, v8
	v_addc_co_u32_e64 v5, s[0:1], 0, v1, s[0:1]
	s_waitcnt vmcnt(0)
	v_cmp_ne_u32_e64 s[0:1], v6, v9
	v_cndmask_b32_e64 v6, 0, 1, s[0:1]
.LBB153_23:
	s_or_b64 exec, exec, s[4:5]
	s_and_saveexec_b64 s[4:5], vcc
	s_cbranch_execz .LBB153_25
; %bb.24:
	v_and_b32_e32 v8, 1, v6
	v_cmp_lt_i64_e32 vcc, v[4:5], v[2:3]
	v_cmp_eq_u32_e64 s[0:1], 1, v8
	v_and_b32_e32 v1, 1, v7
	s_and_b64 vcc, s[0:1], vcc
	v_cndmask_b32_e64 v7, v7, 1, s[0:1]
	v_cndmask_b32_e32 v2, v2, v4, vcc
	v_cndmask_b32_e32 v3, v3, v5, vcc
	v_cmp_eq_u32_e32 vcc, 1, v1
	v_cndmask_b32_e32 v7, v6, v7, vcc
	v_cndmask_b32_e32 v3, v5, v3, vcc
	;; [unrolled: 1-line block ×3, first 2 shown]
.LBB153_25:
	s_or_b64 exec, exec, s[4:5]
	v_mbcnt_lo_u32_b32 v1, -1, 0
	v_mbcnt_hi_u32_b32 v1, -1, v1
	v_and_b32_e32 v8, 63, v1
	v_cmp_ne_u32_e32 vcc, 63, v8
	v_addc_co_u32_e32 v4, vcc, 0, v1, vcc
	v_and_b32_e32 v6, 0xffff, v7
	v_lshlrev_b32_e32 v5, 2, v4
	ds_bpermute_b32 v10, v5, v6
	ds_bpermute_b32 v4, v5, v2
	ds_bpermute_b32 v5, v5, v3
	s_min_u32 s8, s11, 0x100
	v_and_b32_e32 v9, 0xc0, v0
	v_sub_u32_e64 v9, s8, v9 clamp
	v_add_u32_e32 v11, 1, v8
	v_cmp_lt_u32_e32 vcc, v11, v9
	s_and_saveexec_b64 s[4:5], vcc
	s_cbranch_execz .LBB153_27
; %bb.26:
	s_waitcnt lgkmcnt(0)
	v_and_b32_e32 v11, 1, v10
	v_cmp_lt_i64_e32 vcc, v[4:5], v[2:3]
	v_cmp_eq_u32_e64 s[0:1], 1, v11
	v_and_b32_e32 v6, 1, v7
	s_and_b64 vcc, s[0:1], vcc
	v_cndmask_b32_e64 v7, v7, 1, s[0:1]
	v_cndmask_b32_e32 v2, v2, v4, vcc
	v_cndmask_b32_e32 v3, v3, v5, vcc
	v_cmp_eq_u32_e32 vcc, 1, v6
	v_cndmask_b32_e32 v7, v10, v7, vcc
	v_cndmask_b32_e32 v3, v5, v3, vcc
	;; [unrolled: 1-line block ×3, first 2 shown]
	v_and_b32_e32 v6, 0xff, v7
.LBB153_27:
	s_or_b64 exec, exec, s[4:5]
	v_cmp_gt_u32_e32 vcc, 62, v8
	s_waitcnt lgkmcnt(0)
	v_cndmask_b32_e64 v4, 0, 1, vcc
	v_lshlrev_b32_e32 v4, 1, v4
	v_add_lshl_u32 v5, v4, v1, 2
	ds_bpermute_b32 v10, v5, v6
	ds_bpermute_b32 v4, v5, v2
	ds_bpermute_b32 v5, v5, v3
	v_add_u32_e32 v11, 2, v8
	v_cmp_lt_u32_e32 vcc, v11, v9
	s_and_saveexec_b64 s[4:5], vcc
	s_cbranch_execz .LBB153_29
; %bb.28:
	s_waitcnt lgkmcnt(2)
	v_and_b32_e32 v11, 1, v10
	s_waitcnt lgkmcnt(0)
	v_cmp_lt_i64_e32 vcc, v[4:5], v[2:3]
	v_cmp_eq_u32_e64 s[0:1], 1, v11
	v_and_b32_e32 v6, 1, v7
	s_and_b64 vcc, s[0:1], vcc
	v_cndmask_b32_e64 v7, v7, 1, s[0:1]
	v_cndmask_b32_e32 v2, v2, v4, vcc
	v_cndmask_b32_e32 v3, v3, v5, vcc
	v_cmp_eq_u32_e32 vcc, 1, v6
	v_cndmask_b32_e32 v7, v10, v7, vcc
	v_cndmask_b32_e32 v3, v5, v3, vcc
	v_cndmask_b32_e32 v2, v4, v2, vcc
	v_and_b32_e32 v6, 0xff, v7
.LBB153_29:
	s_or_b64 exec, exec, s[4:5]
	v_cmp_gt_u32_e32 vcc, 60, v8
	s_waitcnt lgkmcnt(1)
	v_cndmask_b32_e64 v4, 0, 1, vcc
	v_lshlrev_b32_e32 v4, 2, v4
	s_waitcnt lgkmcnt(0)
	v_add_lshl_u32 v5, v4, v1, 2
	ds_bpermute_b32 v10, v5, v6
	ds_bpermute_b32 v4, v5, v2
	ds_bpermute_b32 v5, v5, v3
	v_add_u32_e32 v11, 4, v8
	v_cmp_lt_u32_e32 vcc, v11, v9
	s_and_saveexec_b64 s[4:5], vcc
	s_cbranch_execz .LBB153_31
; %bb.30:
	s_waitcnt lgkmcnt(2)
	v_and_b32_e32 v11, 1, v10
	s_waitcnt lgkmcnt(0)
	v_cmp_lt_i64_e32 vcc, v[4:5], v[2:3]
	v_cmp_eq_u32_e64 s[0:1], 1, v11
	v_and_b32_e32 v6, 1, v7
	s_and_b64 vcc, s[0:1], vcc
	v_cndmask_b32_e64 v7, v7, 1, s[0:1]
	v_cndmask_b32_e32 v2, v2, v4, vcc
	v_cndmask_b32_e32 v3, v3, v5, vcc
	v_cmp_eq_u32_e32 vcc, 1, v6
	v_cndmask_b32_e32 v7, v10, v7, vcc
	v_cndmask_b32_e32 v3, v5, v3, vcc
	v_cndmask_b32_e32 v2, v4, v2, vcc
	v_and_b32_e32 v6, 0xff, v7
.LBB153_31:
	s_or_b64 exec, exec, s[4:5]
	v_cmp_gt_u32_e32 vcc, 56, v8
	s_waitcnt lgkmcnt(1)
	v_cndmask_b32_e64 v4, 0, 1, vcc
	v_lshlrev_b32_e32 v4, 3, v4
	s_waitcnt lgkmcnt(0)
	v_add_lshl_u32 v5, v4, v1, 2
	ds_bpermute_b32 v10, v5, v6
	ds_bpermute_b32 v4, v5, v2
	ds_bpermute_b32 v5, v5, v3
	v_add_u32_e32 v11, 8, v8
	v_cmp_lt_u32_e32 vcc, v11, v9
	s_and_saveexec_b64 s[4:5], vcc
	s_cbranch_execz .LBB153_33
; %bb.32:
	s_waitcnt lgkmcnt(2)
	v_and_b32_e32 v11, 1, v10
	s_waitcnt lgkmcnt(0)
	v_cmp_lt_i64_e32 vcc, v[4:5], v[2:3]
	v_cmp_eq_u32_e64 s[0:1], 1, v11
	v_and_b32_e32 v6, 1, v7
	s_and_b64 vcc, s[0:1], vcc
	v_cndmask_b32_e64 v7, v7, 1, s[0:1]
	v_cndmask_b32_e32 v2, v2, v4, vcc
	v_cndmask_b32_e32 v3, v3, v5, vcc
	v_cmp_eq_u32_e32 vcc, 1, v6
	v_cndmask_b32_e32 v7, v10, v7, vcc
	v_cndmask_b32_e32 v3, v5, v3, vcc
	v_cndmask_b32_e32 v2, v4, v2, vcc
	v_and_b32_e32 v6, 0xff, v7
.LBB153_33:
	s_or_b64 exec, exec, s[4:5]
	v_cmp_gt_u32_e32 vcc, 48, v8
	s_waitcnt lgkmcnt(1)
	v_cndmask_b32_e64 v4, 0, 1, vcc
	v_lshlrev_b32_e32 v4, 4, v4
	s_waitcnt lgkmcnt(0)
	v_add_lshl_u32 v5, v4, v1, 2
	ds_bpermute_b32 v10, v5, v6
	ds_bpermute_b32 v4, v5, v2
	ds_bpermute_b32 v5, v5, v3
	v_add_u32_e32 v11, 16, v8
	v_cmp_lt_u32_e32 vcc, v11, v9
	s_and_saveexec_b64 s[4:5], vcc
	s_cbranch_execz .LBB153_35
; %bb.34:
	s_waitcnt lgkmcnt(2)
	v_and_b32_e32 v11, 1, v10
	s_waitcnt lgkmcnt(0)
	v_cmp_lt_i64_e32 vcc, v[4:5], v[2:3]
	v_cmp_eq_u32_e64 s[0:1], 1, v11
	v_and_b32_e32 v6, 1, v7
	s_and_b64 vcc, s[0:1], vcc
	v_cndmask_b32_e64 v7, v7, 1, s[0:1]
	v_cndmask_b32_e32 v2, v2, v4, vcc
	v_cndmask_b32_e32 v3, v3, v5, vcc
	v_cmp_eq_u32_e32 vcc, 1, v6
	v_cndmask_b32_e32 v7, v10, v7, vcc
	v_cndmask_b32_e32 v3, v5, v3, vcc
	v_cndmask_b32_e32 v2, v4, v2, vcc
	v_and_b32_e32 v6, 0xff, v7
.LBB153_35:
	s_or_b64 exec, exec, s[4:5]
	v_cmp_gt_u32_e32 vcc, 32, v8
	s_waitcnt lgkmcnt(1)
	v_cndmask_b32_e64 v4, 0, 1, vcc
	v_lshlrev_b32_e32 v4, 5, v4
	s_waitcnt lgkmcnt(0)
	v_add_lshl_u32 v5, v4, v1, 2
	ds_bpermute_b32 v10, v5, v6
	ds_bpermute_b32 v4, v5, v2
	;; [unrolled: 1-line block ×3, first 2 shown]
	v_add_u32_e32 v8, 32, v8
	v_cmp_lt_u32_e32 vcc, v8, v9
	s_and_saveexec_b64 s[4:5], vcc
	s_cbranch_execz .LBB153_37
; %bb.36:
	s_waitcnt lgkmcnt(2)
	v_and_b32_e32 v8, 1, v10
	s_waitcnt lgkmcnt(0)
	v_cmp_lt_i64_e32 vcc, v[4:5], v[2:3]
	v_cmp_eq_u32_e64 s[0:1], 1, v8
	v_and_b32_e32 v6, 1, v7
	s_and_b64 vcc, s[0:1], vcc
	v_cndmask_b32_e64 v7, v7, 1, s[0:1]
	v_cndmask_b32_e32 v2, v2, v4, vcc
	v_cndmask_b32_e32 v3, v3, v5, vcc
	v_cmp_eq_u32_e32 vcc, 1, v6
	v_cndmask_b32_e32 v7, v10, v7, vcc
	v_cndmask_b32_e32 v3, v5, v3, vcc
	;; [unrolled: 1-line block ×3, first 2 shown]
	v_and_b32_e32 v6, 0xff, v7
.LBB153_37:
	s_or_b64 exec, exec, s[4:5]
	v_cmp_eq_u32_e32 vcc, 0, v1
	s_and_saveexec_b64 s[0:1], vcc
	s_cbranch_execz .LBB153_39
; %bb.38:
	s_waitcnt lgkmcnt(1)
	v_lshrrev_b32_e32 v4, 2, v0
	v_and_b32_e32 v4, 48, v4
	ds_write_b8 v4, v7 offset:64
	ds_write_b64 v4, v[2:3] offset:72
.LBB153_39:
	s_or_b64 exec, exec, s[0:1]
	v_cmp_gt_u32_e32 vcc, 4, v0
	s_waitcnt lgkmcnt(0)
	s_barrier
	s_and_saveexec_b64 s[4:5], vcc
	s_cbranch_execz .LBB153_45
; %bb.40:
	v_lshlrev_b32_e32 v2, 4, v1
	ds_read_u8 v7, v2 offset:64
	ds_read_b64 v[2:3], v2 offset:72
	v_and_b32_e32 v8, 3, v1
	v_cmp_ne_u32_e32 vcc, 3, v8
	v_addc_co_u32_e32 v4, vcc, 0, v1, vcc
	s_waitcnt lgkmcnt(1)
	v_and_b32_e32 v6, 0xff, v7
	v_lshlrev_b32_e32 v5, 2, v4
	ds_bpermute_b32 v9, v5, v6
	s_waitcnt lgkmcnt(1)
	ds_bpermute_b32 v4, v5, v2
	ds_bpermute_b32 v5, v5, v3
	s_add_i32 s8, s8, 63
	s_lshr_b32 s11, s8, 6
	v_add_u32_e32 v10, 1, v8
	v_cmp_gt_u32_e32 vcc, s11, v10
	s_and_saveexec_b64 s[8:9], vcc
	s_cbranch_execz .LBB153_42
; %bb.41:
	s_waitcnt lgkmcnt(2)
	v_and_b32_e32 v10, 1, v9
	s_waitcnt lgkmcnt(0)
	v_cmp_lt_i64_e32 vcc, v[4:5], v[2:3]
	v_cmp_eq_u32_e64 s[0:1], 1, v10
	v_and_b32_e32 v6, 1, v7
	s_and_b64 vcc, s[0:1], vcc
	v_cndmask_b32_e64 v7, v7, 1, s[0:1]
	v_cndmask_b32_e32 v2, v2, v4, vcc
	v_cndmask_b32_e32 v3, v3, v5, vcc
	v_cmp_eq_u32_e32 vcc, 1, v6
	v_cndmask_b32_e32 v7, v9, v7, vcc
	v_cndmask_b32_e32 v3, v5, v3, vcc
	;; [unrolled: 1-line block ×3, first 2 shown]
	v_and_b32_e32 v6, 0xff, v7
.LBB153_42:
	s_or_b64 exec, exec, s[8:9]
	v_cmp_gt_u32_e32 vcc, 2, v8
	s_waitcnt lgkmcnt(1)
	v_cndmask_b32_e64 v4, 0, 1, vcc
	v_lshlrev_b32_e32 v4, 1, v4
	s_waitcnt lgkmcnt(0)
	v_add_lshl_u32 v5, v4, v1, 2
	ds_bpermute_b32 v1, v5, v6
	ds_bpermute_b32 v4, v5, v2
	;; [unrolled: 1-line block ×3, first 2 shown]
	v_add_u32_e32 v8, 2, v8
	v_cmp_gt_u32_e32 vcc, s11, v8
	s_and_saveexec_b64 s[8:9], vcc
	s_cbranch_execz .LBB153_44
; %bb.43:
	s_waitcnt lgkmcnt(2)
	v_and_b32_e32 v8, 1, v1
	s_waitcnt lgkmcnt(0)
	v_cmp_lt_i64_e32 vcc, v[4:5], v[2:3]
	v_cmp_eq_u32_e64 s[0:1], 1, v8
	v_and_b32_e32 v6, 1, v7
	s_and_b64 vcc, s[0:1], vcc
	v_cndmask_b32_e64 v7, v7, 1, s[0:1]
	v_cndmask_b32_e32 v2, v2, v4, vcc
	v_cndmask_b32_e32 v3, v3, v5, vcc
	v_cmp_eq_u32_e32 vcc, 1, v6
	v_cndmask_b32_e32 v1, v1, v7, vcc
	v_cndmask_b32_e32 v3, v5, v3, vcc
	;; [unrolled: 1-line block ×3, first 2 shown]
	v_and_b32_e32 v6, 0xff, v1
.LBB153_44:
	s_or_b64 exec, exec, s[8:9]
.LBB153_45:
	s_or_b64 exec, exec, s[4:5]
.LBB153_46:
	v_cmp_eq_u32_e32 vcc, 0, v0
	s_and_saveexec_b64 s[0:1], vcc
	s_cbranch_execnz .LBB153_48
; %bb.47:
	s_endpgm
.LBB153_48:
	s_mul_i32 s0, s18, s17
	s_mul_hi_u32 s1, s18, s16
	s_add_i32 s0, s1, s0
	s_mul_i32 s1, s19, s16
	s_add_i32 s1, s0, s1
	s_mul_i32 s0, s18, s16
	s_lshl_b64 s[0:1], s[0:1], 4
	s_add_u32 s4, s14, s0
	s_addc_u32 s5, s15, s1
	s_cmp_eq_u64 s[12:13], 0
	s_waitcnt lgkmcnt(0)
	v_mov_b32_e32 v0, s3
	s_cselect_b64 vcc, -1, 0
	v_cndmask_b32_e32 v1, v3, v0, vcc
	v_mov_b32_e32 v0, s2
	s_lshl_b64 s[0:1], s[6:7], 4
	v_cndmask_b32_e32 v0, v2, v0, vcc
	v_mov_b32_e32 v2, s10
	s_add_u32 s0, s4, s0
	v_cndmask_b32_e32 v2, v6, v2, vcc
	s_addc_u32 s1, s5, s1
	v_mov_b32_e32 v3, 0
	global_store_byte v3, v2, s[0:1]
	global_store_dwordx2 v3, v[0:1], s[0:1] offset:8
	s_endpgm
	.section	.rodata,"a",@progbits
	.p2align	6, 0x0
	.amdhsa_kernel _ZN7rocprim17ROCPRIM_400000_NS6detail17trampoline_kernelINS0_14default_configENS1_22reduce_config_selectorIN6thrust23THRUST_200600_302600_NS5tupleIblNS6_9null_typeES8_S8_S8_S8_S8_S8_S8_EEEEZNS1_11reduce_implILb1ES3_NS6_12zip_iteratorINS7_INS6_11hip_rocprim26transform_input_iterator_tIbNSD_35transform_pair_of_input_iterators_tIbNS6_6detail15normal_iteratorINS6_10device_ptrIKjEEEESL_NS6_8equal_toIjEEEENSG_9not_fun_tINSD_8identityEEEEENSD_19counting_iterator_tIlEES8_S8_S8_S8_S8_S8_S8_S8_EEEEPS9_S9_NSD_9__find_if7functorIS9_EEEE10hipError_tPvRmT1_T2_T3_mT4_P12ihipStream_tbEUlT_E0_NS1_11comp_targetILNS1_3genE4ELNS1_11target_archE910ELNS1_3gpuE8ELNS1_3repE0EEENS1_30default_config_static_selectorELNS0_4arch9wavefront6targetE1EEEvS14_
		.amdhsa_group_segment_fixed_size 128
		.amdhsa_private_segment_fixed_size 0
		.amdhsa_kernarg_size 104
		.amdhsa_user_sgpr_count 6
		.amdhsa_user_sgpr_private_segment_buffer 1
		.amdhsa_user_sgpr_dispatch_ptr 0
		.amdhsa_user_sgpr_queue_ptr 0
		.amdhsa_user_sgpr_kernarg_segment_ptr 1
		.amdhsa_user_sgpr_dispatch_id 0
		.amdhsa_user_sgpr_flat_scratch_init 0
		.amdhsa_user_sgpr_kernarg_preload_length 0
		.amdhsa_user_sgpr_kernarg_preload_offset 0
		.amdhsa_user_sgpr_private_segment_size 0
		.amdhsa_uses_dynamic_stack 0
		.amdhsa_system_sgpr_private_segment_wavefront_offset 0
		.amdhsa_system_sgpr_workgroup_id_x 1
		.amdhsa_system_sgpr_workgroup_id_y 0
		.amdhsa_system_sgpr_workgroup_id_z 0
		.amdhsa_system_sgpr_workgroup_info 0
		.amdhsa_system_vgpr_workitem_id 0
		.amdhsa_next_free_vgpr 12
		.amdhsa_next_free_sgpr 28
		.amdhsa_accum_offset 12
		.amdhsa_reserve_vcc 1
		.amdhsa_reserve_flat_scratch 0
		.amdhsa_float_round_mode_32 0
		.amdhsa_float_round_mode_16_64 0
		.amdhsa_float_denorm_mode_32 3
		.amdhsa_float_denorm_mode_16_64 3
		.amdhsa_dx10_clamp 1
		.amdhsa_ieee_mode 1
		.amdhsa_fp16_overflow 0
		.amdhsa_tg_split 0
		.amdhsa_exception_fp_ieee_invalid_op 0
		.amdhsa_exception_fp_denorm_src 0
		.amdhsa_exception_fp_ieee_div_zero 0
		.amdhsa_exception_fp_ieee_overflow 0
		.amdhsa_exception_fp_ieee_underflow 0
		.amdhsa_exception_fp_ieee_inexact 0
		.amdhsa_exception_int_div_zero 0
	.end_amdhsa_kernel
	.section	.text._ZN7rocprim17ROCPRIM_400000_NS6detail17trampoline_kernelINS0_14default_configENS1_22reduce_config_selectorIN6thrust23THRUST_200600_302600_NS5tupleIblNS6_9null_typeES8_S8_S8_S8_S8_S8_S8_EEEEZNS1_11reduce_implILb1ES3_NS6_12zip_iteratorINS7_INS6_11hip_rocprim26transform_input_iterator_tIbNSD_35transform_pair_of_input_iterators_tIbNS6_6detail15normal_iteratorINS6_10device_ptrIKjEEEESL_NS6_8equal_toIjEEEENSG_9not_fun_tINSD_8identityEEEEENSD_19counting_iterator_tIlEES8_S8_S8_S8_S8_S8_S8_S8_EEEEPS9_S9_NSD_9__find_if7functorIS9_EEEE10hipError_tPvRmT1_T2_T3_mT4_P12ihipStream_tbEUlT_E0_NS1_11comp_targetILNS1_3genE4ELNS1_11target_archE910ELNS1_3gpuE8ELNS1_3repE0EEENS1_30default_config_static_selectorELNS0_4arch9wavefront6targetE1EEEvS14_,"axG",@progbits,_ZN7rocprim17ROCPRIM_400000_NS6detail17trampoline_kernelINS0_14default_configENS1_22reduce_config_selectorIN6thrust23THRUST_200600_302600_NS5tupleIblNS6_9null_typeES8_S8_S8_S8_S8_S8_S8_EEEEZNS1_11reduce_implILb1ES3_NS6_12zip_iteratorINS7_INS6_11hip_rocprim26transform_input_iterator_tIbNSD_35transform_pair_of_input_iterators_tIbNS6_6detail15normal_iteratorINS6_10device_ptrIKjEEEESL_NS6_8equal_toIjEEEENSG_9not_fun_tINSD_8identityEEEEENSD_19counting_iterator_tIlEES8_S8_S8_S8_S8_S8_S8_S8_EEEEPS9_S9_NSD_9__find_if7functorIS9_EEEE10hipError_tPvRmT1_T2_T3_mT4_P12ihipStream_tbEUlT_E0_NS1_11comp_targetILNS1_3genE4ELNS1_11target_archE910ELNS1_3gpuE8ELNS1_3repE0EEENS1_30default_config_static_selectorELNS0_4arch9wavefront6targetE1EEEvS14_,comdat
.Lfunc_end153:
	.size	_ZN7rocprim17ROCPRIM_400000_NS6detail17trampoline_kernelINS0_14default_configENS1_22reduce_config_selectorIN6thrust23THRUST_200600_302600_NS5tupleIblNS6_9null_typeES8_S8_S8_S8_S8_S8_S8_EEEEZNS1_11reduce_implILb1ES3_NS6_12zip_iteratorINS7_INS6_11hip_rocprim26transform_input_iterator_tIbNSD_35transform_pair_of_input_iterators_tIbNS6_6detail15normal_iteratorINS6_10device_ptrIKjEEEESL_NS6_8equal_toIjEEEENSG_9not_fun_tINSD_8identityEEEEENSD_19counting_iterator_tIlEES8_S8_S8_S8_S8_S8_S8_S8_EEEEPS9_S9_NSD_9__find_if7functorIS9_EEEE10hipError_tPvRmT1_T2_T3_mT4_P12ihipStream_tbEUlT_E0_NS1_11comp_targetILNS1_3genE4ELNS1_11target_archE910ELNS1_3gpuE8ELNS1_3repE0EEENS1_30default_config_static_selectorELNS0_4arch9wavefront6targetE1EEEvS14_, .Lfunc_end153-_ZN7rocprim17ROCPRIM_400000_NS6detail17trampoline_kernelINS0_14default_configENS1_22reduce_config_selectorIN6thrust23THRUST_200600_302600_NS5tupleIblNS6_9null_typeES8_S8_S8_S8_S8_S8_S8_EEEEZNS1_11reduce_implILb1ES3_NS6_12zip_iteratorINS7_INS6_11hip_rocprim26transform_input_iterator_tIbNSD_35transform_pair_of_input_iterators_tIbNS6_6detail15normal_iteratorINS6_10device_ptrIKjEEEESL_NS6_8equal_toIjEEEENSG_9not_fun_tINSD_8identityEEEEENSD_19counting_iterator_tIlEES8_S8_S8_S8_S8_S8_S8_S8_EEEEPS9_S9_NSD_9__find_if7functorIS9_EEEE10hipError_tPvRmT1_T2_T3_mT4_P12ihipStream_tbEUlT_E0_NS1_11comp_targetILNS1_3genE4ELNS1_11target_archE910ELNS1_3gpuE8ELNS1_3repE0EEENS1_30default_config_static_selectorELNS0_4arch9wavefront6targetE1EEEvS14_
                                        ; -- End function
	.section	.AMDGPU.csdata,"",@progbits
; Kernel info:
; codeLenInByte = 2844
; NumSgprs: 32
; NumVgprs: 12
; NumAgprs: 0
; TotalNumVgprs: 12
; ScratchSize: 0
; MemoryBound: 0
; FloatMode: 240
; IeeeMode: 1
; LDSByteSize: 128 bytes/workgroup (compile time only)
; SGPRBlocks: 3
; VGPRBlocks: 1
; NumSGPRsForWavesPerEU: 32
; NumVGPRsForWavesPerEU: 12
; AccumOffset: 12
; Occupancy: 8
; WaveLimiterHint : 0
; COMPUTE_PGM_RSRC2:SCRATCH_EN: 0
; COMPUTE_PGM_RSRC2:USER_SGPR: 6
; COMPUTE_PGM_RSRC2:TRAP_HANDLER: 0
; COMPUTE_PGM_RSRC2:TGID_X_EN: 1
; COMPUTE_PGM_RSRC2:TGID_Y_EN: 0
; COMPUTE_PGM_RSRC2:TGID_Z_EN: 0
; COMPUTE_PGM_RSRC2:TIDIG_COMP_CNT: 0
; COMPUTE_PGM_RSRC3_GFX90A:ACCUM_OFFSET: 2
; COMPUTE_PGM_RSRC3_GFX90A:TG_SPLIT: 0
	.section	.text._ZN7rocprim17ROCPRIM_400000_NS6detail17trampoline_kernelINS0_14default_configENS1_22reduce_config_selectorIN6thrust23THRUST_200600_302600_NS5tupleIblNS6_9null_typeES8_S8_S8_S8_S8_S8_S8_EEEEZNS1_11reduce_implILb1ES3_NS6_12zip_iteratorINS7_INS6_11hip_rocprim26transform_input_iterator_tIbNSD_35transform_pair_of_input_iterators_tIbNS6_6detail15normal_iteratorINS6_10device_ptrIKjEEEESL_NS6_8equal_toIjEEEENSG_9not_fun_tINSD_8identityEEEEENSD_19counting_iterator_tIlEES8_S8_S8_S8_S8_S8_S8_S8_EEEEPS9_S9_NSD_9__find_if7functorIS9_EEEE10hipError_tPvRmT1_T2_T3_mT4_P12ihipStream_tbEUlT_E0_NS1_11comp_targetILNS1_3genE3ELNS1_11target_archE908ELNS1_3gpuE7ELNS1_3repE0EEENS1_30default_config_static_selectorELNS0_4arch9wavefront6targetE1EEEvS14_,"axG",@progbits,_ZN7rocprim17ROCPRIM_400000_NS6detail17trampoline_kernelINS0_14default_configENS1_22reduce_config_selectorIN6thrust23THRUST_200600_302600_NS5tupleIblNS6_9null_typeES8_S8_S8_S8_S8_S8_S8_EEEEZNS1_11reduce_implILb1ES3_NS6_12zip_iteratorINS7_INS6_11hip_rocprim26transform_input_iterator_tIbNSD_35transform_pair_of_input_iterators_tIbNS6_6detail15normal_iteratorINS6_10device_ptrIKjEEEESL_NS6_8equal_toIjEEEENSG_9not_fun_tINSD_8identityEEEEENSD_19counting_iterator_tIlEES8_S8_S8_S8_S8_S8_S8_S8_EEEEPS9_S9_NSD_9__find_if7functorIS9_EEEE10hipError_tPvRmT1_T2_T3_mT4_P12ihipStream_tbEUlT_E0_NS1_11comp_targetILNS1_3genE3ELNS1_11target_archE908ELNS1_3gpuE7ELNS1_3repE0EEENS1_30default_config_static_selectorELNS0_4arch9wavefront6targetE1EEEvS14_,comdat
	.protected	_ZN7rocprim17ROCPRIM_400000_NS6detail17trampoline_kernelINS0_14default_configENS1_22reduce_config_selectorIN6thrust23THRUST_200600_302600_NS5tupleIblNS6_9null_typeES8_S8_S8_S8_S8_S8_S8_EEEEZNS1_11reduce_implILb1ES3_NS6_12zip_iteratorINS7_INS6_11hip_rocprim26transform_input_iterator_tIbNSD_35transform_pair_of_input_iterators_tIbNS6_6detail15normal_iteratorINS6_10device_ptrIKjEEEESL_NS6_8equal_toIjEEEENSG_9not_fun_tINSD_8identityEEEEENSD_19counting_iterator_tIlEES8_S8_S8_S8_S8_S8_S8_S8_EEEEPS9_S9_NSD_9__find_if7functorIS9_EEEE10hipError_tPvRmT1_T2_T3_mT4_P12ihipStream_tbEUlT_E0_NS1_11comp_targetILNS1_3genE3ELNS1_11target_archE908ELNS1_3gpuE7ELNS1_3repE0EEENS1_30default_config_static_selectorELNS0_4arch9wavefront6targetE1EEEvS14_ ; -- Begin function _ZN7rocprim17ROCPRIM_400000_NS6detail17trampoline_kernelINS0_14default_configENS1_22reduce_config_selectorIN6thrust23THRUST_200600_302600_NS5tupleIblNS6_9null_typeES8_S8_S8_S8_S8_S8_S8_EEEEZNS1_11reduce_implILb1ES3_NS6_12zip_iteratorINS7_INS6_11hip_rocprim26transform_input_iterator_tIbNSD_35transform_pair_of_input_iterators_tIbNS6_6detail15normal_iteratorINS6_10device_ptrIKjEEEESL_NS6_8equal_toIjEEEENSG_9not_fun_tINSD_8identityEEEEENSD_19counting_iterator_tIlEES8_S8_S8_S8_S8_S8_S8_S8_EEEEPS9_S9_NSD_9__find_if7functorIS9_EEEE10hipError_tPvRmT1_T2_T3_mT4_P12ihipStream_tbEUlT_E0_NS1_11comp_targetILNS1_3genE3ELNS1_11target_archE908ELNS1_3gpuE7ELNS1_3repE0EEENS1_30default_config_static_selectorELNS0_4arch9wavefront6targetE1EEEvS14_
	.globl	_ZN7rocprim17ROCPRIM_400000_NS6detail17trampoline_kernelINS0_14default_configENS1_22reduce_config_selectorIN6thrust23THRUST_200600_302600_NS5tupleIblNS6_9null_typeES8_S8_S8_S8_S8_S8_S8_EEEEZNS1_11reduce_implILb1ES3_NS6_12zip_iteratorINS7_INS6_11hip_rocprim26transform_input_iterator_tIbNSD_35transform_pair_of_input_iterators_tIbNS6_6detail15normal_iteratorINS6_10device_ptrIKjEEEESL_NS6_8equal_toIjEEEENSG_9not_fun_tINSD_8identityEEEEENSD_19counting_iterator_tIlEES8_S8_S8_S8_S8_S8_S8_S8_EEEEPS9_S9_NSD_9__find_if7functorIS9_EEEE10hipError_tPvRmT1_T2_T3_mT4_P12ihipStream_tbEUlT_E0_NS1_11comp_targetILNS1_3genE3ELNS1_11target_archE908ELNS1_3gpuE7ELNS1_3repE0EEENS1_30default_config_static_selectorELNS0_4arch9wavefront6targetE1EEEvS14_
	.p2align	8
	.type	_ZN7rocprim17ROCPRIM_400000_NS6detail17trampoline_kernelINS0_14default_configENS1_22reduce_config_selectorIN6thrust23THRUST_200600_302600_NS5tupleIblNS6_9null_typeES8_S8_S8_S8_S8_S8_S8_EEEEZNS1_11reduce_implILb1ES3_NS6_12zip_iteratorINS7_INS6_11hip_rocprim26transform_input_iterator_tIbNSD_35transform_pair_of_input_iterators_tIbNS6_6detail15normal_iteratorINS6_10device_ptrIKjEEEESL_NS6_8equal_toIjEEEENSG_9not_fun_tINSD_8identityEEEEENSD_19counting_iterator_tIlEES8_S8_S8_S8_S8_S8_S8_S8_EEEEPS9_S9_NSD_9__find_if7functorIS9_EEEE10hipError_tPvRmT1_T2_T3_mT4_P12ihipStream_tbEUlT_E0_NS1_11comp_targetILNS1_3genE3ELNS1_11target_archE908ELNS1_3gpuE7ELNS1_3repE0EEENS1_30default_config_static_selectorELNS0_4arch9wavefront6targetE1EEEvS14_,@function
_ZN7rocprim17ROCPRIM_400000_NS6detail17trampoline_kernelINS0_14default_configENS1_22reduce_config_selectorIN6thrust23THRUST_200600_302600_NS5tupleIblNS6_9null_typeES8_S8_S8_S8_S8_S8_S8_EEEEZNS1_11reduce_implILb1ES3_NS6_12zip_iteratorINS7_INS6_11hip_rocprim26transform_input_iterator_tIbNSD_35transform_pair_of_input_iterators_tIbNS6_6detail15normal_iteratorINS6_10device_ptrIKjEEEESL_NS6_8equal_toIjEEEENSG_9not_fun_tINSD_8identityEEEEENSD_19counting_iterator_tIlEES8_S8_S8_S8_S8_S8_S8_S8_EEEEPS9_S9_NSD_9__find_if7functorIS9_EEEE10hipError_tPvRmT1_T2_T3_mT4_P12ihipStream_tbEUlT_E0_NS1_11comp_targetILNS1_3genE3ELNS1_11target_archE908ELNS1_3gpuE7ELNS1_3repE0EEENS1_30default_config_static_selectorELNS0_4arch9wavefront6targetE1EEEvS14_: ; @_ZN7rocprim17ROCPRIM_400000_NS6detail17trampoline_kernelINS0_14default_configENS1_22reduce_config_selectorIN6thrust23THRUST_200600_302600_NS5tupleIblNS6_9null_typeES8_S8_S8_S8_S8_S8_S8_EEEEZNS1_11reduce_implILb1ES3_NS6_12zip_iteratorINS7_INS6_11hip_rocprim26transform_input_iterator_tIbNSD_35transform_pair_of_input_iterators_tIbNS6_6detail15normal_iteratorINS6_10device_ptrIKjEEEESL_NS6_8equal_toIjEEEENSG_9not_fun_tINSD_8identityEEEEENSD_19counting_iterator_tIlEES8_S8_S8_S8_S8_S8_S8_S8_EEEEPS9_S9_NSD_9__find_if7functorIS9_EEEE10hipError_tPvRmT1_T2_T3_mT4_P12ihipStream_tbEUlT_E0_NS1_11comp_targetILNS1_3genE3ELNS1_11target_archE908ELNS1_3gpuE7ELNS1_3repE0EEENS1_30default_config_static_selectorELNS0_4arch9wavefront6targetE1EEEvS14_
; %bb.0:
	.section	.rodata,"a",@progbits
	.p2align	6, 0x0
	.amdhsa_kernel _ZN7rocprim17ROCPRIM_400000_NS6detail17trampoline_kernelINS0_14default_configENS1_22reduce_config_selectorIN6thrust23THRUST_200600_302600_NS5tupleIblNS6_9null_typeES8_S8_S8_S8_S8_S8_S8_EEEEZNS1_11reduce_implILb1ES3_NS6_12zip_iteratorINS7_INS6_11hip_rocprim26transform_input_iterator_tIbNSD_35transform_pair_of_input_iterators_tIbNS6_6detail15normal_iteratorINS6_10device_ptrIKjEEEESL_NS6_8equal_toIjEEEENSG_9not_fun_tINSD_8identityEEEEENSD_19counting_iterator_tIlEES8_S8_S8_S8_S8_S8_S8_S8_EEEEPS9_S9_NSD_9__find_if7functorIS9_EEEE10hipError_tPvRmT1_T2_T3_mT4_P12ihipStream_tbEUlT_E0_NS1_11comp_targetILNS1_3genE3ELNS1_11target_archE908ELNS1_3gpuE7ELNS1_3repE0EEENS1_30default_config_static_selectorELNS0_4arch9wavefront6targetE1EEEvS14_
		.amdhsa_group_segment_fixed_size 0
		.amdhsa_private_segment_fixed_size 0
		.amdhsa_kernarg_size 104
		.amdhsa_user_sgpr_count 6
		.amdhsa_user_sgpr_private_segment_buffer 1
		.amdhsa_user_sgpr_dispatch_ptr 0
		.amdhsa_user_sgpr_queue_ptr 0
		.amdhsa_user_sgpr_kernarg_segment_ptr 1
		.amdhsa_user_sgpr_dispatch_id 0
		.amdhsa_user_sgpr_flat_scratch_init 0
		.amdhsa_user_sgpr_kernarg_preload_length 0
		.amdhsa_user_sgpr_kernarg_preload_offset 0
		.amdhsa_user_sgpr_private_segment_size 0
		.amdhsa_uses_dynamic_stack 0
		.amdhsa_system_sgpr_private_segment_wavefront_offset 0
		.amdhsa_system_sgpr_workgroup_id_x 1
		.amdhsa_system_sgpr_workgroup_id_y 0
		.amdhsa_system_sgpr_workgroup_id_z 0
		.amdhsa_system_sgpr_workgroup_info 0
		.amdhsa_system_vgpr_workitem_id 0
		.amdhsa_next_free_vgpr 1
		.amdhsa_next_free_sgpr 0
		.amdhsa_accum_offset 4
		.amdhsa_reserve_vcc 0
		.amdhsa_reserve_flat_scratch 0
		.amdhsa_float_round_mode_32 0
		.amdhsa_float_round_mode_16_64 0
		.amdhsa_float_denorm_mode_32 3
		.amdhsa_float_denorm_mode_16_64 3
		.amdhsa_dx10_clamp 1
		.amdhsa_ieee_mode 1
		.amdhsa_fp16_overflow 0
		.amdhsa_tg_split 0
		.amdhsa_exception_fp_ieee_invalid_op 0
		.amdhsa_exception_fp_denorm_src 0
		.amdhsa_exception_fp_ieee_div_zero 0
		.amdhsa_exception_fp_ieee_overflow 0
		.amdhsa_exception_fp_ieee_underflow 0
		.amdhsa_exception_fp_ieee_inexact 0
		.amdhsa_exception_int_div_zero 0
	.end_amdhsa_kernel
	.section	.text._ZN7rocprim17ROCPRIM_400000_NS6detail17trampoline_kernelINS0_14default_configENS1_22reduce_config_selectorIN6thrust23THRUST_200600_302600_NS5tupleIblNS6_9null_typeES8_S8_S8_S8_S8_S8_S8_EEEEZNS1_11reduce_implILb1ES3_NS6_12zip_iteratorINS7_INS6_11hip_rocprim26transform_input_iterator_tIbNSD_35transform_pair_of_input_iterators_tIbNS6_6detail15normal_iteratorINS6_10device_ptrIKjEEEESL_NS6_8equal_toIjEEEENSG_9not_fun_tINSD_8identityEEEEENSD_19counting_iterator_tIlEES8_S8_S8_S8_S8_S8_S8_S8_EEEEPS9_S9_NSD_9__find_if7functorIS9_EEEE10hipError_tPvRmT1_T2_T3_mT4_P12ihipStream_tbEUlT_E0_NS1_11comp_targetILNS1_3genE3ELNS1_11target_archE908ELNS1_3gpuE7ELNS1_3repE0EEENS1_30default_config_static_selectorELNS0_4arch9wavefront6targetE1EEEvS14_,"axG",@progbits,_ZN7rocprim17ROCPRIM_400000_NS6detail17trampoline_kernelINS0_14default_configENS1_22reduce_config_selectorIN6thrust23THRUST_200600_302600_NS5tupleIblNS6_9null_typeES8_S8_S8_S8_S8_S8_S8_EEEEZNS1_11reduce_implILb1ES3_NS6_12zip_iteratorINS7_INS6_11hip_rocprim26transform_input_iterator_tIbNSD_35transform_pair_of_input_iterators_tIbNS6_6detail15normal_iteratorINS6_10device_ptrIKjEEEESL_NS6_8equal_toIjEEEENSG_9not_fun_tINSD_8identityEEEEENSD_19counting_iterator_tIlEES8_S8_S8_S8_S8_S8_S8_S8_EEEEPS9_S9_NSD_9__find_if7functorIS9_EEEE10hipError_tPvRmT1_T2_T3_mT4_P12ihipStream_tbEUlT_E0_NS1_11comp_targetILNS1_3genE3ELNS1_11target_archE908ELNS1_3gpuE7ELNS1_3repE0EEENS1_30default_config_static_selectorELNS0_4arch9wavefront6targetE1EEEvS14_,comdat
.Lfunc_end154:
	.size	_ZN7rocprim17ROCPRIM_400000_NS6detail17trampoline_kernelINS0_14default_configENS1_22reduce_config_selectorIN6thrust23THRUST_200600_302600_NS5tupleIblNS6_9null_typeES8_S8_S8_S8_S8_S8_S8_EEEEZNS1_11reduce_implILb1ES3_NS6_12zip_iteratorINS7_INS6_11hip_rocprim26transform_input_iterator_tIbNSD_35transform_pair_of_input_iterators_tIbNS6_6detail15normal_iteratorINS6_10device_ptrIKjEEEESL_NS6_8equal_toIjEEEENSG_9not_fun_tINSD_8identityEEEEENSD_19counting_iterator_tIlEES8_S8_S8_S8_S8_S8_S8_S8_EEEEPS9_S9_NSD_9__find_if7functorIS9_EEEE10hipError_tPvRmT1_T2_T3_mT4_P12ihipStream_tbEUlT_E0_NS1_11comp_targetILNS1_3genE3ELNS1_11target_archE908ELNS1_3gpuE7ELNS1_3repE0EEENS1_30default_config_static_selectorELNS0_4arch9wavefront6targetE1EEEvS14_, .Lfunc_end154-_ZN7rocprim17ROCPRIM_400000_NS6detail17trampoline_kernelINS0_14default_configENS1_22reduce_config_selectorIN6thrust23THRUST_200600_302600_NS5tupleIblNS6_9null_typeES8_S8_S8_S8_S8_S8_S8_EEEEZNS1_11reduce_implILb1ES3_NS6_12zip_iteratorINS7_INS6_11hip_rocprim26transform_input_iterator_tIbNSD_35transform_pair_of_input_iterators_tIbNS6_6detail15normal_iteratorINS6_10device_ptrIKjEEEESL_NS6_8equal_toIjEEEENSG_9not_fun_tINSD_8identityEEEEENSD_19counting_iterator_tIlEES8_S8_S8_S8_S8_S8_S8_S8_EEEEPS9_S9_NSD_9__find_if7functorIS9_EEEE10hipError_tPvRmT1_T2_T3_mT4_P12ihipStream_tbEUlT_E0_NS1_11comp_targetILNS1_3genE3ELNS1_11target_archE908ELNS1_3gpuE7ELNS1_3repE0EEENS1_30default_config_static_selectorELNS0_4arch9wavefront6targetE1EEEvS14_
                                        ; -- End function
	.section	.AMDGPU.csdata,"",@progbits
; Kernel info:
; codeLenInByte = 0
; NumSgprs: 4
; NumVgprs: 0
; NumAgprs: 0
; TotalNumVgprs: 0
; ScratchSize: 0
; MemoryBound: 0
; FloatMode: 240
; IeeeMode: 1
; LDSByteSize: 0 bytes/workgroup (compile time only)
; SGPRBlocks: 0
; VGPRBlocks: 0
; NumSGPRsForWavesPerEU: 4
; NumVGPRsForWavesPerEU: 1
; AccumOffset: 4
; Occupancy: 8
; WaveLimiterHint : 0
; COMPUTE_PGM_RSRC2:SCRATCH_EN: 0
; COMPUTE_PGM_RSRC2:USER_SGPR: 6
; COMPUTE_PGM_RSRC2:TRAP_HANDLER: 0
; COMPUTE_PGM_RSRC2:TGID_X_EN: 1
; COMPUTE_PGM_RSRC2:TGID_Y_EN: 0
; COMPUTE_PGM_RSRC2:TGID_Z_EN: 0
; COMPUTE_PGM_RSRC2:TIDIG_COMP_CNT: 0
; COMPUTE_PGM_RSRC3_GFX90A:ACCUM_OFFSET: 0
; COMPUTE_PGM_RSRC3_GFX90A:TG_SPLIT: 0
	.section	.text._ZN7rocprim17ROCPRIM_400000_NS6detail17trampoline_kernelINS0_14default_configENS1_22reduce_config_selectorIN6thrust23THRUST_200600_302600_NS5tupleIblNS6_9null_typeES8_S8_S8_S8_S8_S8_S8_EEEEZNS1_11reduce_implILb1ES3_NS6_12zip_iteratorINS7_INS6_11hip_rocprim26transform_input_iterator_tIbNSD_35transform_pair_of_input_iterators_tIbNS6_6detail15normal_iteratorINS6_10device_ptrIKjEEEESL_NS6_8equal_toIjEEEENSG_9not_fun_tINSD_8identityEEEEENSD_19counting_iterator_tIlEES8_S8_S8_S8_S8_S8_S8_S8_EEEEPS9_S9_NSD_9__find_if7functorIS9_EEEE10hipError_tPvRmT1_T2_T3_mT4_P12ihipStream_tbEUlT_E0_NS1_11comp_targetILNS1_3genE2ELNS1_11target_archE906ELNS1_3gpuE6ELNS1_3repE0EEENS1_30default_config_static_selectorELNS0_4arch9wavefront6targetE1EEEvS14_,"axG",@progbits,_ZN7rocprim17ROCPRIM_400000_NS6detail17trampoline_kernelINS0_14default_configENS1_22reduce_config_selectorIN6thrust23THRUST_200600_302600_NS5tupleIblNS6_9null_typeES8_S8_S8_S8_S8_S8_S8_EEEEZNS1_11reduce_implILb1ES3_NS6_12zip_iteratorINS7_INS6_11hip_rocprim26transform_input_iterator_tIbNSD_35transform_pair_of_input_iterators_tIbNS6_6detail15normal_iteratorINS6_10device_ptrIKjEEEESL_NS6_8equal_toIjEEEENSG_9not_fun_tINSD_8identityEEEEENSD_19counting_iterator_tIlEES8_S8_S8_S8_S8_S8_S8_S8_EEEEPS9_S9_NSD_9__find_if7functorIS9_EEEE10hipError_tPvRmT1_T2_T3_mT4_P12ihipStream_tbEUlT_E0_NS1_11comp_targetILNS1_3genE2ELNS1_11target_archE906ELNS1_3gpuE6ELNS1_3repE0EEENS1_30default_config_static_selectorELNS0_4arch9wavefront6targetE1EEEvS14_,comdat
	.protected	_ZN7rocprim17ROCPRIM_400000_NS6detail17trampoline_kernelINS0_14default_configENS1_22reduce_config_selectorIN6thrust23THRUST_200600_302600_NS5tupleIblNS6_9null_typeES8_S8_S8_S8_S8_S8_S8_EEEEZNS1_11reduce_implILb1ES3_NS6_12zip_iteratorINS7_INS6_11hip_rocprim26transform_input_iterator_tIbNSD_35transform_pair_of_input_iterators_tIbNS6_6detail15normal_iteratorINS6_10device_ptrIKjEEEESL_NS6_8equal_toIjEEEENSG_9not_fun_tINSD_8identityEEEEENSD_19counting_iterator_tIlEES8_S8_S8_S8_S8_S8_S8_S8_EEEEPS9_S9_NSD_9__find_if7functorIS9_EEEE10hipError_tPvRmT1_T2_T3_mT4_P12ihipStream_tbEUlT_E0_NS1_11comp_targetILNS1_3genE2ELNS1_11target_archE906ELNS1_3gpuE6ELNS1_3repE0EEENS1_30default_config_static_selectorELNS0_4arch9wavefront6targetE1EEEvS14_ ; -- Begin function _ZN7rocprim17ROCPRIM_400000_NS6detail17trampoline_kernelINS0_14default_configENS1_22reduce_config_selectorIN6thrust23THRUST_200600_302600_NS5tupleIblNS6_9null_typeES8_S8_S8_S8_S8_S8_S8_EEEEZNS1_11reduce_implILb1ES3_NS6_12zip_iteratorINS7_INS6_11hip_rocprim26transform_input_iterator_tIbNSD_35transform_pair_of_input_iterators_tIbNS6_6detail15normal_iteratorINS6_10device_ptrIKjEEEESL_NS6_8equal_toIjEEEENSG_9not_fun_tINSD_8identityEEEEENSD_19counting_iterator_tIlEES8_S8_S8_S8_S8_S8_S8_S8_EEEEPS9_S9_NSD_9__find_if7functorIS9_EEEE10hipError_tPvRmT1_T2_T3_mT4_P12ihipStream_tbEUlT_E0_NS1_11comp_targetILNS1_3genE2ELNS1_11target_archE906ELNS1_3gpuE6ELNS1_3repE0EEENS1_30default_config_static_selectorELNS0_4arch9wavefront6targetE1EEEvS14_
	.globl	_ZN7rocprim17ROCPRIM_400000_NS6detail17trampoline_kernelINS0_14default_configENS1_22reduce_config_selectorIN6thrust23THRUST_200600_302600_NS5tupleIblNS6_9null_typeES8_S8_S8_S8_S8_S8_S8_EEEEZNS1_11reduce_implILb1ES3_NS6_12zip_iteratorINS7_INS6_11hip_rocprim26transform_input_iterator_tIbNSD_35transform_pair_of_input_iterators_tIbNS6_6detail15normal_iteratorINS6_10device_ptrIKjEEEESL_NS6_8equal_toIjEEEENSG_9not_fun_tINSD_8identityEEEEENSD_19counting_iterator_tIlEES8_S8_S8_S8_S8_S8_S8_S8_EEEEPS9_S9_NSD_9__find_if7functorIS9_EEEE10hipError_tPvRmT1_T2_T3_mT4_P12ihipStream_tbEUlT_E0_NS1_11comp_targetILNS1_3genE2ELNS1_11target_archE906ELNS1_3gpuE6ELNS1_3repE0EEENS1_30default_config_static_selectorELNS0_4arch9wavefront6targetE1EEEvS14_
	.p2align	8
	.type	_ZN7rocprim17ROCPRIM_400000_NS6detail17trampoline_kernelINS0_14default_configENS1_22reduce_config_selectorIN6thrust23THRUST_200600_302600_NS5tupleIblNS6_9null_typeES8_S8_S8_S8_S8_S8_S8_EEEEZNS1_11reduce_implILb1ES3_NS6_12zip_iteratorINS7_INS6_11hip_rocprim26transform_input_iterator_tIbNSD_35transform_pair_of_input_iterators_tIbNS6_6detail15normal_iteratorINS6_10device_ptrIKjEEEESL_NS6_8equal_toIjEEEENSG_9not_fun_tINSD_8identityEEEEENSD_19counting_iterator_tIlEES8_S8_S8_S8_S8_S8_S8_S8_EEEEPS9_S9_NSD_9__find_if7functorIS9_EEEE10hipError_tPvRmT1_T2_T3_mT4_P12ihipStream_tbEUlT_E0_NS1_11comp_targetILNS1_3genE2ELNS1_11target_archE906ELNS1_3gpuE6ELNS1_3repE0EEENS1_30default_config_static_selectorELNS0_4arch9wavefront6targetE1EEEvS14_,@function
_ZN7rocprim17ROCPRIM_400000_NS6detail17trampoline_kernelINS0_14default_configENS1_22reduce_config_selectorIN6thrust23THRUST_200600_302600_NS5tupleIblNS6_9null_typeES8_S8_S8_S8_S8_S8_S8_EEEEZNS1_11reduce_implILb1ES3_NS6_12zip_iteratorINS7_INS6_11hip_rocprim26transform_input_iterator_tIbNSD_35transform_pair_of_input_iterators_tIbNS6_6detail15normal_iteratorINS6_10device_ptrIKjEEEESL_NS6_8equal_toIjEEEENSG_9not_fun_tINSD_8identityEEEEENSD_19counting_iterator_tIlEES8_S8_S8_S8_S8_S8_S8_S8_EEEEPS9_S9_NSD_9__find_if7functorIS9_EEEE10hipError_tPvRmT1_T2_T3_mT4_P12ihipStream_tbEUlT_E0_NS1_11comp_targetILNS1_3genE2ELNS1_11target_archE906ELNS1_3gpuE6ELNS1_3repE0EEENS1_30default_config_static_selectorELNS0_4arch9wavefront6targetE1EEEvS14_: ; @_ZN7rocprim17ROCPRIM_400000_NS6detail17trampoline_kernelINS0_14default_configENS1_22reduce_config_selectorIN6thrust23THRUST_200600_302600_NS5tupleIblNS6_9null_typeES8_S8_S8_S8_S8_S8_S8_EEEEZNS1_11reduce_implILb1ES3_NS6_12zip_iteratorINS7_INS6_11hip_rocprim26transform_input_iterator_tIbNSD_35transform_pair_of_input_iterators_tIbNS6_6detail15normal_iteratorINS6_10device_ptrIKjEEEESL_NS6_8equal_toIjEEEENSG_9not_fun_tINSD_8identityEEEEENSD_19counting_iterator_tIlEES8_S8_S8_S8_S8_S8_S8_S8_EEEEPS9_S9_NSD_9__find_if7functorIS9_EEEE10hipError_tPvRmT1_T2_T3_mT4_P12ihipStream_tbEUlT_E0_NS1_11comp_targetILNS1_3genE2ELNS1_11target_archE906ELNS1_3gpuE6ELNS1_3repE0EEENS1_30default_config_static_selectorELNS0_4arch9wavefront6targetE1EEEvS14_
; %bb.0:
	.section	.rodata,"a",@progbits
	.p2align	6, 0x0
	.amdhsa_kernel _ZN7rocprim17ROCPRIM_400000_NS6detail17trampoline_kernelINS0_14default_configENS1_22reduce_config_selectorIN6thrust23THRUST_200600_302600_NS5tupleIblNS6_9null_typeES8_S8_S8_S8_S8_S8_S8_EEEEZNS1_11reduce_implILb1ES3_NS6_12zip_iteratorINS7_INS6_11hip_rocprim26transform_input_iterator_tIbNSD_35transform_pair_of_input_iterators_tIbNS6_6detail15normal_iteratorINS6_10device_ptrIKjEEEESL_NS6_8equal_toIjEEEENSG_9not_fun_tINSD_8identityEEEEENSD_19counting_iterator_tIlEES8_S8_S8_S8_S8_S8_S8_S8_EEEEPS9_S9_NSD_9__find_if7functorIS9_EEEE10hipError_tPvRmT1_T2_T3_mT4_P12ihipStream_tbEUlT_E0_NS1_11comp_targetILNS1_3genE2ELNS1_11target_archE906ELNS1_3gpuE6ELNS1_3repE0EEENS1_30default_config_static_selectorELNS0_4arch9wavefront6targetE1EEEvS14_
		.amdhsa_group_segment_fixed_size 0
		.amdhsa_private_segment_fixed_size 0
		.amdhsa_kernarg_size 104
		.amdhsa_user_sgpr_count 6
		.amdhsa_user_sgpr_private_segment_buffer 1
		.amdhsa_user_sgpr_dispatch_ptr 0
		.amdhsa_user_sgpr_queue_ptr 0
		.amdhsa_user_sgpr_kernarg_segment_ptr 1
		.amdhsa_user_sgpr_dispatch_id 0
		.amdhsa_user_sgpr_flat_scratch_init 0
		.amdhsa_user_sgpr_kernarg_preload_length 0
		.amdhsa_user_sgpr_kernarg_preload_offset 0
		.amdhsa_user_sgpr_private_segment_size 0
		.amdhsa_uses_dynamic_stack 0
		.amdhsa_system_sgpr_private_segment_wavefront_offset 0
		.amdhsa_system_sgpr_workgroup_id_x 1
		.amdhsa_system_sgpr_workgroup_id_y 0
		.amdhsa_system_sgpr_workgroup_id_z 0
		.amdhsa_system_sgpr_workgroup_info 0
		.amdhsa_system_vgpr_workitem_id 0
		.amdhsa_next_free_vgpr 1
		.amdhsa_next_free_sgpr 0
		.amdhsa_accum_offset 4
		.amdhsa_reserve_vcc 0
		.amdhsa_reserve_flat_scratch 0
		.amdhsa_float_round_mode_32 0
		.amdhsa_float_round_mode_16_64 0
		.amdhsa_float_denorm_mode_32 3
		.amdhsa_float_denorm_mode_16_64 3
		.amdhsa_dx10_clamp 1
		.amdhsa_ieee_mode 1
		.amdhsa_fp16_overflow 0
		.amdhsa_tg_split 0
		.amdhsa_exception_fp_ieee_invalid_op 0
		.amdhsa_exception_fp_denorm_src 0
		.amdhsa_exception_fp_ieee_div_zero 0
		.amdhsa_exception_fp_ieee_overflow 0
		.amdhsa_exception_fp_ieee_underflow 0
		.amdhsa_exception_fp_ieee_inexact 0
		.amdhsa_exception_int_div_zero 0
	.end_amdhsa_kernel
	.section	.text._ZN7rocprim17ROCPRIM_400000_NS6detail17trampoline_kernelINS0_14default_configENS1_22reduce_config_selectorIN6thrust23THRUST_200600_302600_NS5tupleIblNS6_9null_typeES8_S8_S8_S8_S8_S8_S8_EEEEZNS1_11reduce_implILb1ES3_NS6_12zip_iteratorINS7_INS6_11hip_rocprim26transform_input_iterator_tIbNSD_35transform_pair_of_input_iterators_tIbNS6_6detail15normal_iteratorINS6_10device_ptrIKjEEEESL_NS6_8equal_toIjEEEENSG_9not_fun_tINSD_8identityEEEEENSD_19counting_iterator_tIlEES8_S8_S8_S8_S8_S8_S8_S8_EEEEPS9_S9_NSD_9__find_if7functorIS9_EEEE10hipError_tPvRmT1_T2_T3_mT4_P12ihipStream_tbEUlT_E0_NS1_11comp_targetILNS1_3genE2ELNS1_11target_archE906ELNS1_3gpuE6ELNS1_3repE0EEENS1_30default_config_static_selectorELNS0_4arch9wavefront6targetE1EEEvS14_,"axG",@progbits,_ZN7rocprim17ROCPRIM_400000_NS6detail17trampoline_kernelINS0_14default_configENS1_22reduce_config_selectorIN6thrust23THRUST_200600_302600_NS5tupleIblNS6_9null_typeES8_S8_S8_S8_S8_S8_S8_EEEEZNS1_11reduce_implILb1ES3_NS6_12zip_iteratorINS7_INS6_11hip_rocprim26transform_input_iterator_tIbNSD_35transform_pair_of_input_iterators_tIbNS6_6detail15normal_iteratorINS6_10device_ptrIKjEEEESL_NS6_8equal_toIjEEEENSG_9not_fun_tINSD_8identityEEEEENSD_19counting_iterator_tIlEES8_S8_S8_S8_S8_S8_S8_S8_EEEEPS9_S9_NSD_9__find_if7functorIS9_EEEE10hipError_tPvRmT1_T2_T3_mT4_P12ihipStream_tbEUlT_E0_NS1_11comp_targetILNS1_3genE2ELNS1_11target_archE906ELNS1_3gpuE6ELNS1_3repE0EEENS1_30default_config_static_selectorELNS0_4arch9wavefront6targetE1EEEvS14_,comdat
.Lfunc_end155:
	.size	_ZN7rocprim17ROCPRIM_400000_NS6detail17trampoline_kernelINS0_14default_configENS1_22reduce_config_selectorIN6thrust23THRUST_200600_302600_NS5tupleIblNS6_9null_typeES8_S8_S8_S8_S8_S8_S8_EEEEZNS1_11reduce_implILb1ES3_NS6_12zip_iteratorINS7_INS6_11hip_rocprim26transform_input_iterator_tIbNSD_35transform_pair_of_input_iterators_tIbNS6_6detail15normal_iteratorINS6_10device_ptrIKjEEEESL_NS6_8equal_toIjEEEENSG_9not_fun_tINSD_8identityEEEEENSD_19counting_iterator_tIlEES8_S8_S8_S8_S8_S8_S8_S8_EEEEPS9_S9_NSD_9__find_if7functorIS9_EEEE10hipError_tPvRmT1_T2_T3_mT4_P12ihipStream_tbEUlT_E0_NS1_11comp_targetILNS1_3genE2ELNS1_11target_archE906ELNS1_3gpuE6ELNS1_3repE0EEENS1_30default_config_static_selectorELNS0_4arch9wavefront6targetE1EEEvS14_, .Lfunc_end155-_ZN7rocprim17ROCPRIM_400000_NS6detail17trampoline_kernelINS0_14default_configENS1_22reduce_config_selectorIN6thrust23THRUST_200600_302600_NS5tupleIblNS6_9null_typeES8_S8_S8_S8_S8_S8_S8_EEEEZNS1_11reduce_implILb1ES3_NS6_12zip_iteratorINS7_INS6_11hip_rocprim26transform_input_iterator_tIbNSD_35transform_pair_of_input_iterators_tIbNS6_6detail15normal_iteratorINS6_10device_ptrIKjEEEESL_NS6_8equal_toIjEEEENSG_9not_fun_tINSD_8identityEEEEENSD_19counting_iterator_tIlEES8_S8_S8_S8_S8_S8_S8_S8_EEEEPS9_S9_NSD_9__find_if7functorIS9_EEEE10hipError_tPvRmT1_T2_T3_mT4_P12ihipStream_tbEUlT_E0_NS1_11comp_targetILNS1_3genE2ELNS1_11target_archE906ELNS1_3gpuE6ELNS1_3repE0EEENS1_30default_config_static_selectorELNS0_4arch9wavefront6targetE1EEEvS14_
                                        ; -- End function
	.section	.AMDGPU.csdata,"",@progbits
; Kernel info:
; codeLenInByte = 0
; NumSgprs: 4
; NumVgprs: 0
; NumAgprs: 0
; TotalNumVgprs: 0
; ScratchSize: 0
; MemoryBound: 0
; FloatMode: 240
; IeeeMode: 1
; LDSByteSize: 0 bytes/workgroup (compile time only)
; SGPRBlocks: 0
; VGPRBlocks: 0
; NumSGPRsForWavesPerEU: 4
; NumVGPRsForWavesPerEU: 1
; AccumOffset: 4
; Occupancy: 8
; WaveLimiterHint : 0
; COMPUTE_PGM_RSRC2:SCRATCH_EN: 0
; COMPUTE_PGM_RSRC2:USER_SGPR: 6
; COMPUTE_PGM_RSRC2:TRAP_HANDLER: 0
; COMPUTE_PGM_RSRC2:TGID_X_EN: 1
; COMPUTE_PGM_RSRC2:TGID_Y_EN: 0
; COMPUTE_PGM_RSRC2:TGID_Z_EN: 0
; COMPUTE_PGM_RSRC2:TIDIG_COMP_CNT: 0
; COMPUTE_PGM_RSRC3_GFX90A:ACCUM_OFFSET: 0
; COMPUTE_PGM_RSRC3_GFX90A:TG_SPLIT: 0
	.section	.text._ZN7rocprim17ROCPRIM_400000_NS6detail17trampoline_kernelINS0_14default_configENS1_22reduce_config_selectorIN6thrust23THRUST_200600_302600_NS5tupleIblNS6_9null_typeES8_S8_S8_S8_S8_S8_S8_EEEEZNS1_11reduce_implILb1ES3_NS6_12zip_iteratorINS7_INS6_11hip_rocprim26transform_input_iterator_tIbNSD_35transform_pair_of_input_iterators_tIbNS6_6detail15normal_iteratorINS6_10device_ptrIKjEEEESL_NS6_8equal_toIjEEEENSG_9not_fun_tINSD_8identityEEEEENSD_19counting_iterator_tIlEES8_S8_S8_S8_S8_S8_S8_S8_EEEEPS9_S9_NSD_9__find_if7functorIS9_EEEE10hipError_tPvRmT1_T2_T3_mT4_P12ihipStream_tbEUlT_E0_NS1_11comp_targetILNS1_3genE10ELNS1_11target_archE1201ELNS1_3gpuE5ELNS1_3repE0EEENS1_30default_config_static_selectorELNS0_4arch9wavefront6targetE1EEEvS14_,"axG",@progbits,_ZN7rocprim17ROCPRIM_400000_NS6detail17trampoline_kernelINS0_14default_configENS1_22reduce_config_selectorIN6thrust23THRUST_200600_302600_NS5tupleIblNS6_9null_typeES8_S8_S8_S8_S8_S8_S8_EEEEZNS1_11reduce_implILb1ES3_NS6_12zip_iteratorINS7_INS6_11hip_rocprim26transform_input_iterator_tIbNSD_35transform_pair_of_input_iterators_tIbNS6_6detail15normal_iteratorINS6_10device_ptrIKjEEEESL_NS6_8equal_toIjEEEENSG_9not_fun_tINSD_8identityEEEEENSD_19counting_iterator_tIlEES8_S8_S8_S8_S8_S8_S8_S8_EEEEPS9_S9_NSD_9__find_if7functorIS9_EEEE10hipError_tPvRmT1_T2_T3_mT4_P12ihipStream_tbEUlT_E0_NS1_11comp_targetILNS1_3genE10ELNS1_11target_archE1201ELNS1_3gpuE5ELNS1_3repE0EEENS1_30default_config_static_selectorELNS0_4arch9wavefront6targetE1EEEvS14_,comdat
	.protected	_ZN7rocprim17ROCPRIM_400000_NS6detail17trampoline_kernelINS0_14default_configENS1_22reduce_config_selectorIN6thrust23THRUST_200600_302600_NS5tupleIblNS6_9null_typeES8_S8_S8_S8_S8_S8_S8_EEEEZNS1_11reduce_implILb1ES3_NS6_12zip_iteratorINS7_INS6_11hip_rocprim26transform_input_iterator_tIbNSD_35transform_pair_of_input_iterators_tIbNS6_6detail15normal_iteratorINS6_10device_ptrIKjEEEESL_NS6_8equal_toIjEEEENSG_9not_fun_tINSD_8identityEEEEENSD_19counting_iterator_tIlEES8_S8_S8_S8_S8_S8_S8_S8_EEEEPS9_S9_NSD_9__find_if7functorIS9_EEEE10hipError_tPvRmT1_T2_T3_mT4_P12ihipStream_tbEUlT_E0_NS1_11comp_targetILNS1_3genE10ELNS1_11target_archE1201ELNS1_3gpuE5ELNS1_3repE0EEENS1_30default_config_static_selectorELNS0_4arch9wavefront6targetE1EEEvS14_ ; -- Begin function _ZN7rocprim17ROCPRIM_400000_NS6detail17trampoline_kernelINS0_14default_configENS1_22reduce_config_selectorIN6thrust23THRUST_200600_302600_NS5tupleIblNS6_9null_typeES8_S8_S8_S8_S8_S8_S8_EEEEZNS1_11reduce_implILb1ES3_NS6_12zip_iteratorINS7_INS6_11hip_rocprim26transform_input_iterator_tIbNSD_35transform_pair_of_input_iterators_tIbNS6_6detail15normal_iteratorINS6_10device_ptrIKjEEEESL_NS6_8equal_toIjEEEENSG_9not_fun_tINSD_8identityEEEEENSD_19counting_iterator_tIlEES8_S8_S8_S8_S8_S8_S8_S8_EEEEPS9_S9_NSD_9__find_if7functorIS9_EEEE10hipError_tPvRmT1_T2_T3_mT4_P12ihipStream_tbEUlT_E0_NS1_11comp_targetILNS1_3genE10ELNS1_11target_archE1201ELNS1_3gpuE5ELNS1_3repE0EEENS1_30default_config_static_selectorELNS0_4arch9wavefront6targetE1EEEvS14_
	.globl	_ZN7rocprim17ROCPRIM_400000_NS6detail17trampoline_kernelINS0_14default_configENS1_22reduce_config_selectorIN6thrust23THRUST_200600_302600_NS5tupleIblNS6_9null_typeES8_S8_S8_S8_S8_S8_S8_EEEEZNS1_11reduce_implILb1ES3_NS6_12zip_iteratorINS7_INS6_11hip_rocprim26transform_input_iterator_tIbNSD_35transform_pair_of_input_iterators_tIbNS6_6detail15normal_iteratorINS6_10device_ptrIKjEEEESL_NS6_8equal_toIjEEEENSG_9not_fun_tINSD_8identityEEEEENSD_19counting_iterator_tIlEES8_S8_S8_S8_S8_S8_S8_S8_EEEEPS9_S9_NSD_9__find_if7functorIS9_EEEE10hipError_tPvRmT1_T2_T3_mT4_P12ihipStream_tbEUlT_E0_NS1_11comp_targetILNS1_3genE10ELNS1_11target_archE1201ELNS1_3gpuE5ELNS1_3repE0EEENS1_30default_config_static_selectorELNS0_4arch9wavefront6targetE1EEEvS14_
	.p2align	8
	.type	_ZN7rocprim17ROCPRIM_400000_NS6detail17trampoline_kernelINS0_14default_configENS1_22reduce_config_selectorIN6thrust23THRUST_200600_302600_NS5tupleIblNS6_9null_typeES8_S8_S8_S8_S8_S8_S8_EEEEZNS1_11reduce_implILb1ES3_NS6_12zip_iteratorINS7_INS6_11hip_rocprim26transform_input_iterator_tIbNSD_35transform_pair_of_input_iterators_tIbNS6_6detail15normal_iteratorINS6_10device_ptrIKjEEEESL_NS6_8equal_toIjEEEENSG_9not_fun_tINSD_8identityEEEEENSD_19counting_iterator_tIlEES8_S8_S8_S8_S8_S8_S8_S8_EEEEPS9_S9_NSD_9__find_if7functorIS9_EEEE10hipError_tPvRmT1_T2_T3_mT4_P12ihipStream_tbEUlT_E0_NS1_11comp_targetILNS1_3genE10ELNS1_11target_archE1201ELNS1_3gpuE5ELNS1_3repE0EEENS1_30default_config_static_selectorELNS0_4arch9wavefront6targetE1EEEvS14_,@function
_ZN7rocprim17ROCPRIM_400000_NS6detail17trampoline_kernelINS0_14default_configENS1_22reduce_config_selectorIN6thrust23THRUST_200600_302600_NS5tupleIblNS6_9null_typeES8_S8_S8_S8_S8_S8_S8_EEEEZNS1_11reduce_implILb1ES3_NS6_12zip_iteratorINS7_INS6_11hip_rocprim26transform_input_iterator_tIbNSD_35transform_pair_of_input_iterators_tIbNS6_6detail15normal_iteratorINS6_10device_ptrIKjEEEESL_NS6_8equal_toIjEEEENSG_9not_fun_tINSD_8identityEEEEENSD_19counting_iterator_tIlEES8_S8_S8_S8_S8_S8_S8_S8_EEEEPS9_S9_NSD_9__find_if7functorIS9_EEEE10hipError_tPvRmT1_T2_T3_mT4_P12ihipStream_tbEUlT_E0_NS1_11comp_targetILNS1_3genE10ELNS1_11target_archE1201ELNS1_3gpuE5ELNS1_3repE0EEENS1_30default_config_static_selectorELNS0_4arch9wavefront6targetE1EEEvS14_: ; @_ZN7rocprim17ROCPRIM_400000_NS6detail17trampoline_kernelINS0_14default_configENS1_22reduce_config_selectorIN6thrust23THRUST_200600_302600_NS5tupleIblNS6_9null_typeES8_S8_S8_S8_S8_S8_S8_EEEEZNS1_11reduce_implILb1ES3_NS6_12zip_iteratorINS7_INS6_11hip_rocprim26transform_input_iterator_tIbNSD_35transform_pair_of_input_iterators_tIbNS6_6detail15normal_iteratorINS6_10device_ptrIKjEEEESL_NS6_8equal_toIjEEEENSG_9not_fun_tINSD_8identityEEEEENSD_19counting_iterator_tIlEES8_S8_S8_S8_S8_S8_S8_S8_EEEEPS9_S9_NSD_9__find_if7functorIS9_EEEE10hipError_tPvRmT1_T2_T3_mT4_P12ihipStream_tbEUlT_E0_NS1_11comp_targetILNS1_3genE10ELNS1_11target_archE1201ELNS1_3gpuE5ELNS1_3repE0EEENS1_30default_config_static_selectorELNS0_4arch9wavefront6targetE1EEEvS14_
; %bb.0:
	.section	.rodata,"a",@progbits
	.p2align	6, 0x0
	.amdhsa_kernel _ZN7rocprim17ROCPRIM_400000_NS6detail17trampoline_kernelINS0_14default_configENS1_22reduce_config_selectorIN6thrust23THRUST_200600_302600_NS5tupleIblNS6_9null_typeES8_S8_S8_S8_S8_S8_S8_EEEEZNS1_11reduce_implILb1ES3_NS6_12zip_iteratorINS7_INS6_11hip_rocprim26transform_input_iterator_tIbNSD_35transform_pair_of_input_iterators_tIbNS6_6detail15normal_iteratorINS6_10device_ptrIKjEEEESL_NS6_8equal_toIjEEEENSG_9not_fun_tINSD_8identityEEEEENSD_19counting_iterator_tIlEES8_S8_S8_S8_S8_S8_S8_S8_EEEEPS9_S9_NSD_9__find_if7functorIS9_EEEE10hipError_tPvRmT1_T2_T3_mT4_P12ihipStream_tbEUlT_E0_NS1_11comp_targetILNS1_3genE10ELNS1_11target_archE1201ELNS1_3gpuE5ELNS1_3repE0EEENS1_30default_config_static_selectorELNS0_4arch9wavefront6targetE1EEEvS14_
		.amdhsa_group_segment_fixed_size 0
		.amdhsa_private_segment_fixed_size 0
		.amdhsa_kernarg_size 104
		.amdhsa_user_sgpr_count 6
		.amdhsa_user_sgpr_private_segment_buffer 1
		.amdhsa_user_sgpr_dispatch_ptr 0
		.amdhsa_user_sgpr_queue_ptr 0
		.amdhsa_user_sgpr_kernarg_segment_ptr 1
		.amdhsa_user_sgpr_dispatch_id 0
		.amdhsa_user_sgpr_flat_scratch_init 0
		.amdhsa_user_sgpr_kernarg_preload_length 0
		.amdhsa_user_sgpr_kernarg_preload_offset 0
		.amdhsa_user_sgpr_private_segment_size 0
		.amdhsa_uses_dynamic_stack 0
		.amdhsa_system_sgpr_private_segment_wavefront_offset 0
		.amdhsa_system_sgpr_workgroup_id_x 1
		.amdhsa_system_sgpr_workgroup_id_y 0
		.amdhsa_system_sgpr_workgroup_id_z 0
		.amdhsa_system_sgpr_workgroup_info 0
		.amdhsa_system_vgpr_workitem_id 0
		.amdhsa_next_free_vgpr 1
		.amdhsa_next_free_sgpr 0
		.amdhsa_accum_offset 4
		.amdhsa_reserve_vcc 0
		.amdhsa_reserve_flat_scratch 0
		.amdhsa_float_round_mode_32 0
		.amdhsa_float_round_mode_16_64 0
		.amdhsa_float_denorm_mode_32 3
		.amdhsa_float_denorm_mode_16_64 3
		.amdhsa_dx10_clamp 1
		.amdhsa_ieee_mode 1
		.amdhsa_fp16_overflow 0
		.amdhsa_tg_split 0
		.amdhsa_exception_fp_ieee_invalid_op 0
		.amdhsa_exception_fp_denorm_src 0
		.amdhsa_exception_fp_ieee_div_zero 0
		.amdhsa_exception_fp_ieee_overflow 0
		.amdhsa_exception_fp_ieee_underflow 0
		.amdhsa_exception_fp_ieee_inexact 0
		.amdhsa_exception_int_div_zero 0
	.end_amdhsa_kernel
	.section	.text._ZN7rocprim17ROCPRIM_400000_NS6detail17trampoline_kernelINS0_14default_configENS1_22reduce_config_selectorIN6thrust23THRUST_200600_302600_NS5tupleIblNS6_9null_typeES8_S8_S8_S8_S8_S8_S8_EEEEZNS1_11reduce_implILb1ES3_NS6_12zip_iteratorINS7_INS6_11hip_rocprim26transform_input_iterator_tIbNSD_35transform_pair_of_input_iterators_tIbNS6_6detail15normal_iteratorINS6_10device_ptrIKjEEEESL_NS6_8equal_toIjEEEENSG_9not_fun_tINSD_8identityEEEEENSD_19counting_iterator_tIlEES8_S8_S8_S8_S8_S8_S8_S8_EEEEPS9_S9_NSD_9__find_if7functorIS9_EEEE10hipError_tPvRmT1_T2_T3_mT4_P12ihipStream_tbEUlT_E0_NS1_11comp_targetILNS1_3genE10ELNS1_11target_archE1201ELNS1_3gpuE5ELNS1_3repE0EEENS1_30default_config_static_selectorELNS0_4arch9wavefront6targetE1EEEvS14_,"axG",@progbits,_ZN7rocprim17ROCPRIM_400000_NS6detail17trampoline_kernelINS0_14default_configENS1_22reduce_config_selectorIN6thrust23THRUST_200600_302600_NS5tupleIblNS6_9null_typeES8_S8_S8_S8_S8_S8_S8_EEEEZNS1_11reduce_implILb1ES3_NS6_12zip_iteratorINS7_INS6_11hip_rocprim26transform_input_iterator_tIbNSD_35transform_pair_of_input_iterators_tIbNS6_6detail15normal_iteratorINS6_10device_ptrIKjEEEESL_NS6_8equal_toIjEEEENSG_9not_fun_tINSD_8identityEEEEENSD_19counting_iterator_tIlEES8_S8_S8_S8_S8_S8_S8_S8_EEEEPS9_S9_NSD_9__find_if7functorIS9_EEEE10hipError_tPvRmT1_T2_T3_mT4_P12ihipStream_tbEUlT_E0_NS1_11comp_targetILNS1_3genE10ELNS1_11target_archE1201ELNS1_3gpuE5ELNS1_3repE0EEENS1_30default_config_static_selectorELNS0_4arch9wavefront6targetE1EEEvS14_,comdat
.Lfunc_end156:
	.size	_ZN7rocprim17ROCPRIM_400000_NS6detail17trampoline_kernelINS0_14default_configENS1_22reduce_config_selectorIN6thrust23THRUST_200600_302600_NS5tupleIblNS6_9null_typeES8_S8_S8_S8_S8_S8_S8_EEEEZNS1_11reduce_implILb1ES3_NS6_12zip_iteratorINS7_INS6_11hip_rocprim26transform_input_iterator_tIbNSD_35transform_pair_of_input_iterators_tIbNS6_6detail15normal_iteratorINS6_10device_ptrIKjEEEESL_NS6_8equal_toIjEEEENSG_9not_fun_tINSD_8identityEEEEENSD_19counting_iterator_tIlEES8_S8_S8_S8_S8_S8_S8_S8_EEEEPS9_S9_NSD_9__find_if7functorIS9_EEEE10hipError_tPvRmT1_T2_T3_mT4_P12ihipStream_tbEUlT_E0_NS1_11comp_targetILNS1_3genE10ELNS1_11target_archE1201ELNS1_3gpuE5ELNS1_3repE0EEENS1_30default_config_static_selectorELNS0_4arch9wavefront6targetE1EEEvS14_, .Lfunc_end156-_ZN7rocprim17ROCPRIM_400000_NS6detail17trampoline_kernelINS0_14default_configENS1_22reduce_config_selectorIN6thrust23THRUST_200600_302600_NS5tupleIblNS6_9null_typeES8_S8_S8_S8_S8_S8_S8_EEEEZNS1_11reduce_implILb1ES3_NS6_12zip_iteratorINS7_INS6_11hip_rocprim26transform_input_iterator_tIbNSD_35transform_pair_of_input_iterators_tIbNS6_6detail15normal_iteratorINS6_10device_ptrIKjEEEESL_NS6_8equal_toIjEEEENSG_9not_fun_tINSD_8identityEEEEENSD_19counting_iterator_tIlEES8_S8_S8_S8_S8_S8_S8_S8_EEEEPS9_S9_NSD_9__find_if7functorIS9_EEEE10hipError_tPvRmT1_T2_T3_mT4_P12ihipStream_tbEUlT_E0_NS1_11comp_targetILNS1_3genE10ELNS1_11target_archE1201ELNS1_3gpuE5ELNS1_3repE0EEENS1_30default_config_static_selectorELNS0_4arch9wavefront6targetE1EEEvS14_
                                        ; -- End function
	.section	.AMDGPU.csdata,"",@progbits
; Kernel info:
; codeLenInByte = 0
; NumSgprs: 4
; NumVgprs: 0
; NumAgprs: 0
; TotalNumVgprs: 0
; ScratchSize: 0
; MemoryBound: 0
; FloatMode: 240
; IeeeMode: 1
; LDSByteSize: 0 bytes/workgroup (compile time only)
; SGPRBlocks: 0
; VGPRBlocks: 0
; NumSGPRsForWavesPerEU: 4
; NumVGPRsForWavesPerEU: 1
; AccumOffset: 4
; Occupancy: 8
; WaveLimiterHint : 0
; COMPUTE_PGM_RSRC2:SCRATCH_EN: 0
; COMPUTE_PGM_RSRC2:USER_SGPR: 6
; COMPUTE_PGM_RSRC2:TRAP_HANDLER: 0
; COMPUTE_PGM_RSRC2:TGID_X_EN: 1
; COMPUTE_PGM_RSRC2:TGID_Y_EN: 0
; COMPUTE_PGM_RSRC2:TGID_Z_EN: 0
; COMPUTE_PGM_RSRC2:TIDIG_COMP_CNT: 0
; COMPUTE_PGM_RSRC3_GFX90A:ACCUM_OFFSET: 0
; COMPUTE_PGM_RSRC3_GFX90A:TG_SPLIT: 0
	.section	.text._ZN7rocprim17ROCPRIM_400000_NS6detail17trampoline_kernelINS0_14default_configENS1_22reduce_config_selectorIN6thrust23THRUST_200600_302600_NS5tupleIblNS6_9null_typeES8_S8_S8_S8_S8_S8_S8_EEEEZNS1_11reduce_implILb1ES3_NS6_12zip_iteratorINS7_INS6_11hip_rocprim26transform_input_iterator_tIbNSD_35transform_pair_of_input_iterators_tIbNS6_6detail15normal_iteratorINS6_10device_ptrIKjEEEESL_NS6_8equal_toIjEEEENSG_9not_fun_tINSD_8identityEEEEENSD_19counting_iterator_tIlEES8_S8_S8_S8_S8_S8_S8_S8_EEEEPS9_S9_NSD_9__find_if7functorIS9_EEEE10hipError_tPvRmT1_T2_T3_mT4_P12ihipStream_tbEUlT_E0_NS1_11comp_targetILNS1_3genE10ELNS1_11target_archE1200ELNS1_3gpuE4ELNS1_3repE0EEENS1_30default_config_static_selectorELNS0_4arch9wavefront6targetE1EEEvS14_,"axG",@progbits,_ZN7rocprim17ROCPRIM_400000_NS6detail17trampoline_kernelINS0_14default_configENS1_22reduce_config_selectorIN6thrust23THRUST_200600_302600_NS5tupleIblNS6_9null_typeES8_S8_S8_S8_S8_S8_S8_EEEEZNS1_11reduce_implILb1ES3_NS6_12zip_iteratorINS7_INS6_11hip_rocprim26transform_input_iterator_tIbNSD_35transform_pair_of_input_iterators_tIbNS6_6detail15normal_iteratorINS6_10device_ptrIKjEEEESL_NS6_8equal_toIjEEEENSG_9not_fun_tINSD_8identityEEEEENSD_19counting_iterator_tIlEES8_S8_S8_S8_S8_S8_S8_S8_EEEEPS9_S9_NSD_9__find_if7functorIS9_EEEE10hipError_tPvRmT1_T2_T3_mT4_P12ihipStream_tbEUlT_E0_NS1_11comp_targetILNS1_3genE10ELNS1_11target_archE1200ELNS1_3gpuE4ELNS1_3repE0EEENS1_30default_config_static_selectorELNS0_4arch9wavefront6targetE1EEEvS14_,comdat
	.protected	_ZN7rocprim17ROCPRIM_400000_NS6detail17trampoline_kernelINS0_14default_configENS1_22reduce_config_selectorIN6thrust23THRUST_200600_302600_NS5tupleIblNS6_9null_typeES8_S8_S8_S8_S8_S8_S8_EEEEZNS1_11reduce_implILb1ES3_NS6_12zip_iteratorINS7_INS6_11hip_rocprim26transform_input_iterator_tIbNSD_35transform_pair_of_input_iterators_tIbNS6_6detail15normal_iteratorINS6_10device_ptrIKjEEEESL_NS6_8equal_toIjEEEENSG_9not_fun_tINSD_8identityEEEEENSD_19counting_iterator_tIlEES8_S8_S8_S8_S8_S8_S8_S8_EEEEPS9_S9_NSD_9__find_if7functorIS9_EEEE10hipError_tPvRmT1_T2_T3_mT4_P12ihipStream_tbEUlT_E0_NS1_11comp_targetILNS1_3genE10ELNS1_11target_archE1200ELNS1_3gpuE4ELNS1_3repE0EEENS1_30default_config_static_selectorELNS0_4arch9wavefront6targetE1EEEvS14_ ; -- Begin function _ZN7rocprim17ROCPRIM_400000_NS6detail17trampoline_kernelINS0_14default_configENS1_22reduce_config_selectorIN6thrust23THRUST_200600_302600_NS5tupleIblNS6_9null_typeES8_S8_S8_S8_S8_S8_S8_EEEEZNS1_11reduce_implILb1ES3_NS6_12zip_iteratorINS7_INS6_11hip_rocprim26transform_input_iterator_tIbNSD_35transform_pair_of_input_iterators_tIbNS6_6detail15normal_iteratorINS6_10device_ptrIKjEEEESL_NS6_8equal_toIjEEEENSG_9not_fun_tINSD_8identityEEEEENSD_19counting_iterator_tIlEES8_S8_S8_S8_S8_S8_S8_S8_EEEEPS9_S9_NSD_9__find_if7functorIS9_EEEE10hipError_tPvRmT1_T2_T3_mT4_P12ihipStream_tbEUlT_E0_NS1_11comp_targetILNS1_3genE10ELNS1_11target_archE1200ELNS1_3gpuE4ELNS1_3repE0EEENS1_30default_config_static_selectorELNS0_4arch9wavefront6targetE1EEEvS14_
	.globl	_ZN7rocprim17ROCPRIM_400000_NS6detail17trampoline_kernelINS0_14default_configENS1_22reduce_config_selectorIN6thrust23THRUST_200600_302600_NS5tupleIblNS6_9null_typeES8_S8_S8_S8_S8_S8_S8_EEEEZNS1_11reduce_implILb1ES3_NS6_12zip_iteratorINS7_INS6_11hip_rocprim26transform_input_iterator_tIbNSD_35transform_pair_of_input_iterators_tIbNS6_6detail15normal_iteratorINS6_10device_ptrIKjEEEESL_NS6_8equal_toIjEEEENSG_9not_fun_tINSD_8identityEEEEENSD_19counting_iterator_tIlEES8_S8_S8_S8_S8_S8_S8_S8_EEEEPS9_S9_NSD_9__find_if7functorIS9_EEEE10hipError_tPvRmT1_T2_T3_mT4_P12ihipStream_tbEUlT_E0_NS1_11comp_targetILNS1_3genE10ELNS1_11target_archE1200ELNS1_3gpuE4ELNS1_3repE0EEENS1_30default_config_static_selectorELNS0_4arch9wavefront6targetE1EEEvS14_
	.p2align	8
	.type	_ZN7rocprim17ROCPRIM_400000_NS6detail17trampoline_kernelINS0_14default_configENS1_22reduce_config_selectorIN6thrust23THRUST_200600_302600_NS5tupleIblNS6_9null_typeES8_S8_S8_S8_S8_S8_S8_EEEEZNS1_11reduce_implILb1ES3_NS6_12zip_iteratorINS7_INS6_11hip_rocprim26transform_input_iterator_tIbNSD_35transform_pair_of_input_iterators_tIbNS6_6detail15normal_iteratorINS6_10device_ptrIKjEEEESL_NS6_8equal_toIjEEEENSG_9not_fun_tINSD_8identityEEEEENSD_19counting_iterator_tIlEES8_S8_S8_S8_S8_S8_S8_S8_EEEEPS9_S9_NSD_9__find_if7functorIS9_EEEE10hipError_tPvRmT1_T2_T3_mT4_P12ihipStream_tbEUlT_E0_NS1_11comp_targetILNS1_3genE10ELNS1_11target_archE1200ELNS1_3gpuE4ELNS1_3repE0EEENS1_30default_config_static_selectorELNS0_4arch9wavefront6targetE1EEEvS14_,@function
_ZN7rocprim17ROCPRIM_400000_NS6detail17trampoline_kernelINS0_14default_configENS1_22reduce_config_selectorIN6thrust23THRUST_200600_302600_NS5tupleIblNS6_9null_typeES8_S8_S8_S8_S8_S8_S8_EEEEZNS1_11reduce_implILb1ES3_NS6_12zip_iteratorINS7_INS6_11hip_rocprim26transform_input_iterator_tIbNSD_35transform_pair_of_input_iterators_tIbNS6_6detail15normal_iteratorINS6_10device_ptrIKjEEEESL_NS6_8equal_toIjEEEENSG_9not_fun_tINSD_8identityEEEEENSD_19counting_iterator_tIlEES8_S8_S8_S8_S8_S8_S8_S8_EEEEPS9_S9_NSD_9__find_if7functorIS9_EEEE10hipError_tPvRmT1_T2_T3_mT4_P12ihipStream_tbEUlT_E0_NS1_11comp_targetILNS1_3genE10ELNS1_11target_archE1200ELNS1_3gpuE4ELNS1_3repE0EEENS1_30default_config_static_selectorELNS0_4arch9wavefront6targetE1EEEvS14_: ; @_ZN7rocprim17ROCPRIM_400000_NS6detail17trampoline_kernelINS0_14default_configENS1_22reduce_config_selectorIN6thrust23THRUST_200600_302600_NS5tupleIblNS6_9null_typeES8_S8_S8_S8_S8_S8_S8_EEEEZNS1_11reduce_implILb1ES3_NS6_12zip_iteratorINS7_INS6_11hip_rocprim26transform_input_iterator_tIbNSD_35transform_pair_of_input_iterators_tIbNS6_6detail15normal_iteratorINS6_10device_ptrIKjEEEESL_NS6_8equal_toIjEEEENSG_9not_fun_tINSD_8identityEEEEENSD_19counting_iterator_tIlEES8_S8_S8_S8_S8_S8_S8_S8_EEEEPS9_S9_NSD_9__find_if7functorIS9_EEEE10hipError_tPvRmT1_T2_T3_mT4_P12ihipStream_tbEUlT_E0_NS1_11comp_targetILNS1_3genE10ELNS1_11target_archE1200ELNS1_3gpuE4ELNS1_3repE0EEENS1_30default_config_static_selectorELNS0_4arch9wavefront6targetE1EEEvS14_
; %bb.0:
	.section	.rodata,"a",@progbits
	.p2align	6, 0x0
	.amdhsa_kernel _ZN7rocprim17ROCPRIM_400000_NS6detail17trampoline_kernelINS0_14default_configENS1_22reduce_config_selectorIN6thrust23THRUST_200600_302600_NS5tupleIblNS6_9null_typeES8_S8_S8_S8_S8_S8_S8_EEEEZNS1_11reduce_implILb1ES3_NS6_12zip_iteratorINS7_INS6_11hip_rocprim26transform_input_iterator_tIbNSD_35transform_pair_of_input_iterators_tIbNS6_6detail15normal_iteratorINS6_10device_ptrIKjEEEESL_NS6_8equal_toIjEEEENSG_9not_fun_tINSD_8identityEEEEENSD_19counting_iterator_tIlEES8_S8_S8_S8_S8_S8_S8_S8_EEEEPS9_S9_NSD_9__find_if7functorIS9_EEEE10hipError_tPvRmT1_T2_T3_mT4_P12ihipStream_tbEUlT_E0_NS1_11comp_targetILNS1_3genE10ELNS1_11target_archE1200ELNS1_3gpuE4ELNS1_3repE0EEENS1_30default_config_static_selectorELNS0_4arch9wavefront6targetE1EEEvS14_
		.amdhsa_group_segment_fixed_size 0
		.amdhsa_private_segment_fixed_size 0
		.amdhsa_kernarg_size 104
		.amdhsa_user_sgpr_count 6
		.amdhsa_user_sgpr_private_segment_buffer 1
		.amdhsa_user_sgpr_dispatch_ptr 0
		.amdhsa_user_sgpr_queue_ptr 0
		.amdhsa_user_sgpr_kernarg_segment_ptr 1
		.amdhsa_user_sgpr_dispatch_id 0
		.amdhsa_user_sgpr_flat_scratch_init 0
		.amdhsa_user_sgpr_kernarg_preload_length 0
		.amdhsa_user_sgpr_kernarg_preload_offset 0
		.amdhsa_user_sgpr_private_segment_size 0
		.amdhsa_uses_dynamic_stack 0
		.amdhsa_system_sgpr_private_segment_wavefront_offset 0
		.amdhsa_system_sgpr_workgroup_id_x 1
		.amdhsa_system_sgpr_workgroup_id_y 0
		.amdhsa_system_sgpr_workgroup_id_z 0
		.amdhsa_system_sgpr_workgroup_info 0
		.amdhsa_system_vgpr_workitem_id 0
		.amdhsa_next_free_vgpr 1
		.amdhsa_next_free_sgpr 0
		.amdhsa_accum_offset 4
		.amdhsa_reserve_vcc 0
		.amdhsa_reserve_flat_scratch 0
		.amdhsa_float_round_mode_32 0
		.amdhsa_float_round_mode_16_64 0
		.amdhsa_float_denorm_mode_32 3
		.amdhsa_float_denorm_mode_16_64 3
		.amdhsa_dx10_clamp 1
		.amdhsa_ieee_mode 1
		.amdhsa_fp16_overflow 0
		.amdhsa_tg_split 0
		.amdhsa_exception_fp_ieee_invalid_op 0
		.amdhsa_exception_fp_denorm_src 0
		.amdhsa_exception_fp_ieee_div_zero 0
		.amdhsa_exception_fp_ieee_overflow 0
		.amdhsa_exception_fp_ieee_underflow 0
		.amdhsa_exception_fp_ieee_inexact 0
		.amdhsa_exception_int_div_zero 0
	.end_amdhsa_kernel
	.section	.text._ZN7rocprim17ROCPRIM_400000_NS6detail17trampoline_kernelINS0_14default_configENS1_22reduce_config_selectorIN6thrust23THRUST_200600_302600_NS5tupleIblNS6_9null_typeES8_S8_S8_S8_S8_S8_S8_EEEEZNS1_11reduce_implILb1ES3_NS6_12zip_iteratorINS7_INS6_11hip_rocprim26transform_input_iterator_tIbNSD_35transform_pair_of_input_iterators_tIbNS6_6detail15normal_iteratorINS6_10device_ptrIKjEEEESL_NS6_8equal_toIjEEEENSG_9not_fun_tINSD_8identityEEEEENSD_19counting_iterator_tIlEES8_S8_S8_S8_S8_S8_S8_S8_EEEEPS9_S9_NSD_9__find_if7functorIS9_EEEE10hipError_tPvRmT1_T2_T3_mT4_P12ihipStream_tbEUlT_E0_NS1_11comp_targetILNS1_3genE10ELNS1_11target_archE1200ELNS1_3gpuE4ELNS1_3repE0EEENS1_30default_config_static_selectorELNS0_4arch9wavefront6targetE1EEEvS14_,"axG",@progbits,_ZN7rocprim17ROCPRIM_400000_NS6detail17trampoline_kernelINS0_14default_configENS1_22reduce_config_selectorIN6thrust23THRUST_200600_302600_NS5tupleIblNS6_9null_typeES8_S8_S8_S8_S8_S8_S8_EEEEZNS1_11reduce_implILb1ES3_NS6_12zip_iteratorINS7_INS6_11hip_rocprim26transform_input_iterator_tIbNSD_35transform_pair_of_input_iterators_tIbNS6_6detail15normal_iteratorINS6_10device_ptrIKjEEEESL_NS6_8equal_toIjEEEENSG_9not_fun_tINSD_8identityEEEEENSD_19counting_iterator_tIlEES8_S8_S8_S8_S8_S8_S8_S8_EEEEPS9_S9_NSD_9__find_if7functorIS9_EEEE10hipError_tPvRmT1_T2_T3_mT4_P12ihipStream_tbEUlT_E0_NS1_11comp_targetILNS1_3genE10ELNS1_11target_archE1200ELNS1_3gpuE4ELNS1_3repE0EEENS1_30default_config_static_selectorELNS0_4arch9wavefront6targetE1EEEvS14_,comdat
.Lfunc_end157:
	.size	_ZN7rocprim17ROCPRIM_400000_NS6detail17trampoline_kernelINS0_14default_configENS1_22reduce_config_selectorIN6thrust23THRUST_200600_302600_NS5tupleIblNS6_9null_typeES8_S8_S8_S8_S8_S8_S8_EEEEZNS1_11reduce_implILb1ES3_NS6_12zip_iteratorINS7_INS6_11hip_rocprim26transform_input_iterator_tIbNSD_35transform_pair_of_input_iterators_tIbNS6_6detail15normal_iteratorINS6_10device_ptrIKjEEEESL_NS6_8equal_toIjEEEENSG_9not_fun_tINSD_8identityEEEEENSD_19counting_iterator_tIlEES8_S8_S8_S8_S8_S8_S8_S8_EEEEPS9_S9_NSD_9__find_if7functorIS9_EEEE10hipError_tPvRmT1_T2_T3_mT4_P12ihipStream_tbEUlT_E0_NS1_11comp_targetILNS1_3genE10ELNS1_11target_archE1200ELNS1_3gpuE4ELNS1_3repE0EEENS1_30default_config_static_selectorELNS0_4arch9wavefront6targetE1EEEvS14_, .Lfunc_end157-_ZN7rocprim17ROCPRIM_400000_NS6detail17trampoline_kernelINS0_14default_configENS1_22reduce_config_selectorIN6thrust23THRUST_200600_302600_NS5tupleIblNS6_9null_typeES8_S8_S8_S8_S8_S8_S8_EEEEZNS1_11reduce_implILb1ES3_NS6_12zip_iteratorINS7_INS6_11hip_rocprim26transform_input_iterator_tIbNSD_35transform_pair_of_input_iterators_tIbNS6_6detail15normal_iteratorINS6_10device_ptrIKjEEEESL_NS6_8equal_toIjEEEENSG_9not_fun_tINSD_8identityEEEEENSD_19counting_iterator_tIlEES8_S8_S8_S8_S8_S8_S8_S8_EEEEPS9_S9_NSD_9__find_if7functorIS9_EEEE10hipError_tPvRmT1_T2_T3_mT4_P12ihipStream_tbEUlT_E0_NS1_11comp_targetILNS1_3genE10ELNS1_11target_archE1200ELNS1_3gpuE4ELNS1_3repE0EEENS1_30default_config_static_selectorELNS0_4arch9wavefront6targetE1EEEvS14_
                                        ; -- End function
	.section	.AMDGPU.csdata,"",@progbits
; Kernel info:
; codeLenInByte = 0
; NumSgprs: 4
; NumVgprs: 0
; NumAgprs: 0
; TotalNumVgprs: 0
; ScratchSize: 0
; MemoryBound: 0
; FloatMode: 240
; IeeeMode: 1
; LDSByteSize: 0 bytes/workgroup (compile time only)
; SGPRBlocks: 0
; VGPRBlocks: 0
; NumSGPRsForWavesPerEU: 4
; NumVGPRsForWavesPerEU: 1
; AccumOffset: 4
; Occupancy: 8
; WaveLimiterHint : 0
; COMPUTE_PGM_RSRC2:SCRATCH_EN: 0
; COMPUTE_PGM_RSRC2:USER_SGPR: 6
; COMPUTE_PGM_RSRC2:TRAP_HANDLER: 0
; COMPUTE_PGM_RSRC2:TGID_X_EN: 1
; COMPUTE_PGM_RSRC2:TGID_Y_EN: 0
; COMPUTE_PGM_RSRC2:TGID_Z_EN: 0
; COMPUTE_PGM_RSRC2:TIDIG_COMP_CNT: 0
; COMPUTE_PGM_RSRC3_GFX90A:ACCUM_OFFSET: 0
; COMPUTE_PGM_RSRC3_GFX90A:TG_SPLIT: 0
	.section	.text._ZN7rocprim17ROCPRIM_400000_NS6detail17trampoline_kernelINS0_14default_configENS1_22reduce_config_selectorIN6thrust23THRUST_200600_302600_NS5tupleIblNS6_9null_typeES8_S8_S8_S8_S8_S8_S8_EEEEZNS1_11reduce_implILb1ES3_NS6_12zip_iteratorINS7_INS6_11hip_rocprim26transform_input_iterator_tIbNSD_35transform_pair_of_input_iterators_tIbNS6_6detail15normal_iteratorINS6_10device_ptrIKjEEEESL_NS6_8equal_toIjEEEENSG_9not_fun_tINSD_8identityEEEEENSD_19counting_iterator_tIlEES8_S8_S8_S8_S8_S8_S8_S8_EEEEPS9_S9_NSD_9__find_if7functorIS9_EEEE10hipError_tPvRmT1_T2_T3_mT4_P12ihipStream_tbEUlT_E0_NS1_11comp_targetILNS1_3genE9ELNS1_11target_archE1100ELNS1_3gpuE3ELNS1_3repE0EEENS1_30default_config_static_selectorELNS0_4arch9wavefront6targetE1EEEvS14_,"axG",@progbits,_ZN7rocprim17ROCPRIM_400000_NS6detail17trampoline_kernelINS0_14default_configENS1_22reduce_config_selectorIN6thrust23THRUST_200600_302600_NS5tupleIblNS6_9null_typeES8_S8_S8_S8_S8_S8_S8_EEEEZNS1_11reduce_implILb1ES3_NS6_12zip_iteratorINS7_INS6_11hip_rocprim26transform_input_iterator_tIbNSD_35transform_pair_of_input_iterators_tIbNS6_6detail15normal_iteratorINS6_10device_ptrIKjEEEESL_NS6_8equal_toIjEEEENSG_9not_fun_tINSD_8identityEEEEENSD_19counting_iterator_tIlEES8_S8_S8_S8_S8_S8_S8_S8_EEEEPS9_S9_NSD_9__find_if7functorIS9_EEEE10hipError_tPvRmT1_T2_T3_mT4_P12ihipStream_tbEUlT_E0_NS1_11comp_targetILNS1_3genE9ELNS1_11target_archE1100ELNS1_3gpuE3ELNS1_3repE0EEENS1_30default_config_static_selectorELNS0_4arch9wavefront6targetE1EEEvS14_,comdat
	.protected	_ZN7rocprim17ROCPRIM_400000_NS6detail17trampoline_kernelINS0_14default_configENS1_22reduce_config_selectorIN6thrust23THRUST_200600_302600_NS5tupleIblNS6_9null_typeES8_S8_S8_S8_S8_S8_S8_EEEEZNS1_11reduce_implILb1ES3_NS6_12zip_iteratorINS7_INS6_11hip_rocprim26transform_input_iterator_tIbNSD_35transform_pair_of_input_iterators_tIbNS6_6detail15normal_iteratorINS6_10device_ptrIKjEEEESL_NS6_8equal_toIjEEEENSG_9not_fun_tINSD_8identityEEEEENSD_19counting_iterator_tIlEES8_S8_S8_S8_S8_S8_S8_S8_EEEEPS9_S9_NSD_9__find_if7functorIS9_EEEE10hipError_tPvRmT1_T2_T3_mT4_P12ihipStream_tbEUlT_E0_NS1_11comp_targetILNS1_3genE9ELNS1_11target_archE1100ELNS1_3gpuE3ELNS1_3repE0EEENS1_30default_config_static_selectorELNS0_4arch9wavefront6targetE1EEEvS14_ ; -- Begin function _ZN7rocprim17ROCPRIM_400000_NS6detail17trampoline_kernelINS0_14default_configENS1_22reduce_config_selectorIN6thrust23THRUST_200600_302600_NS5tupleIblNS6_9null_typeES8_S8_S8_S8_S8_S8_S8_EEEEZNS1_11reduce_implILb1ES3_NS6_12zip_iteratorINS7_INS6_11hip_rocprim26transform_input_iterator_tIbNSD_35transform_pair_of_input_iterators_tIbNS6_6detail15normal_iteratorINS6_10device_ptrIKjEEEESL_NS6_8equal_toIjEEEENSG_9not_fun_tINSD_8identityEEEEENSD_19counting_iterator_tIlEES8_S8_S8_S8_S8_S8_S8_S8_EEEEPS9_S9_NSD_9__find_if7functorIS9_EEEE10hipError_tPvRmT1_T2_T3_mT4_P12ihipStream_tbEUlT_E0_NS1_11comp_targetILNS1_3genE9ELNS1_11target_archE1100ELNS1_3gpuE3ELNS1_3repE0EEENS1_30default_config_static_selectorELNS0_4arch9wavefront6targetE1EEEvS14_
	.globl	_ZN7rocprim17ROCPRIM_400000_NS6detail17trampoline_kernelINS0_14default_configENS1_22reduce_config_selectorIN6thrust23THRUST_200600_302600_NS5tupleIblNS6_9null_typeES8_S8_S8_S8_S8_S8_S8_EEEEZNS1_11reduce_implILb1ES3_NS6_12zip_iteratorINS7_INS6_11hip_rocprim26transform_input_iterator_tIbNSD_35transform_pair_of_input_iterators_tIbNS6_6detail15normal_iteratorINS6_10device_ptrIKjEEEESL_NS6_8equal_toIjEEEENSG_9not_fun_tINSD_8identityEEEEENSD_19counting_iterator_tIlEES8_S8_S8_S8_S8_S8_S8_S8_EEEEPS9_S9_NSD_9__find_if7functorIS9_EEEE10hipError_tPvRmT1_T2_T3_mT4_P12ihipStream_tbEUlT_E0_NS1_11comp_targetILNS1_3genE9ELNS1_11target_archE1100ELNS1_3gpuE3ELNS1_3repE0EEENS1_30default_config_static_selectorELNS0_4arch9wavefront6targetE1EEEvS14_
	.p2align	8
	.type	_ZN7rocprim17ROCPRIM_400000_NS6detail17trampoline_kernelINS0_14default_configENS1_22reduce_config_selectorIN6thrust23THRUST_200600_302600_NS5tupleIblNS6_9null_typeES8_S8_S8_S8_S8_S8_S8_EEEEZNS1_11reduce_implILb1ES3_NS6_12zip_iteratorINS7_INS6_11hip_rocprim26transform_input_iterator_tIbNSD_35transform_pair_of_input_iterators_tIbNS6_6detail15normal_iteratorINS6_10device_ptrIKjEEEESL_NS6_8equal_toIjEEEENSG_9not_fun_tINSD_8identityEEEEENSD_19counting_iterator_tIlEES8_S8_S8_S8_S8_S8_S8_S8_EEEEPS9_S9_NSD_9__find_if7functorIS9_EEEE10hipError_tPvRmT1_T2_T3_mT4_P12ihipStream_tbEUlT_E0_NS1_11comp_targetILNS1_3genE9ELNS1_11target_archE1100ELNS1_3gpuE3ELNS1_3repE0EEENS1_30default_config_static_selectorELNS0_4arch9wavefront6targetE1EEEvS14_,@function
_ZN7rocprim17ROCPRIM_400000_NS6detail17trampoline_kernelINS0_14default_configENS1_22reduce_config_selectorIN6thrust23THRUST_200600_302600_NS5tupleIblNS6_9null_typeES8_S8_S8_S8_S8_S8_S8_EEEEZNS1_11reduce_implILb1ES3_NS6_12zip_iteratorINS7_INS6_11hip_rocprim26transform_input_iterator_tIbNSD_35transform_pair_of_input_iterators_tIbNS6_6detail15normal_iteratorINS6_10device_ptrIKjEEEESL_NS6_8equal_toIjEEEENSG_9not_fun_tINSD_8identityEEEEENSD_19counting_iterator_tIlEES8_S8_S8_S8_S8_S8_S8_S8_EEEEPS9_S9_NSD_9__find_if7functorIS9_EEEE10hipError_tPvRmT1_T2_T3_mT4_P12ihipStream_tbEUlT_E0_NS1_11comp_targetILNS1_3genE9ELNS1_11target_archE1100ELNS1_3gpuE3ELNS1_3repE0EEENS1_30default_config_static_selectorELNS0_4arch9wavefront6targetE1EEEvS14_: ; @_ZN7rocprim17ROCPRIM_400000_NS6detail17trampoline_kernelINS0_14default_configENS1_22reduce_config_selectorIN6thrust23THRUST_200600_302600_NS5tupleIblNS6_9null_typeES8_S8_S8_S8_S8_S8_S8_EEEEZNS1_11reduce_implILb1ES3_NS6_12zip_iteratorINS7_INS6_11hip_rocprim26transform_input_iterator_tIbNSD_35transform_pair_of_input_iterators_tIbNS6_6detail15normal_iteratorINS6_10device_ptrIKjEEEESL_NS6_8equal_toIjEEEENSG_9not_fun_tINSD_8identityEEEEENSD_19counting_iterator_tIlEES8_S8_S8_S8_S8_S8_S8_S8_EEEEPS9_S9_NSD_9__find_if7functorIS9_EEEE10hipError_tPvRmT1_T2_T3_mT4_P12ihipStream_tbEUlT_E0_NS1_11comp_targetILNS1_3genE9ELNS1_11target_archE1100ELNS1_3gpuE3ELNS1_3repE0EEENS1_30default_config_static_selectorELNS0_4arch9wavefront6targetE1EEEvS14_
; %bb.0:
	.section	.rodata,"a",@progbits
	.p2align	6, 0x0
	.amdhsa_kernel _ZN7rocprim17ROCPRIM_400000_NS6detail17trampoline_kernelINS0_14default_configENS1_22reduce_config_selectorIN6thrust23THRUST_200600_302600_NS5tupleIblNS6_9null_typeES8_S8_S8_S8_S8_S8_S8_EEEEZNS1_11reduce_implILb1ES3_NS6_12zip_iteratorINS7_INS6_11hip_rocprim26transform_input_iterator_tIbNSD_35transform_pair_of_input_iterators_tIbNS6_6detail15normal_iteratorINS6_10device_ptrIKjEEEESL_NS6_8equal_toIjEEEENSG_9not_fun_tINSD_8identityEEEEENSD_19counting_iterator_tIlEES8_S8_S8_S8_S8_S8_S8_S8_EEEEPS9_S9_NSD_9__find_if7functorIS9_EEEE10hipError_tPvRmT1_T2_T3_mT4_P12ihipStream_tbEUlT_E0_NS1_11comp_targetILNS1_3genE9ELNS1_11target_archE1100ELNS1_3gpuE3ELNS1_3repE0EEENS1_30default_config_static_selectorELNS0_4arch9wavefront6targetE1EEEvS14_
		.amdhsa_group_segment_fixed_size 0
		.amdhsa_private_segment_fixed_size 0
		.amdhsa_kernarg_size 104
		.amdhsa_user_sgpr_count 6
		.amdhsa_user_sgpr_private_segment_buffer 1
		.amdhsa_user_sgpr_dispatch_ptr 0
		.amdhsa_user_sgpr_queue_ptr 0
		.amdhsa_user_sgpr_kernarg_segment_ptr 1
		.amdhsa_user_sgpr_dispatch_id 0
		.amdhsa_user_sgpr_flat_scratch_init 0
		.amdhsa_user_sgpr_kernarg_preload_length 0
		.amdhsa_user_sgpr_kernarg_preload_offset 0
		.amdhsa_user_sgpr_private_segment_size 0
		.amdhsa_uses_dynamic_stack 0
		.amdhsa_system_sgpr_private_segment_wavefront_offset 0
		.amdhsa_system_sgpr_workgroup_id_x 1
		.amdhsa_system_sgpr_workgroup_id_y 0
		.amdhsa_system_sgpr_workgroup_id_z 0
		.amdhsa_system_sgpr_workgroup_info 0
		.amdhsa_system_vgpr_workitem_id 0
		.amdhsa_next_free_vgpr 1
		.amdhsa_next_free_sgpr 0
		.amdhsa_accum_offset 4
		.amdhsa_reserve_vcc 0
		.amdhsa_reserve_flat_scratch 0
		.amdhsa_float_round_mode_32 0
		.amdhsa_float_round_mode_16_64 0
		.amdhsa_float_denorm_mode_32 3
		.amdhsa_float_denorm_mode_16_64 3
		.amdhsa_dx10_clamp 1
		.amdhsa_ieee_mode 1
		.amdhsa_fp16_overflow 0
		.amdhsa_tg_split 0
		.amdhsa_exception_fp_ieee_invalid_op 0
		.amdhsa_exception_fp_denorm_src 0
		.amdhsa_exception_fp_ieee_div_zero 0
		.amdhsa_exception_fp_ieee_overflow 0
		.amdhsa_exception_fp_ieee_underflow 0
		.amdhsa_exception_fp_ieee_inexact 0
		.amdhsa_exception_int_div_zero 0
	.end_amdhsa_kernel
	.section	.text._ZN7rocprim17ROCPRIM_400000_NS6detail17trampoline_kernelINS0_14default_configENS1_22reduce_config_selectorIN6thrust23THRUST_200600_302600_NS5tupleIblNS6_9null_typeES8_S8_S8_S8_S8_S8_S8_EEEEZNS1_11reduce_implILb1ES3_NS6_12zip_iteratorINS7_INS6_11hip_rocprim26transform_input_iterator_tIbNSD_35transform_pair_of_input_iterators_tIbNS6_6detail15normal_iteratorINS6_10device_ptrIKjEEEESL_NS6_8equal_toIjEEEENSG_9not_fun_tINSD_8identityEEEEENSD_19counting_iterator_tIlEES8_S8_S8_S8_S8_S8_S8_S8_EEEEPS9_S9_NSD_9__find_if7functorIS9_EEEE10hipError_tPvRmT1_T2_T3_mT4_P12ihipStream_tbEUlT_E0_NS1_11comp_targetILNS1_3genE9ELNS1_11target_archE1100ELNS1_3gpuE3ELNS1_3repE0EEENS1_30default_config_static_selectorELNS0_4arch9wavefront6targetE1EEEvS14_,"axG",@progbits,_ZN7rocprim17ROCPRIM_400000_NS6detail17trampoline_kernelINS0_14default_configENS1_22reduce_config_selectorIN6thrust23THRUST_200600_302600_NS5tupleIblNS6_9null_typeES8_S8_S8_S8_S8_S8_S8_EEEEZNS1_11reduce_implILb1ES3_NS6_12zip_iteratorINS7_INS6_11hip_rocprim26transform_input_iterator_tIbNSD_35transform_pair_of_input_iterators_tIbNS6_6detail15normal_iteratorINS6_10device_ptrIKjEEEESL_NS6_8equal_toIjEEEENSG_9not_fun_tINSD_8identityEEEEENSD_19counting_iterator_tIlEES8_S8_S8_S8_S8_S8_S8_S8_EEEEPS9_S9_NSD_9__find_if7functorIS9_EEEE10hipError_tPvRmT1_T2_T3_mT4_P12ihipStream_tbEUlT_E0_NS1_11comp_targetILNS1_3genE9ELNS1_11target_archE1100ELNS1_3gpuE3ELNS1_3repE0EEENS1_30default_config_static_selectorELNS0_4arch9wavefront6targetE1EEEvS14_,comdat
.Lfunc_end158:
	.size	_ZN7rocprim17ROCPRIM_400000_NS6detail17trampoline_kernelINS0_14default_configENS1_22reduce_config_selectorIN6thrust23THRUST_200600_302600_NS5tupleIblNS6_9null_typeES8_S8_S8_S8_S8_S8_S8_EEEEZNS1_11reduce_implILb1ES3_NS6_12zip_iteratorINS7_INS6_11hip_rocprim26transform_input_iterator_tIbNSD_35transform_pair_of_input_iterators_tIbNS6_6detail15normal_iteratorINS6_10device_ptrIKjEEEESL_NS6_8equal_toIjEEEENSG_9not_fun_tINSD_8identityEEEEENSD_19counting_iterator_tIlEES8_S8_S8_S8_S8_S8_S8_S8_EEEEPS9_S9_NSD_9__find_if7functorIS9_EEEE10hipError_tPvRmT1_T2_T3_mT4_P12ihipStream_tbEUlT_E0_NS1_11comp_targetILNS1_3genE9ELNS1_11target_archE1100ELNS1_3gpuE3ELNS1_3repE0EEENS1_30default_config_static_selectorELNS0_4arch9wavefront6targetE1EEEvS14_, .Lfunc_end158-_ZN7rocprim17ROCPRIM_400000_NS6detail17trampoline_kernelINS0_14default_configENS1_22reduce_config_selectorIN6thrust23THRUST_200600_302600_NS5tupleIblNS6_9null_typeES8_S8_S8_S8_S8_S8_S8_EEEEZNS1_11reduce_implILb1ES3_NS6_12zip_iteratorINS7_INS6_11hip_rocprim26transform_input_iterator_tIbNSD_35transform_pair_of_input_iterators_tIbNS6_6detail15normal_iteratorINS6_10device_ptrIKjEEEESL_NS6_8equal_toIjEEEENSG_9not_fun_tINSD_8identityEEEEENSD_19counting_iterator_tIlEES8_S8_S8_S8_S8_S8_S8_S8_EEEEPS9_S9_NSD_9__find_if7functorIS9_EEEE10hipError_tPvRmT1_T2_T3_mT4_P12ihipStream_tbEUlT_E0_NS1_11comp_targetILNS1_3genE9ELNS1_11target_archE1100ELNS1_3gpuE3ELNS1_3repE0EEENS1_30default_config_static_selectorELNS0_4arch9wavefront6targetE1EEEvS14_
                                        ; -- End function
	.section	.AMDGPU.csdata,"",@progbits
; Kernel info:
; codeLenInByte = 0
; NumSgprs: 4
; NumVgprs: 0
; NumAgprs: 0
; TotalNumVgprs: 0
; ScratchSize: 0
; MemoryBound: 0
; FloatMode: 240
; IeeeMode: 1
; LDSByteSize: 0 bytes/workgroup (compile time only)
; SGPRBlocks: 0
; VGPRBlocks: 0
; NumSGPRsForWavesPerEU: 4
; NumVGPRsForWavesPerEU: 1
; AccumOffset: 4
; Occupancy: 8
; WaveLimiterHint : 0
; COMPUTE_PGM_RSRC2:SCRATCH_EN: 0
; COMPUTE_PGM_RSRC2:USER_SGPR: 6
; COMPUTE_PGM_RSRC2:TRAP_HANDLER: 0
; COMPUTE_PGM_RSRC2:TGID_X_EN: 1
; COMPUTE_PGM_RSRC2:TGID_Y_EN: 0
; COMPUTE_PGM_RSRC2:TGID_Z_EN: 0
; COMPUTE_PGM_RSRC2:TIDIG_COMP_CNT: 0
; COMPUTE_PGM_RSRC3_GFX90A:ACCUM_OFFSET: 0
; COMPUTE_PGM_RSRC3_GFX90A:TG_SPLIT: 0
	.section	.text._ZN7rocprim17ROCPRIM_400000_NS6detail17trampoline_kernelINS0_14default_configENS1_22reduce_config_selectorIN6thrust23THRUST_200600_302600_NS5tupleIblNS6_9null_typeES8_S8_S8_S8_S8_S8_S8_EEEEZNS1_11reduce_implILb1ES3_NS6_12zip_iteratorINS7_INS6_11hip_rocprim26transform_input_iterator_tIbNSD_35transform_pair_of_input_iterators_tIbNS6_6detail15normal_iteratorINS6_10device_ptrIKjEEEESL_NS6_8equal_toIjEEEENSG_9not_fun_tINSD_8identityEEEEENSD_19counting_iterator_tIlEES8_S8_S8_S8_S8_S8_S8_S8_EEEEPS9_S9_NSD_9__find_if7functorIS9_EEEE10hipError_tPvRmT1_T2_T3_mT4_P12ihipStream_tbEUlT_E0_NS1_11comp_targetILNS1_3genE8ELNS1_11target_archE1030ELNS1_3gpuE2ELNS1_3repE0EEENS1_30default_config_static_selectorELNS0_4arch9wavefront6targetE1EEEvS14_,"axG",@progbits,_ZN7rocprim17ROCPRIM_400000_NS6detail17trampoline_kernelINS0_14default_configENS1_22reduce_config_selectorIN6thrust23THRUST_200600_302600_NS5tupleIblNS6_9null_typeES8_S8_S8_S8_S8_S8_S8_EEEEZNS1_11reduce_implILb1ES3_NS6_12zip_iteratorINS7_INS6_11hip_rocprim26transform_input_iterator_tIbNSD_35transform_pair_of_input_iterators_tIbNS6_6detail15normal_iteratorINS6_10device_ptrIKjEEEESL_NS6_8equal_toIjEEEENSG_9not_fun_tINSD_8identityEEEEENSD_19counting_iterator_tIlEES8_S8_S8_S8_S8_S8_S8_S8_EEEEPS9_S9_NSD_9__find_if7functorIS9_EEEE10hipError_tPvRmT1_T2_T3_mT4_P12ihipStream_tbEUlT_E0_NS1_11comp_targetILNS1_3genE8ELNS1_11target_archE1030ELNS1_3gpuE2ELNS1_3repE0EEENS1_30default_config_static_selectorELNS0_4arch9wavefront6targetE1EEEvS14_,comdat
	.protected	_ZN7rocprim17ROCPRIM_400000_NS6detail17trampoline_kernelINS0_14default_configENS1_22reduce_config_selectorIN6thrust23THRUST_200600_302600_NS5tupleIblNS6_9null_typeES8_S8_S8_S8_S8_S8_S8_EEEEZNS1_11reduce_implILb1ES3_NS6_12zip_iteratorINS7_INS6_11hip_rocprim26transform_input_iterator_tIbNSD_35transform_pair_of_input_iterators_tIbNS6_6detail15normal_iteratorINS6_10device_ptrIKjEEEESL_NS6_8equal_toIjEEEENSG_9not_fun_tINSD_8identityEEEEENSD_19counting_iterator_tIlEES8_S8_S8_S8_S8_S8_S8_S8_EEEEPS9_S9_NSD_9__find_if7functorIS9_EEEE10hipError_tPvRmT1_T2_T3_mT4_P12ihipStream_tbEUlT_E0_NS1_11comp_targetILNS1_3genE8ELNS1_11target_archE1030ELNS1_3gpuE2ELNS1_3repE0EEENS1_30default_config_static_selectorELNS0_4arch9wavefront6targetE1EEEvS14_ ; -- Begin function _ZN7rocprim17ROCPRIM_400000_NS6detail17trampoline_kernelINS0_14default_configENS1_22reduce_config_selectorIN6thrust23THRUST_200600_302600_NS5tupleIblNS6_9null_typeES8_S8_S8_S8_S8_S8_S8_EEEEZNS1_11reduce_implILb1ES3_NS6_12zip_iteratorINS7_INS6_11hip_rocprim26transform_input_iterator_tIbNSD_35transform_pair_of_input_iterators_tIbNS6_6detail15normal_iteratorINS6_10device_ptrIKjEEEESL_NS6_8equal_toIjEEEENSG_9not_fun_tINSD_8identityEEEEENSD_19counting_iterator_tIlEES8_S8_S8_S8_S8_S8_S8_S8_EEEEPS9_S9_NSD_9__find_if7functorIS9_EEEE10hipError_tPvRmT1_T2_T3_mT4_P12ihipStream_tbEUlT_E0_NS1_11comp_targetILNS1_3genE8ELNS1_11target_archE1030ELNS1_3gpuE2ELNS1_3repE0EEENS1_30default_config_static_selectorELNS0_4arch9wavefront6targetE1EEEvS14_
	.globl	_ZN7rocprim17ROCPRIM_400000_NS6detail17trampoline_kernelINS0_14default_configENS1_22reduce_config_selectorIN6thrust23THRUST_200600_302600_NS5tupleIblNS6_9null_typeES8_S8_S8_S8_S8_S8_S8_EEEEZNS1_11reduce_implILb1ES3_NS6_12zip_iteratorINS7_INS6_11hip_rocprim26transform_input_iterator_tIbNSD_35transform_pair_of_input_iterators_tIbNS6_6detail15normal_iteratorINS6_10device_ptrIKjEEEESL_NS6_8equal_toIjEEEENSG_9not_fun_tINSD_8identityEEEEENSD_19counting_iterator_tIlEES8_S8_S8_S8_S8_S8_S8_S8_EEEEPS9_S9_NSD_9__find_if7functorIS9_EEEE10hipError_tPvRmT1_T2_T3_mT4_P12ihipStream_tbEUlT_E0_NS1_11comp_targetILNS1_3genE8ELNS1_11target_archE1030ELNS1_3gpuE2ELNS1_3repE0EEENS1_30default_config_static_selectorELNS0_4arch9wavefront6targetE1EEEvS14_
	.p2align	8
	.type	_ZN7rocprim17ROCPRIM_400000_NS6detail17trampoline_kernelINS0_14default_configENS1_22reduce_config_selectorIN6thrust23THRUST_200600_302600_NS5tupleIblNS6_9null_typeES8_S8_S8_S8_S8_S8_S8_EEEEZNS1_11reduce_implILb1ES3_NS6_12zip_iteratorINS7_INS6_11hip_rocprim26transform_input_iterator_tIbNSD_35transform_pair_of_input_iterators_tIbNS6_6detail15normal_iteratorINS6_10device_ptrIKjEEEESL_NS6_8equal_toIjEEEENSG_9not_fun_tINSD_8identityEEEEENSD_19counting_iterator_tIlEES8_S8_S8_S8_S8_S8_S8_S8_EEEEPS9_S9_NSD_9__find_if7functorIS9_EEEE10hipError_tPvRmT1_T2_T3_mT4_P12ihipStream_tbEUlT_E0_NS1_11comp_targetILNS1_3genE8ELNS1_11target_archE1030ELNS1_3gpuE2ELNS1_3repE0EEENS1_30default_config_static_selectorELNS0_4arch9wavefront6targetE1EEEvS14_,@function
_ZN7rocprim17ROCPRIM_400000_NS6detail17trampoline_kernelINS0_14default_configENS1_22reduce_config_selectorIN6thrust23THRUST_200600_302600_NS5tupleIblNS6_9null_typeES8_S8_S8_S8_S8_S8_S8_EEEEZNS1_11reduce_implILb1ES3_NS6_12zip_iteratorINS7_INS6_11hip_rocprim26transform_input_iterator_tIbNSD_35transform_pair_of_input_iterators_tIbNS6_6detail15normal_iteratorINS6_10device_ptrIKjEEEESL_NS6_8equal_toIjEEEENSG_9not_fun_tINSD_8identityEEEEENSD_19counting_iterator_tIlEES8_S8_S8_S8_S8_S8_S8_S8_EEEEPS9_S9_NSD_9__find_if7functorIS9_EEEE10hipError_tPvRmT1_T2_T3_mT4_P12ihipStream_tbEUlT_E0_NS1_11comp_targetILNS1_3genE8ELNS1_11target_archE1030ELNS1_3gpuE2ELNS1_3repE0EEENS1_30default_config_static_selectorELNS0_4arch9wavefront6targetE1EEEvS14_: ; @_ZN7rocprim17ROCPRIM_400000_NS6detail17trampoline_kernelINS0_14default_configENS1_22reduce_config_selectorIN6thrust23THRUST_200600_302600_NS5tupleIblNS6_9null_typeES8_S8_S8_S8_S8_S8_S8_EEEEZNS1_11reduce_implILb1ES3_NS6_12zip_iteratorINS7_INS6_11hip_rocprim26transform_input_iterator_tIbNSD_35transform_pair_of_input_iterators_tIbNS6_6detail15normal_iteratorINS6_10device_ptrIKjEEEESL_NS6_8equal_toIjEEEENSG_9not_fun_tINSD_8identityEEEEENSD_19counting_iterator_tIlEES8_S8_S8_S8_S8_S8_S8_S8_EEEEPS9_S9_NSD_9__find_if7functorIS9_EEEE10hipError_tPvRmT1_T2_T3_mT4_P12ihipStream_tbEUlT_E0_NS1_11comp_targetILNS1_3genE8ELNS1_11target_archE1030ELNS1_3gpuE2ELNS1_3repE0EEENS1_30default_config_static_selectorELNS0_4arch9wavefront6targetE1EEEvS14_
; %bb.0:
	.section	.rodata,"a",@progbits
	.p2align	6, 0x0
	.amdhsa_kernel _ZN7rocprim17ROCPRIM_400000_NS6detail17trampoline_kernelINS0_14default_configENS1_22reduce_config_selectorIN6thrust23THRUST_200600_302600_NS5tupleIblNS6_9null_typeES8_S8_S8_S8_S8_S8_S8_EEEEZNS1_11reduce_implILb1ES3_NS6_12zip_iteratorINS7_INS6_11hip_rocprim26transform_input_iterator_tIbNSD_35transform_pair_of_input_iterators_tIbNS6_6detail15normal_iteratorINS6_10device_ptrIKjEEEESL_NS6_8equal_toIjEEEENSG_9not_fun_tINSD_8identityEEEEENSD_19counting_iterator_tIlEES8_S8_S8_S8_S8_S8_S8_S8_EEEEPS9_S9_NSD_9__find_if7functorIS9_EEEE10hipError_tPvRmT1_T2_T3_mT4_P12ihipStream_tbEUlT_E0_NS1_11comp_targetILNS1_3genE8ELNS1_11target_archE1030ELNS1_3gpuE2ELNS1_3repE0EEENS1_30default_config_static_selectorELNS0_4arch9wavefront6targetE1EEEvS14_
		.amdhsa_group_segment_fixed_size 0
		.amdhsa_private_segment_fixed_size 0
		.amdhsa_kernarg_size 104
		.amdhsa_user_sgpr_count 6
		.amdhsa_user_sgpr_private_segment_buffer 1
		.amdhsa_user_sgpr_dispatch_ptr 0
		.amdhsa_user_sgpr_queue_ptr 0
		.amdhsa_user_sgpr_kernarg_segment_ptr 1
		.amdhsa_user_sgpr_dispatch_id 0
		.amdhsa_user_sgpr_flat_scratch_init 0
		.amdhsa_user_sgpr_kernarg_preload_length 0
		.amdhsa_user_sgpr_kernarg_preload_offset 0
		.amdhsa_user_sgpr_private_segment_size 0
		.amdhsa_uses_dynamic_stack 0
		.amdhsa_system_sgpr_private_segment_wavefront_offset 0
		.amdhsa_system_sgpr_workgroup_id_x 1
		.amdhsa_system_sgpr_workgroup_id_y 0
		.amdhsa_system_sgpr_workgroup_id_z 0
		.amdhsa_system_sgpr_workgroup_info 0
		.amdhsa_system_vgpr_workitem_id 0
		.amdhsa_next_free_vgpr 1
		.amdhsa_next_free_sgpr 0
		.amdhsa_accum_offset 4
		.amdhsa_reserve_vcc 0
		.amdhsa_reserve_flat_scratch 0
		.amdhsa_float_round_mode_32 0
		.amdhsa_float_round_mode_16_64 0
		.amdhsa_float_denorm_mode_32 3
		.amdhsa_float_denorm_mode_16_64 3
		.amdhsa_dx10_clamp 1
		.amdhsa_ieee_mode 1
		.amdhsa_fp16_overflow 0
		.amdhsa_tg_split 0
		.amdhsa_exception_fp_ieee_invalid_op 0
		.amdhsa_exception_fp_denorm_src 0
		.amdhsa_exception_fp_ieee_div_zero 0
		.amdhsa_exception_fp_ieee_overflow 0
		.amdhsa_exception_fp_ieee_underflow 0
		.amdhsa_exception_fp_ieee_inexact 0
		.amdhsa_exception_int_div_zero 0
	.end_amdhsa_kernel
	.section	.text._ZN7rocprim17ROCPRIM_400000_NS6detail17trampoline_kernelINS0_14default_configENS1_22reduce_config_selectorIN6thrust23THRUST_200600_302600_NS5tupleIblNS6_9null_typeES8_S8_S8_S8_S8_S8_S8_EEEEZNS1_11reduce_implILb1ES3_NS6_12zip_iteratorINS7_INS6_11hip_rocprim26transform_input_iterator_tIbNSD_35transform_pair_of_input_iterators_tIbNS6_6detail15normal_iteratorINS6_10device_ptrIKjEEEESL_NS6_8equal_toIjEEEENSG_9not_fun_tINSD_8identityEEEEENSD_19counting_iterator_tIlEES8_S8_S8_S8_S8_S8_S8_S8_EEEEPS9_S9_NSD_9__find_if7functorIS9_EEEE10hipError_tPvRmT1_T2_T3_mT4_P12ihipStream_tbEUlT_E0_NS1_11comp_targetILNS1_3genE8ELNS1_11target_archE1030ELNS1_3gpuE2ELNS1_3repE0EEENS1_30default_config_static_selectorELNS0_4arch9wavefront6targetE1EEEvS14_,"axG",@progbits,_ZN7rocprim17ROCPRIM_400000_NS6detail17trampoline_kernelINS0_14default_configENS1_22reduce_config_selectorIN6thrust23THRUST_200600_302600_NS5tupleIblNS6_9null_typeES8_S8_S8_S8_S8_S8_S8_EEEEZNS1_11reduce_implILb1ES3_NS6_12zip_iteratorINS7_INS6_11hip_rocprim26transform_input_iterator_tIbNSD_35transform_pair_of_input_iterators_tIbNS6_6detail15normal_iteratorINS6_10device_ptrIKjEEEESL_NS6_8equal_toIjEEEENSG_9not_fun_tINSD_8identityEEEEENSD_19counting_iterator_tIlEES8_S8_S8_S8_S8_S8_S8_S8_EEEEPS9_S9_NSD_9__find_if7functorIS9_EEEE10hipError_tPvRmT1_T2_T3_mT4_P12ihipStream_tbEUlT_E0_NS1_11comp_targetILNS1_3genE8ELNS1_11target_archE1030ELNS1_3gpuE2ELNS1_3repE0EEENS1_30default_config_static_selectorELNS0_4arch9wavefront6targetE1EEEvS14_,comdat
.Lfunc_end159:
	.size	_ZN7rocprim17ROCPRIM_400000_NS6detail17trampoline_kernelINS0_14default_configENS1_22reduce_config_selectorIN6thrust23THRUST_200600_302600_NS5tupleIblNS6_9null_typeES8_S8_S8_S8_S8_S8_S8_EEEEZNS1_11reduce_implILb1ES3_NS6_12zip_iteratorINS7_INS6_11hip_rocprim26transform_input_iterator_tIbNSD_35transform_pair_of_input_iterators_tIbNS6_6detail15normal_iteratorINS6_10device_ptrIKjEEEESL_NS6_8equal_toIjEEEENSG_9not_fun_tINSD_8identityEEEEENSD_19counting_iterator_tIlEES8_S8_S8_S8_S8_S8_S8_S8_EEEEPS9_S9_NSD_9__find_if7functorIS9_EEEE10hipError_tPvRmT1_T2_T3_mT4_P12ihipStream_tbEUlT_E0_NS1_11comp_targetILNS1_3genE8ELNS1_11target_archE1030ELNS1_3gpuE2ELNS1_3repE0EEENS1_30default_config_static_selectorELNS0_4arch9wavefront6targetE1EEEvS14_, .Lfunc_end159-_ZN7rocprim17ROCPRIM_400000_NS6detail17trampoline_kernelINS0_14default_configENS1_22reduce_config_selectorIN6thrust23THRUST_200600_302600_NS5tupleIblNS6_9null_typeES8_S8_S8_S8_S8_S8_S8_EEEEZNS1_11reduce_implILb1ES3_NS6_12zip_iteratorINS7_INS6_11hip_rocprim26transform_input_iterator_tIbNSD_35transform_pair_of_input_iterators_tIbNS6_6detail15normal_iteratorINS6_10device_ptrIKjEEEESL_NS6_8equal_toIjEEEENSG_9not_fun_tINSD_8identityEEEEENSD_19counting_iterator_tIlEES8_S8_S8_S8_S8_S8_S8_S8_EEEEPS9_S9_NSD_9__find_if7functorIS9_EEEE10hipError_tPvRmT1_T2_T3_mT4_P12ihipStream_tbEUlT_E0_NS1_11comp_targetILNS1_3genE8ELNS1_11target_archE1030ELNS1_3gpuE2ELNS1_3repE0EEENS1_30default_config_static_selectorELNS0_4arch9wavefront6targetE1EEEvS14_
                                        ; -- End function
	.section	.AMDGPU.csdata,"",@progbits
; Kernel info:
; codeLenInByte = 0
; NumSgprs: 4
; NumVgprs: 0
; NumAgprs: 0
; TotalNumVgprs: 0
; ScratchSize: 0
; MemoryBound: 0
; FloatMode: 240
; IeeeMode: 1
; LDSByteSize: 0 bytes/workgroup (compile time only)
; SGPRBlocks: 0
; VGPRBlocks: 0
; NumSGPRsForWavesPerEU: 4
; NumVGPRsForWavesPerEU: 1
; AccumOffset: 4
; Occupancy: 8
; WaveLimiterHint : 0
; COMPUTE_PGM_RSRC2:SCRATCH_EN: 0
; COMPUTE_PGM_RSRC2:USER_SGPR: 6
; COMPUTE_PGM_RSRC2:TRAP_HANDLER: 0
; COMPUTE_PGM_RSRC2:TGID_X_EN: 1
; COMPUTE_PGM_RSRC2:TGID_Y_EN: 0
; COMPUTE_PGM_RSRC2:TGID_Z_EN: 0
; COMPUTE_PGM_RSRC2:TIDIG_COMP_CNT: 0
; COMPUTE_PGM_RSRC3_GFX90A:ACCUM_OFFSET: 0
; COMPUTE_PGM_RSRC3_GFX90A:TG_SPLIT: 0
	.section	.text._ZN7rocprim17ROCPRIM_400000_NS6detail17trampoline_kernelINS0_14default_configENS1_22reduce_config_selectorIN6thrust23THRUST_200600_302600_NS5tupleIblNS6_9null_typeES8_S8_S8_S8_S8_S8_S8_EEEEZNS1_11reduce_implILb1ES3_NS6_12zip_iteratorINS7_INS6_11hip_rocprim26transform_input_iterator_tIbNSD_35transform_pair_of_input_iterators_tIbNS6_6detail15normal_iteratorINS6_10device_ptrIKjEEEESL_NS6_8equal_toIjEEEENSG_9not_fun_tINSD_8identityEEEEENSD_19counting_iterator_tIlEES8_S8_S8_S8_S8_S8_S8_S8_EEEEPS9_S9_NSD_9__find_if7functorIS9_EEEE10hipError_tPvRmT1_T2_T3_mT4_P12ihipStream_tbEUlT_E1_NS1_11comp_targetILNS1_3genE0ELNS1_11target_archE4294967295ELNS1_3gpuE0ELNS1_3repE0EEENS1_30default_config_static_selectorELNS0_4arch9wavefront6targetE1EEEvS14_,"axG",@progbits,_ZN7rocprim17ROCPRIM_400000_NS6detail17trampoline_kernelINS0_14default_configENS1_22reduce_config_selectorIN6thrust23THRUST_200600_302600_NS5tupleIblNS6_9null_typeES8_S8_S8_S8_S8_S8_S8_EEEEZNS1_11reduce_implILb1ES3_NS6_12zip_iteratorINS7_INS6_11hip_rocprim26transform_input_iterator_tIbNSD_35transform_pair_of_input_iterators_tIbNS6_6detail15normal_iteratorINS6_10device_ptrIKjEEEESL_NS6_8equal_toIjEEEENSG_9not_fun_tINSD_8identityEEEEENSD_19counting_iterator_tIlEES8_S8_S8_S8_S8_S8_S8_S8_EEEEPS9_S9_NSD_9__find_if7functorIS9_EEEE10hipError_tPvRmT1_T2_T3_mT4_P12ihipStream_tbEUlT_E1_NS1_11comp_targetILNS1_3genE0ELNS1_11target_archE4294967295ELNS1_3gpuE0ELNS1_3repE0EEENS1_30default_config_static_selectorELNS0_4arch9wavefront6targetE1EEEvS14_,comdat
	.protected	_ZN7rocprim17ROCPRIM_400000_NS6detail17trampoline_kernelINS0_14default_configENS1_22reduce_config_selectorIN6thrust23THRUST_200600_302600_NS5tupleIblNS6_9null_typeES8_S8_S8_S8_S8_S8_S8_EEEEZNS1_11reduce_implILb1ES3_NS6_12zip_iteratorINS7_INS6_11hip_rocprim26transform_input_iterator_tIbNSD_35transform_pair_of_input_iterators_tIbNS6_6detail15normal_iteratorINS6_10device_ptrIKjEEEESL_NS6_8equal_toIjEEEENSG_9not_fun_tINSD_8identityEEEEENSD_19counting_iterator_tIlEES8_S8_S8_S8_S8_S8_S8_S8_EEEEPS9_S9_NSD_9__find_if7functorIS9_EEEE10hipError_tPvRmT1_T2_T3_mT4_P12ihipStream_tbEUlT_E1_NS1_11comp_targetILNS1_3genE0ELNS1_11target_archE4294967295ELNS1_3gpuE0ELNS1_3repE0EEENS1_30default_config_static_selectorELNS0_4arch9wavefront6targetE1EEEvS14_ ; -- Begin function _ZN7rocprim17ROCPRIM_400000_NS6detail17trampoline_kernelINS0_14default_configENS1_22reduce_config_selectorIN6thrust23THRUST_200600_302600_NS5tupleIblNS6_9null_typeES8_S8_S8_S8_S8_S8_S8_EEEEZNS1_11reduce_implILb1ES3_NS6_12zip_iteratorINS7_INS6_11hip_rocprim26transform_input_iterator_tIbNSD_35transform_pair_of_input_iterators_tIbNS6_6detail15normal_iteratorINS6_10device_ptrIKjEEEESL_NS6_8equal_toIjEEEENSG_9not_fun_tINSD_8identityEEEEENSD_19counting_iterator_tIlEES8_S8_S8_S8_S8_S8_S8_S8_EEEEPS9_S9_NSD_9__find_if7functorIS9_EEEE10hipError_tPvRmT1_T2_T3_mT4_P12ihipStream_tbEUlT_E1_NS1_11comp_targetILNS1_3genE0ELNS1_11target_archE4294967295ELNS1_3gpuE0ELNS1_3repE0EEENS1_30default_config_static_selectorELNS0_4arch9wavefront6targetE1EEEvS14_
	.globl	_ZN7rocprim17ROCPRIM_400000_NS6detail17trampoline_kernelINS0_14default_configENS1_22reduce_config_selectorIN6thrust23THRUST_200600_302600_NS5tupleIblNS6_9null_typeES8_S8_S8_S8_S8_S8_S8_EEEEZNS1_11reduce_implILb1ES3_NS6_12zip_iteratorINS7_INS6_11hip_rocprim26transform_input_iterator_tIbNSD_35transform_pair_of_input_iterators_tIbNS6_6detail15normal_iteratorINS6_10device_ptrIKjEEEESL_NS6_8equal_toIjEEEENSG_9not_fun_tINSD_8identityEEEEENSD_19counting_iterator_tIlEES8_S8_S8_S8_S8_S8_S8_S8_EEEEPS9_S9_NSD_9__find_if7functorIS9_EEEE10hipError_tPvRmT1_T2_T3_mT4_P12ihipStream_tbEUlT_E1_NS1_11comp_targetILNS1_3genE0ELNS1_11target_archE4294967295ELNS1_3gpuE0ELNS1_3repE0EEENS1_30default_config_static_selectorELNS0_4arch9wavefront6targetE1EEEvS14_
	.p2align	8
	.type	_ZN7rocprim17ROCPRIM_400000_NS6detail17trampoline_kernelINS0_14default_configENS1_22reduce_config_selectorIN6thrust23THRUST_200600_302600_NS5tupleIblNS6_9null_typeES8_S8_S8_S8_S8_S8_S8_EEEEZNS1_11reduce_implILb1ES3_NS6_12zip_iteratorINS7_INS6_11hip_rocprim26transform_input_iterator_tIbNSD_35transform_pair_of_input_iterators_tIbNS6_6detail15normal_iteratorINS6_10device_ptrIKjEEEESL_NS6_8equal_toIjEEEENSG_9not_fun_tINSD_8identityEEEEENSD_19counting_iterator_tIlEES8_S8_S8_S8_S8_S8_S8_S8_EEEEPS9_S9_NSD_9__find_if7functorIS9_EEEE10hipError_tPvRmT1_T2_T3_mT4_P12ihipStream_tbEUlT_E1_NS1_11comp_targetILNS1_3genE0ELNS1_11target_archE4294967295ELNS1_3gpuE0ELNS1_3repE0EEENS1_30default_config_static_selectorELNS0_4arch9wavefront6targetE1EEEvS14_,@function
_ZN7rocprim17ROCPRIM_400000_NS6detail17trampoline_kernelINS0_14default_configENS1_22reduce_config_selectorIN6thrust23THRUST_200600_302600_NS5tupleIblNS6_9null_typeES8_S8_S8_S8_S8_S8_S8_EEEEZNS1_11reduce_implILb1ES3_NS6_12zip_iteratorINS7_INS6_11hip_rocprim26transform_input_iterator_tIbNSD_35transform_pair_of_input_iterators_tIbNS6_6detail15normal_iteratorINS6_10device_ptrIKjEEEESL_NS6_8equal_toIjEEEENSG_9not_fun_tINSD_8identityEEEEENSD_19counting_iterator_tIlEES8_S8_S8_S8_S8_S8_S8_S8_EEEEPS9_S9_NSD_9__find_if7functorIS9_EEEE10hipError_tPvRmT1_T2_T3_mT4_P12ihipStream_tbEUlT_E1_NS1_11comp_targetILNS1_3genE0ELNS1_11target_archE4294967295ELNS1_3gpuE0ELNS1_3repE0EEENS1_30default_config_static_selectorELNS0_4arch9wavefront6targetE1EEEvS14_: ; @_ZN7rocprim17ROCPRIM_400000_NS6detail17trampoline_kernelINS0_14default_configENS1_22reduce_config_selectorIN6thrust23THRUST_200600_302600_NS5tupleIblNS6_9null_typeES8_S8_S8_S8_S8_S8_S8_EEEEZNS1_11reduce_implILb1ES3_NS6_12zip_iteratorINS7_INS6_11hip_rocprim26transform_input_iterator_tIbNSD_35transform_pair_of_input_iterators_tIbNS6_6detail15normal_iteratorINS6_10device_ptrIKjEEEESL_NS6_8equal_toIjEEEENSG_9not_fun_tINSD_8identityEEEEENSD_19counting_iterator_tIlEES8_S8_S8_S8_S8_S8_S8_S8_EEEEPS9_S9_NSD_9__find_if7functorIS9_EEEE10hipError_tPvRmT1_T2_T3_mT4_P12ihipStream_tbEUlT_E1_NS1_11comp_targetILNS1_3genE0ELNS1_11target_archE4294967295ELNS1_3gpuE0ELNS1_3repE0EEENS1_30default_config_static_selectorELNS0_4arch9wavefront6targetE1EEEvS14_
; %bb.0:
	.section	.rodata,"a",@progbits
	.p2align	6, 0x0
	.amdhsa_kernel _ZN7rocprim17ROCPRIM_400000_NS6detail17trampoline_kernelINS0_14default_configENS1_22reduce_config_selectorIN6thrust23THRUST_200600_302600_NS5tupleIblNS6_9null_typeES8_S8_S8_S8_S8_S8_S8_EEEEZNS1_11reduce_implILb1ES3_NS6_12zip_iteratorINS7_INS6_11hip_rocprim26transform_input_iterator_tIbNSD_35transform_pair_of_input_iterators_tIbNS6_6detail15normal_iteratorINS6_10device_ptrIKjEEEESL_NS6_8equal_toIjEEEENSG_9not_fun_tINSD_8identityEEEEENSD_19counting_iterator_tIlEES8_S8_S8_S8_S8_S8_S8_S8_EEEEPS9_S9_NSD_9__find_if7functorIS9_EEEE10hipError_tPvRmT1_T2_T3_mT4_P12ihipStream_tbEUlT_E1_NS1_11comp_targetILNS1_3genE0ELNS1_11target_archE4294967295ELNS1_3gpuE0ELNS1_3repE0EEENS1_30default_config_static_selectorELNS0_4arch9wavefront6targetE1EEEvS14_
		.amdhsa_group_segment_fixed_size 0
		.amdhsa_private_segment_fixed_size 0
		.amdhsa_kernarg_size 88
		.amdhsa_user_sgpr_count 6
		.amdhsa_user_sgpr_private_segment_buffer 1
		.amdhsa_user_sgpr_dispatch_ptr 0
		.amdhsa_user_sgpr_queue_ptr 0
		.amdhsa_user_sgpr_kernarg_segment_ptr 1
		.amdhsa_user_sgpr_dispatch_id 0
		.amdhsa_user_sgpr_flat_scratch_init 0
		.amdhsa_user_sgpr_kernarg_preload_length 0
		.amdhsa_user_sgpr_kernarg_preload_offset 0
		.amdhsa_user_sgpr_private_segment_size 0
		.amdhsa_uses_dynamic_stack 0
		.amdhsa_system_sgpr_private_segment_wavefront_offset 0
		.amdhsa_system_sgpr_workgroup_id_x 1
		.amdhsa_system_sgpr_workgroup_id_y 0
		.amdhsa_system_sgpr_workgroup_id_z 0
		.amdhsa_system_sgpr_workgroup_info 0
		.amdhsa_system_vgpr_workitem_id 0
		.amdhsa_next_free_vgpr 1
		.amdhsa_next_free_sgpr 0
		.amdhsa_accum_offset 4
		.amdhsa_reserve_vcc 0
		.amdhsa_reserve_flat_scratch 0
		.amdhsa_float_round_mode_32 0
		.amdhsa_float_round_mode_16_64 0
		.amdhsa_float_denorm_mode_32 3
		.amdhsa_float_denorm_mode_16_64 3
		.amdhsa_dx10_clamp 1
		.amdhsa_ieee_mode 1
		.amdhsa_fp16_overflow 0
		.amdhsa_tg_split 0
		.amdhsa_exception_fp_ieee_invalid_op 0
		.amdhsa_exception_fp_denorm_src 0
		.amdhsa_exception_fp_ieee_div_zero 0
		.amdhsa_exception_fp_ieee_overflow 0
		.amdhsa_exception_fp_ieee_underflow 0
		.amdhsa_exception_fp_ieee_inexact 0
		.amdhsa_exception_int_div_zero 0
	.end_amdhsa_kernel
	.section	.text._ZN7rocprim17ROCPRIM_400000_NS6detail17trampoline_kernelINS0_14default_configENS1_22reduce_config_selectorIN6thrust23THRUST_200600_302600_NS5tupleIblNS6_9null_typeES8_S8_S8_S8_S8_S8_S8_EEEEZNS1_11reduce_implILb1ES3_NS6_12zip_iteratorINS7_INS6_11hip_rocprim26transform_input_iterator_tIbNSD_35transform_pair_of_input_iterators_tIbNS6_6detail15normal_iteratorINS6_10device_ptrIKjEEEESL_NS6_8equal_toIjEEEENSG_9not_fun_tINSD_8identityEEEEENSD_19counting_iterator_tIlEES8_S8_S8_S8_S8_S8_S8_S8_EEEEPS9_S9_NSD_9__find_if7functorIS9_EEEE10hipError_tPvRmT1_T2_T3_mT4_P12ihipStream_tbEUlT_E1_NS1_11comp_targetILNS1_3genE0ELNS1_11target_archE4294967295ELNS1_3gpuE0ELNS1_3repE0EEENS1_30default_config_static_selectorELNS0_4arch9wavefront6targetE1EEEvS14_,"axG",@progbits,_ZN7rocprim17ROCPRIM_400000_NS6detail17trampoline_kernelINS0_14default_configENS1_22reduce_config_selectorIN6thrust23THRUST_200600_302600_NS5tupleIblNS6_9null_typeES8_S8_S8_S8_S8_S8_S8_EEEEZNS1_11reduce_implILb1ES3_NS6_12zip_iteratorINS7_INS6_11hip_rocprim26transform_input_iterator_tIbNSD_35transform_pair_of_input_iterators_tIbNS6_6detail15normal_iteratorINS6_10device_ptrIKjEEEESL_NS6_8equal_toIjEEEENSG_9not_fun_tINSD_8identityEEEEENSD_19counting_iterator_tIlEES8_S8_S8_S8_S8_S8_S8_S8_EEEEPS9_S9_NSD_9__find_if7functorIS9_EEEE10hipError_tPvRmT1_T2_T3_mT4_P12ihipStream_tbEUlT_E1_NS1_11comp_targetILNS1_3genE0ELNS1_11target_archE4294967295ELNS1_3gpuE0ELNS1_3repE0EEENS1_30default_config_static_selectorELNS0_4arch9wavefront6targetE1EEEvS14_,comdat
.Lfunc_end160:
	.size	_ZN7rocprim17ROCPRIM_400000_NS6detail17trampoline_kernelINS0_14default_configENS1_22reduce_config_selectorIN6thrust23THRUST_200600_302600_NS5tupleIblNS6_9null_typeES8_S8_S8_S8_S8_S8_S8_EEEEZNS1_11reduce_implILb1ES3_NS6_12zip_iteratorINS7_INS6_11hip_rocprim26transform_input_iterator_tIbNSD_35transform_pair_of_input_iterators_tIbNS6_6detail15normal_iteratorINS6_10device_ptrIKjEEEESL_NS6_8equal_toIjEEEENSG_9not_fun_tINSD_8identityEEEEENSD_19counting_iterator_tIlEES8_S8_S8_S8_S8_S8_S8_S8_EEEEPS9_S9_NSD_9__find_if7functorIS9_EEEE10hipError_tPvRmT1_T2_T3_mT4_P12ihipStream_tbEUlT_E1_NS1_11comp_targetILNS1_3genE0ELNS1_11target_archE4294967295ELNS1_3gpuE0ELNS1_3repE0EEENS1_30default_config_static_selectorELNS0_4arch9wavefront6targetE1EEEvS14_, .Lfunc_end160-_ZN7rocprim17ROCPRIM_400000_NS6detail17trampoline_kernelINS0_14default_configENS1_22reduce_config_selectorIN6thrust23THRUST_200600_302600_NS5tupleIblNS6_9null_typeES8_S8_S8_S8_S8_S8_S8_EEEEZNS1_11reduce_implILb1ES3_NS6_12zip_iteratorINS7_INS6_11hip_rocprim26transform_input_iterator_tIbNSD_35transform_pair_of_input_iterators_tIbNS6_6detail15normal_iteratorINS6_10device_ptrIKjEEEESL_NS6_8equal_toIjEEEENSG_9not_fun_tINSD_8identityEEEEENSD_19counting_iterator_tIlEES8_S8_S8_S8_S8_S8_S8_S8_EEEEPS9_S9_NSD_9__find_if7functorIS9_EEEE10hipError_tPvRmT1_T2_T3_mT4_P12ihipStream_tbEUlT_E1_NS1_11comp_targetILNS1_3genE0ELNS1_11target_archE4294967295ELNS1_3gpuE0ELNS1_3repE0EEENS1_30default_config_static_selectorELNS0_4arch9wavefront6targetE1EEEvS14_
                                        ; -- End function
	.section	.AMDGPU.csdata,"",@progbits
; Kernel info:
; codeLenInByte = 0
; NumSgprs: 4
; NumVgprs: 0
; NumAgprs: 0
; TotalNumVgprs: 0
; ScratchSize: 0
; MemoryBound: 0
; FloatMode: 240
; IeeeMode: 1
; LDSByteSize: 0 bytes/workgroup (compile time only)
; SGPRBlocks: 0
; VGPRBlocks: 0
; NumSGPRsForWavesPerEU: 4
; NumVGPRsForWavesPerEU: 1
; AccumOffset: 4
; Occupancy: 8
; WaveLimiterHint : 0
; COMPUTE_PGM_RSRC2:SCRATCH_EN: 0
; COMPUTE_PGM_RSRC2:USER_SGPR: 6
; COMPUTE_PGM_RSRC2:TRAP_HANDLER: 0
; COMPUTE_PGM_RSRC2:TGID_X_EN: 1
; COMPUTE_PGM_RSRC2:TGID_Y_EN: 0
; COMPUTE_PGM_RSRC2:TGID_Z_EN: 0
; COMPUTE_PGM_RSRC2:TIDIG_COMP_CNT: 0
; COMPUTE_PGM_RSRC3_GFX90A:ACCUM_OFFSET: 0
; COMPUTE_PGM_RSRC3_GFX90A:TG_SPLIT: 0
	.section	.text._ZN7rocprim17ROCPRIM_400000_NS6detail17trampoline_kernelINS0_14default_configENS1_22reduce_config_selectorIN6thrust23THRUST_200600_302600_NS5tupleIblNS6_9null_typeES8_S8_S8_S8_S8_S8_S8_EEEEZNS1_11reduce_implILb1ES3_NS6_12zip_iteratorINS7_INS6_11hip_rocprim26transform_input_iterator_tIbNSD_35transform_pair_of_input_iterators_tIbNS6_6detail15normal_iteratorINS6_10device_ptrIKjEEEESL_NS6_8equal_toIjEEEENSG_9not_fun_tINSD_8identityEEEEENSD_19counting_iterator_tIlEES8_S8_S8_S8_S8_S8_S8_S8_EEEEPS9_S9_NSD_9__find_if7functorIS9_EEEE10hipError_tPvRmT1_T2_T3_mT4_P12ihipStream_tbEUlT_E1_NS1_11comp_targetILNS1_3genE5ELNS1_11target_archE942ELNS1_3gpuE9ELNS1_3repE0EEENS1_30default_config_static_selectorELNS0_4arch9wavefront6targetE1EEEvS14_,"axG",@progbits,_ZN7rocprim17ROCPRIM_400000_NS6detail17trampoline_kernelINS0_14default_configENS1_22reduce_config_selectorIN6thrust23THRUST_200600_302600_NS5tupleIblNS6_9null_typeES8_S8_S8_S8_S8_S8_S8_EEEEZNS1_11reduce_implILb1ES3_NS6_12zip_iteratorINS7_INS6_11hip_rocprim26transform_input_iterator_tIbNSD_35transform_pair_of_input_iterators_tIbNS6_6detail15normal_iteratorINS6_10device_ptrIKjEEEESL_NS6_8equal_toIjEEEENSG_9not_fun_tINSD_8identityEEEEENSD_19counting_iterator_tIlEES8_S8_S8_S8_S8_S8_S8_S8_EEEEPS9_S9_NSD_9__find_if7functorIS9_EEEE10hipError_tPvRmT1_T2_T3_mT4_P12ihipStream_tbEUlT_E1_NS1_11comp_targetILNS1_3genE5ELNS1_11target_archE942ELNS1_3gpuE9ELNS1_3repE0EEENS1_30default_config_static_selectorELNS0_4arch9wavefront6targetE1EEEvS14_,comdat
	.protected	_ZN7rocprim17ROCPRIM_400000_NS6detail17trampoline_kernelINS0_14default_configENS1_22reduce_config_selectorIN6thrust23THRUST_200600_302600_NS5tupleIblNS6_9null_typeES8_S8_S8_S8_S8_S8_S8_EEEEZNS1_11reduce_implILb1ES3_NS6_12zip_iteratorINS7_INS6_11hip_rocprim26transform_input_iterator_tIbNSD_35transform_pair_of_input_iterators_tIbNS6_6detail15normal_iteratorINS6_10device_ptrIKjEEEESL_NS6_8equal_toIjEEEENSG_9not_fun_tINSD_8identityEEEEENSD_19counting_iterator_tIlEES8_S8_S8_S8_S8_S8_S8_S8_EEEEPS9_S9_NSD_9__find_if7functorIS9_EEEE10hipError_tPvRmT1_T2_T3_mT4_P12ihipStream_tbEUlT_E1_NS1_11comp_targetILNS1_3genE5ELNS1_11target_archE942ELNS1_3gpuE9ELNS1_3repE0EEENS1_30default_config_static_selectorELNS0_4arch9wavefront6targetE1EEEvS14_ ; -- Begin function _ZN7rocprim17ROCPRIM_400000_NS6detail17trampoline_kernelINS0_14default_configENS1_22reduce_config_selectorIN6thrust23THRUST_200600_302600_NS5tupleIblNS6_9null_typeES8_S8_S8_S8_S8_S8_S8_EEEEZNS1_11reduce_implILb1ES3_NS6_12zip_iteratorINS7_INS6_11hip_rocprim26transform_input_iterator_tIbNSD_35transform_pair_of_input_iterators_tIbNS6_6detail15normal_iteratorINS6_10device_ptrIKjEEEESL_NS6_8equal_toIjEEEENSG_9not_fun_tINSD_8identityEEEEENSD_19counting_iterator_tIlEES8_S8_S8_S8_S8_S8_S8_S8_EEEEPS9_S9_NSD_9__find_if7functorIS9_EEEE10hipError_tPvRmT1_T2_T3_mT4_P12ihipStream_tbEUlT_E1_NS1_11comp_targetILNS1_3genE5ELNS1_11target_archE942ELNS1_3gpuE9ELNS1_3repE0EEENS1_30default_config_static_selectorELNS0_4arch9wavefront6targetE1EEEvS14_
	.globl	_ZN7rocprim17ROCPRIM_400000_NS6detail17trampoline_kernelINS0_14default_configENS1_22reduce_config_selectorIN6thrust23THRUST_200600_302600_NS5tupleIblNS6_9null_typeES8_S8_S8_S8_S8_S8_S8_EEEEZNS1_11reduce_implILb1ES3_NS6_12zip_iteratorINS7_INS6_11hip_rocprim26transform_input_iterator_tIbNSD_35transform_pair_of_input_iterators_tIbNS6_6detail15normal_iteratorINS6_10device_ptrIKjEEEESL_NS6_8equal_toIjEEEENSG_9not_fun_tINSD_8identityEEEEENSD_19counting_iterator_tIlEES8_S8_S8_S8_S8_S8_S8_S8_EEEEPS9_S9_NSD_9__find_if7functorIS9_EEEE10hipError_tPvRmT1_T2_T3_mT4_P12ihipStream_tbEUlT_E1_NS1_11comp_targetILNS1_3genE5ELNS1_11target_archE942ELNS1_3gpuE9ELNS1_3repE0EEENS1_30default_config_static_selectorELNS0_4arch9wavefront6targetE1EEEvS14_
	.p2align	8
	.type	_ZN7rocprim17ROCPRIM_400000_NS6detail17trampoline_kernelINS0_14default_configENS1_22reduce_config_selectorIN6thrust23THRUST_200600_302600_NS5tupleIblNS6_9null_typeES8_S8_S8_S8_S8_S8_S8_EEEEZNS1_11reduce_implILb1ES3_NS6_12zip_iteratorINS7_INS6_11hip_rocprim26transform_input_iterator_tIbNSD_35transform_pair_of_input_iterators_tIbNS6_6detail15normal_iteratorINS6_10device_ptrIKjEEEESL_NS6_8equal_toIjEEEENSG_9not_fun_tINSD_8identityEEEEENSD_19counting_iterator_tIlEES8_S8_S8_S8_S8_S8_S8_S8_EEEEPS9_S9_NSD_9__find_if7functorIS9_EEEE10hipError_tPvRmT1_T2_T3_mT4_P12ihipStream_tbEUlT_E1_NS1_11comp_targetILNS1_3genE5ELNS1_11target_archE942ELNS1_3gpuE9ELNS1_3repE0EEENS1_30default_config_static_selectorELNS0_4arch9wavefront6targetE1EEEvS14_,@function
_ZN7rocprim17ROCPRIM_400000_NS6detail17trampoline_kernelINS0_14default_configENS1_22reduce_config_selectorIN6thrust23THRUST_200600_302600_NS5tupleIblNS6_9null_typeES8_S8_S8_S8_S8_S8_S8_EEEEZNS1_11reduce_implILb1ES3_NS6_12zip_iteratorINS7_INS6_11hip_rocprim26transform_input_iterator_tIbNSD_35transform_pair_of_input_iterators_tIbNS6_6detail15normal_iteratorINS6_10device_ptrIKjEEEESL_NS6_8equal_toIjEEEENSG_9not_fun_tINSD_8identityEEEEENSD_19counting_iterator_tIlEES8_S8_S8_S8_S8_S8_S8_S8_EEEEPS9_S9_NSD_9__find_if7functorIS9_EEEE10hipError_tPvRmT1_T2_T3_mT4_P12ihipStream_tbEUlT_E1_NS1_11comp_targetILNS1_3genE5ELNS1_11target_archE942ELNS1_3gpuE9ELNS1_3repE0EEENS1_30default_config_static_selectorELNS0_4arch9wavefront6targetE1EEEvS14_: ; @_ZN7rocprim17ROCPRIM_400000_NS6detail17trampoline_kernelINS0_14default_configENS1_22reduce_config_selectorIN6thrust23THRUST_200600_302600_NS5tupleIblNS6_9null_typeES8_S8_S8_S8_S8_S8_S8_EEEEZNS1_11reduce_implILb1ES3_NS6_12zip_iteratorINS7_INS6_11hip_rocprim26transform_input_iterator_tIbNSD_35transform_pair_of_input_iterators_tIbNS6_6detail15normal_iteratorINS6_10device_ptrIKjEEEESL_NS6_8equal_toIjEEEENSG_9not_fun_tINSD_8identityEEEEENSD_19counting_iterator_tIlEES8_S8_S8_S8_S8_S8_S8_S8_EEEEPS9_S9_NSD_9__find_if7functorIS9_EEEE10hipError_tPvRmT1_T2_T3_mT4_P12ihipStream_tbEUlT_E1_NS1_11comp_targetILNS1_3genE5ELNS1_11target_archE942ELNS1_3gpuE9ELNS1_3repE0EEENS1_30default_config_static_selectorELNS0_4arch9wavefront6targetE1EEEvS14_
; %bb.0:
	.section	.rodata,"a",@progbits
	.p2align	6, 0x0
	.amdhsa_kernel _ZN7rocprim17ROCPRIM_400000_NS6detail17trampoline_kernelINS0_14default_configENS1_22reduce_config_selectorIN6thrust23THRUST_200600_302600_NS5tupleIblNS6_9null_typeES8_S8_S8_S8_S8_S8_S8_EEEEZNS1_11reduce_implILb1ES3_NS6_12zip_iteratorINS7_INS6_11hip_rocprim26transform_input_iterator_tIbNSD_35transform_pair_of_input_iterators_tIbNS6_6detail15normal_iteratorINS6_10device_ptrIKjEEEESL_NS6_8equal_toIjEEEENSG_9not_fun_tINSD_8identityEEEEENSD_19counting_iterator_tIlEES8_S8_S8_S8_S8_S8_S8_S8_EEEEPS9_S9_NSD_9__find_if7functorIS9_EEEE10hipError_tPvRmT1_T2_T3_mT4_P12ihipStream_tbEUlT_E1_NS1_11comp_targetILNS1_3genE5ELNS1_11target_archE942ELNS1_3gpuE9ELNS1_3repE0EEENS1_30default_config_static_selectorELNS0_4arch9wavefront6targetE1EEEvS14_
		.amdhsa_group_segment_fixed_size 0
		.amdhsa_private_segment_fixed_size 0
		.amdhsa_kernarg_size 88
		.amdhsa_user_sgpr_count 6
		.amdhsa_user_sgpr_private_segment_buffer 1
		.amdhsa_user_sgpr_dispatch_ptr 0
		.amdhsa_user_sgpr_queue_ptr 0
		.amdhsa_user_sgpr_kernarg_segment_ptr 1
		.amdhsa_user_sgpr_dispatch_id 0
		.amdhsa_user_sgpr_flat_scratch_init 0
		.amdhsa_user_sgpr_kernarg_preload_length 0
		.amdhsa_user_sgpr_kernarg_preload_offset 0
		.amdhsa_user_sgpr_private_segment_size 0
		.amdhsa_uses_dynamic_stack 0
		.amdhsa_system_sgpr_private_segment_wavefront_offset 0
		.amdhsa_system_sgpr_workgroup_id_x 1
		.amdhsa_system_sgpr_workgroup_id_y 0
		.amdhsa_system_sgpr_workgroup_id_z 0
		.amdhsa_system_sgpr_workgroup_info 0
		.amdhsa_system_vgpr_workitem_id 0
		.amdhsa_next_free_vgpr 1
		.amdhsa_next_free_sgpr 0
		.amdhsa_accum_offset 4
		.amdhsa_reserve_vcc 0
		.amdhsa_reserve_flat_scratch 0
		.amdhsa_float_round_mode_32 0
		.amdhsa_float_round_mode_16_64 0
		.amdhsa_float_denorm_mode_32 3
		.amdhsa_float_denorm_mode_16_64 3
		.amdhsa_dx10_clamp 1
		.amdhsa_ieee_mode 1
		.amdhsa_fp16_overflow 0
		.amdhsa_tg_split 0
		.amdhsa_exception_fp_ieee_invalid_op 0
		.amdhsa_exception_fp_denorm_src 0
		.amdhsa_exception_fp_ieee_div_zero 0
		.amdhsa_exception_fp_ieee_overflow 0
		.amdhsa_exception_fp_ieee_underflow 0
		.amdhsa_exception_fp_ieee_inexact 0
		.amdhsa_exception_int_div_zero 0
	.end_amdhsa_kernel
	.section	.text._ZN7rocprim17ROCPRIM_400000_NS6detail17trampoline_kernelINS0_14default_configENS1_22reduce_config_selectorIN6thrust23THRUST_200600_302600_NS5tupleIblNS6_9null_typeES8_S8_S8_S8_S8_S8_S8_EEEEZNS1_11reduce_implILb1ES3_NS6_12zip_iteratorINS7_INS6_11hip_rocprim26transform_input_iterator_tIbNSD_35transform_pair_of_input_iterators_tIbNS6_6detail15normal_iteratorINS6_10device_ptrIKjEEEESL_NS6_8equal_toIjEEEENSG_9not_fun_tINSD_8identityEEEEENSD_19counting_iterator_tIlEES8_S8_S8_S8_S8_S8_S8_S8_EEEEPS9_S9_NSD_9__find_if7functorIS9_EEEE10hipError_tPvRmT1_T2_T3_mT4_P12ihipStream_tbEUlT_E1_NS1_11comp_targetILNS1_3genE5ELNS1_11target_archE942ELNS1_3gpuE9ELNS1_3repE0EEENS1_30default_config_static_selectorELNS0_4arch9wavefront6targetE1EEEvS14_,"axG",@progbits,_ZN7rocprim17ROCPRIM_400000_NS6detail17trampoline_kernelINS0_14default_configENS1_22reduce_config_selectorIN6thrust23THRUST_200600_302600_NS5tupleIblNS6_9null_typeES8_S8_S8_S8_S8_S8_S8_EEEEZNS1_11reduce_implILb1ES3_NS6_12zip_iteratorINS7_INS6_11hip_rocprim26transform_input_iterator_tIbNSD_35transform_pair_of_input_iterators_tIbNS6_6detail15normal_iteratorINS6_10device_ptrIKjEEEESL_NS6_8equal_toIjEEEENSG_9not_fun_tINSD_8identityEEEEENSD_19counting_iterator_tIlEES8_S8_S8_S8_S8_S8_S8_S8_EEEEPS9_S9_NSD_9__find_if7functorIS9_EEEE10hipError_tPvRmT1_T2_T3_mT4_P12ihipStream_tbEUlT_E1_NS1_11comp_targetILNS1_3genE5ELNS1_11target_archE942ELNS1_3gpuE9ELNS1_3repE0EEENS1_30default_config_static_selectorELNS0_4arch9wavefront6targetE1EEEvS14_,comdat
.Lfunc_end161:
	.size	_ZN7rocprim17ROCPRIM_400000_NS6detail17trampoline_kernelINS0_14default_configENS1_22reduce_config_selectorIN6thrust23THRUST_200600_302600_NS5tupleIblNS6_9null_typeES8_S8_S8_S8_S8_S8_S8_EEEEZNS1_11reduce_implILb1ES3_NS6_12zip_iteratorINS7_INS6_11hip_rocprim26transform_input_iterator_tIbNSD_35transform_pair_of_input_iterators_tIbNS6_6detail15normal_iteratorINS6_10device_ptrIKjEEEESL_NS6_8equal_toIjEEEENSG_9not_fun_tINSD_8identityEEEEENSD_19counting_iterator_tIlEES8_S8_S8_S8_S8_S8_S8_S8_EEEEPS9_S9_NSD_9__find_if7functorIS9_EEEE10hipError_tPvRmT1_T2_T3_mT4_P12ihipStream_tbEUlT_E1_NS1_11comp_targetILNS1_3genE5ELNS1_11target_archE942ELNS1_3gpuE9ELNS1_3repE0EEENS1_30default_config_static_selectorELNS0_4arch9wavefront6targetE1EEEvS14_, .Lfunc_end161-_ZN7rocprim17ROCPRIM_400000_NS6detail17trampoline_kernelINS0_14default_configENS1_22reduce_config_selectorIN6thrust23THRUST_200600_302600_NS5tupleIblNS6_9null_typeES8_S8_S8_S8_S8_S8_S8_EEEEZNS1_11reduce_implILb1ES3_NS6_12zip_iteratorINS7_INS6_11hip_rocprim26transform_input_iterator_tIbNSD_35transform_pair_of_input_iterators_tIbNS6_6detail15normal_iteratorINS6_10device_ptrIKjEEEESL_NS6_8equal_toIjEEEENSG_9not_fun_tINSD_8identityEEEEENSD_19counting_iterator_tIlEES8_S8_S8_S8_S8_S8_S8_S8_EEEEPS9_S9_NSD_9__find_if7functorIS9_EEEE10hipError_tPvRmT1_T2_T3_mT4_P12ihipStream_tbEUlT_E1_NS1_11comp_targetILNS1_3genE5ELNS1_11target_archE942ELNS1_3gpuE9ELNS1_3repE0EEENS1_30default_config_static_selectorELNS0_4arch9wavefront6targetE1EEEvS14_
                                        ; -- End function
	.section	.AMDGPU.csdata,"",@progbits
; Kernel info:
; codeLenInByte = 0
; NumSgprs: 4
; NumVgprs: 0
; NumAgprs: 0
; TotalNumVgprs: 0
; ScratchSize: 0
; MemoryBound: 0
; FloatMode: 240
; IeeeMode: 1
; LDSByteSize: 0 bytes/workgroup (compile time only)
; SGPRBlocks: 0
; VGPRBlocks: 0
; NumSGPRsForWavesPerEU: 4
; NumVGPRsForWavesPerEU: 1
; AccumOffset: 4
; Occupancy: 8
; WaveLimiterHint : 0
; COMPUTE_PGM_RSRC2:SCRATCH_EN: 0
; COMPUTE_PGM_RSRC2:USER_SGPR: 6
; COMPUTE_PGM_RSRC2:TRAP_HANDLER: 0
; COMPUTE_PGM_RSRC2:TGID_X_EN: 1
; COMPUTE_PGM_RSRC2:TGID_Y_EN: 0
; COMPUTE_PGM_RSRC2:TGID_Z_EN: 0
; COMPUTE_PGM_RSRC2:TIDIG_COMP_CNT: 0
; COMPUTE_PGM_RSRC3_GFX90A:ACCUM_OFFSET: 0
; COMPUTE_PGM_RSRC3_GFX90A:TG_SPLIT: 0
	.section	.text._ZN7rocprim17ROCPRIM_400000_NS6detail17trampoline_kernelINS0_14default_configENS1_22reduce_config_selectorIN6thrust23THRUST_200600_302600_NS5tupleIblNS6_9null_typeES8_S8_S8_S8_S8_S8_S8_EEEEZNS1_11reduce_implILb1ES3_NS6_12zip_iteratorINS7_INS6_11hip_rocprim26transform_input_iterator_tIbNSD_35transform_pair_of_input_iterators_tIbNS6_6detail15normal_iteratorINS6_10device_ptrIKjEEEESL_NS6_8equal_toIjEEEENSG_9not_fun_tINSD_8identityEEEEENSD_19counting_iterator_tIlEES8_S8_S8_S8_S8_S8_S8_S8_EEEEPS9_S9_NSD_9__find_if7functorIS9_EEEE10hipError_tPvRmT1_T2_T3_mT4_P12ihipStream_tbEUlT_E1_NS1_11comp_targetILNS1_3genE4ELNS1_11target_archE910ELNS1_3gpuE8ELNS1_3repE0EEENS1_30default_config_static_selectorELNS0_4arch9wavefront6targetE1EEEvS14_,"axG",@progbits,_ZN7rocprim17ROCPRIM_400000_NS6detail17trampoline_kernelINS0_14default_configENS1_22reduce_config_selectorIN6thrust23THRUST_200600_302600_NS5tupleIblNS6_9null_typeES8_S8_S8_S8_S8_S8_S8_EEEEZNS1_11reduce_implILb1ES3_NS6_12zip_iteratorINS7_INS6_11hip_rocprim26transform_input_iterator_tIbNSD_35transform_pair_of_input_iterators_tIbNS6_6detail15normal_iteratorINS6_10device_ptrIKjEEEESL_NS6_8equal_toIjEEEENSG_9not_fun_tINSD_8identityEEEEENSD_19counting_iterator_tIlEES8_S8_S8_S8_S8_S8_S8_S8_EEEEPS9_S9_NSD_9__find_if7functorIS9_EEEE10hipError_tPvRmT1_T2_T3_mT4_P12ihipStream_tbEUlT_E1_NS1_11comp_targetILNS1_3genE4ELNS1_11target_archE910ELNS1_3gpuE8ELNS1_3repE0EEENS1_30default_config_static_selectorELNS0_4arch9wavefront6targetE1EEEvS14_,comdat
	.protected	_ZN7rocprim17ROCPRIM_400000_NS6detail17trampoline_kernelINS0_14default_configENS1_22reduce_config_selectorIN6thrust23THRUST_200600_302600_NS5tupleIblNS6_9null_typeES8_S8_S8_S8_S8_S8_S8_EEEEZNS1_11reduce_implILb1ES3_NS6_12zip_iteratorINS7_INS6_11hip_rocprim26transform_input_iterator_tIbNSD_35transform_pair_of_input_iterators_tIbNS6_6detail15normal_iteratorINS6_10device_ptrIKjEEEESL_NS6_8equal_toIjEEEENSG_9not_fun_tINSD_8identityEEEEENSD_19counting_iterator_tIlEES8_S8_S8_S8_S8_S8_S8_S8_EEEEPS9_S9_NSD_9__find_if7functorIS9_EEEE10hipError_tPvRmT1_T2_T3_mT4_P12ihipStream_tbEUlT_E1_NS1_11comp_targetILNS1_3genE4ELNS1_11target_archE910ELNS1_3gpuE8ELNS1_3repE0EEENS1_30default_config_static_selectorELNS0_4arch9wavefront6targetE1EEEvS14_ ; -- Begin function _ZN7rocprim17ROCPRIM_400000_NS6detail17trampoline_kernelINS0_14default_configENS1_22reduce_config_selectorIN6thrust23THRUST_200600_302600_NS5tupleIblNS6_9null_typeES8_S8_S8_S8_S8_S8_S8_EEEEZNS1_11reduce_implILb1ES3_NS6_12zip_iteratorINS7_INS6_11hip_rocprim26transform_input_iterator_tIbNSD_35transform_pair_of_input_iterators_tIbNS6_6detail15normal_iteratorINS6_10device_ptrIKjEEEESL_NS6_8equal_toIjEEEENSG_9not_fun_tINSD_8identityEEEEENSD_19counting_iterator_tIlEES8_S8_S8_S8_S8_S8_S8_S8_EEEEPS9_S9_NSD_9__find_if7functorIS9_EEEE10hipError_tPvRmT1_T2_T3_mT4_P12ihipStream_tbEUlT_E1_NS1_11comp_targetILNS1_3genE4ELNS1_11target_archE910ELNS1_3gpuE8ELNS1_3repE0EEENS1_30default_config_static_selectorELNS0_4arch9wavefront6targetE1EEEvS14_
	.globl	_ZN7rocprim17ROCPRIM_400000_NS6detail17trampoline_kernelINS0_14default_configENS1_22reduce_config_selectorIN6thrust23THRUST_200600_302600_NS5tupleIblNS6_9null_typeES8_S8_S8_S8_S8_S8_S8_EEEEZNS1_11reduce_implILb1ES3_NS6_12zip_iteratorINS7_INS6_11hip_rocprim26transform_input_iterator_tIbNSD_35transform_pair_of_input_iterators_tIbNS6_6detail15normal_iteratorINS6_10device_ptrIKjEEEESL_NS6_8equal_toIjEEEENSG_9not_fun_tINSD_8identityEEEEENSD_19counting_iterator_tIlEES8_S8_S8_S8_S8_S8_S8_S8_EEEEPS9_S9_NSD_9__find_if7functorIS9_EEEE10hipError_tPvRmT1_T2_T3_mT4_P12ihipStream_tbEUlT_E1_NS1_11comp_targetILNS1_3genE4ELNS1_11target_archE910ELNS1_3gpuE8ELNS1_3repE0EEENS1_30default_config_static_selectorELNS0_4arch9wavefront6targetE1EEEvS14_
	.p2align	8
	.type	_ZN7rocprim17ROCPRIM_400000_NS6detail17trampoline_kernelINS0_14default_configENS1_22reduce_config_selectorIN6thrust23THRUST_200600_302600_NS5tupleIblNS6_9null_typeES8_S8_S8_S8_S8_S8_S8_EEEEZNS1_11reduce_implILb1ES3_NS6_12zip_iteratorINS7_INS6_11hip_rocprim26transform_input_iterator_tIbNSD_35transform_pair_of_input_iterators_tIbNS6_6detail15normal_iteratorINS6_10device_ptrIKjEEEESL_NS6_8equal_toIjEEEENSG_9not_fun_tINSD_8identityEEEEENSD_19counting_iterator_tIlEES8_S8_S8_S8_S8_S8_S8_S8_EEEEPS9_S9_NSD_9__find_if7functorIS9_EEEE10hipError_tPvRmT1_T2_T3_mT4_P12ihipStream_tbEUlT_E1_NS1_11comp_targetILNS1_3genE4ELNS1_11target_archE910ELNS1_3gpuE8ELNS1_3repE0EEENS1_30default_config_static_selectorELNS0_4arch9wavefront6targetE1EEEvS14_,@function
_ZN7rocprim17ROCPRIM_400000_NS6detail17trampoline_kernelINS0_14default_configENS1_22reduce_config_selectorIN6thrust23THRUST_200600_302600_NS5tupleIblNS6_9null_typeES8_S8_S8_S8_S8_S8_S8_EEEEZNS1_11reduce_implILb1ES3_NS6_12zip_iteratorINS7_INS6_11hip_rocprim26transform_input_iterator_tIbNSD_35transform_pair_of_input_iterators_tIbNS6_6detail15normal_iteratorINS6_10device_ptrIKjEEEESL_NS6_8equal_toIjEEEENSG_9not_fun_tINSD_8identityEEEEENSD_19counting_iterator_tIlEES8_S8_S8_S8_S8_S8_S8_S8_EEEEPS9_S9_NSD_9__find_if7functorIS9_EEEE10hipError_tPvRmT1_T2_T3_mT4_P12ihipStream_tbEUlT_E1_NS1_11comp_targetILNS1_3genE4ELNS1_11target_archE910ELNS1_3gpuE8ELNS1_3repE0EEENS1_30default_config_static_selectorELNS0_4arch9wavefront6targetE1EEEvS14_: ; @_ZN7rocprim17ROCPRIM_400000_NS6detail17trampoline_kernelINS0_14default_configENS1_22reduce_config_selectorIN6thrust23THRUST_200600_302600_NS5tupleIblNS6_9null_typeES8_S8_S8_S8_S8_S8_S8_EEEEZNS1_11reduce_implILb1ES3_NS6_12zip_iteratorINS7_INS6_11hip_rocprim26transform_input_iterator_tIbNSD_35transform_pair_of_input_iterators_tIbNS6_6detail15normal_iteratorINS6_10device_ptrIKjEEEESL_NS6_8equal_toIjEEEENSG_9not_fun_tINSD_8identityEEEEENSD_19counting_iterator_tIlEES8_S8_S8_S8_S8_S8_S8_S8_EEEEPS9_S9_NSD_9__find_if7functorIS9_EEEE10hipError_tPvRmT1_T2_T3_mT4_P12ihipStream_tbEUlT_E1_NS1_11comp_targetILNS1_3genE4ELNS1_11target_archE910ELNS1_3gpuE8ELNS1_3repE0EEENS1_30default_config_static_selectorELNS0_4arch9wavefront6targetE1EEEvS14_
; %bb.0:
	s_load_dword s36, s[4:5], 0x4
	s_load_dwordx4 s[24:27], s[4:5], 0x8
	s_load_dwordx4 s[20:23], s[4:5], 0x28
	s_load_dword s33, s[4:5], 0x40
	s_load_dwordx2 s[18:19], s[4:5], 0x48
	s_waitcnt lgkmcnt(0)
	s_cmp_lt_i32 s36, 4
	s_cbranch_scc1 .LBB162_21
; %bb.1:
	s_cmp_gt_i32 s36, 7
	s_cbranch_scc0 .LBB162_22
; %bb.2:
	s_cmp_eq_u32 s36, 8
	s_mov_b64 s[28:29], 0
	s_cbranch_scc0 .LBB162_23
; %bb.3:
	s_mov_b32 s7, 0
	s_lshl_b32 s14, s6, 11
	s_mov_b32 s15, s7
	s_lshr_b64 s[0:1], s[22:23], 11
	s_lshl_b64 s[2:3], s[14:15], 2
	s_add_u32 s16, s24, s2
	s_addc_u32 s17, s25, s3
	s_add_u32 s30, s26, s2
	s_addc_u32 s31, s27, s3
	;; [unrolled: 2-line block ×3, first 2 shown]
	s_cmp_lg_u64 s[0:1], s[6:7]
	s_cbranch_scc0 .LBB162_44
; %bb.4:
	v_lshlrev_b32_e32 v1, 2, v0
	v_mov_b32_e32 v2, s17
	v_add_co_u32_e32 v3, vcc, s16, v1
	v_addc_co_u32_e32 v4, vcc, 0, v2, vcc
	v_mov_b32_e32 v2, s31
	v_add_co_u32_e32 v5, vcc, s30, v1
	v_addc_co_u32_e32 v6, vcc, 0, v2, vcc
	s_movk_i32 s0, 0x1000
	v_add_co_u32_e32 v2, vcc, s0, v3
	global_load_dword v7, v1, s[16:17]
	global_load_dword v8, v1, s[16:17] offset:1024
	global_load_dword v9, v1, s[16:17] offset:2048
	global_load_dword v10, v1, s[30:31] offset:1024
	global_load_dword v11, v1, s[30:31] offset:2048
	global_load_dword v12, v1, s[30:31] offset:3072
	global_load_dword v13, v1, s[30:31]
	global_load_dword v14, v1, s[16:17] offset:3072
	v_addc_co_u32_e32 v3, vcc, 0, v4, vcc
	v_add_co_u32_e32 v4, vcc, s0, v5
	global_load_dword v1, v[2:3], off
	v_addc_co_u32_e32 v5, vcc, 0, v6, vcc
	global_load_dword v6, v[4:5], off
	global_load_dword v15, v[2:3], off offset:2048
	global_load_dword v16, v[2:3], off offset:3072
	;; [unrolled: 1-line block ×6, first 2 shown]
	v_mov_b32_e32 v2, s38
	v_add_co_u32_e32 v25, vcc, s37, v0
	v_addc_co_u32_e32 v26, vcc, 0, v2, vcc
	v_mov_b32_e32 v3, 0x200
	v_mov_b32_e32 v4, 0x100
	;; [unrolled: 1-line block ×7, first 2 shown]
	s_waitcnt vmcnt(12)
	v_cmp_ne_u32_e64 s[0:1], v8, v10
	s_waitcnt vmcnt(11)
	v_cmp_ne_u32_e32 vcc, v9, v11
	v_cndmask_b32_e64 v2, v3, v4, s[0:1]
	s_waitcnt vmcnt(9)
	v_cmp_ne_u32_e64 s[8:9], v7, v13
	s_or_b64 s[12:13], s[8:9], s[0:1]
	s_waitcnt vmcnt(8)
	v_cmp_ne_u32_e64 s[2:3], v14, v12
	s_or_b64 vcc, s[12:13], vcc
	v_cndmask_b32_e64 v3, v5, v21, s[2:3]
	v_cndmask_b32_e64 v2, v2, 0, s[8:9]
	s_waitcnt vmcnt(6)
	v_cmp_ne_u32_e64 s[0:1], v1, v6
	s_or_b64 s[2:3], vcc, s[2:3]
	v_cndmask_b32_e32 v1, v3, v2, vcc
	s_waitcnt vmcnt(0)
	v_cmp_ne_u32_e64 s[12:13], v19, v20
	s_or_b64 vcc, s[2:3], s[0:1]
	v_cmp_ne_u32_e64 s[8:9], v15, v17
	v_cndmask_b32_e64 v2, v22, v23, s[12:13]
	s_or_b64 s[0:1], vcc, s[12:13]
	v_cndmask_b32_e32 v1, v2, v1, vcc
	s_or_b64 vcc, s[0:1], s[8:9]
	v_cndmask_b32_e32 v1, v24, v1, vcc
	v_add_co_u32_e64 v2, s[0:1], v25, v1
	v_cmp_ne_u32_e64 s[10:11], v16, v18
	v_addc_co_u32_e64 v3, s[0:1], 0, v26, s[0:1]
	s_or_b64 s[0:1], vcc, s[10:11]
	v_cndmask_b32_e64 v1, 0, 1, s[0:1]
	v_mov_b32_dpp v4, v2 quad_perm:[1,0,3,2] row_mask:0xf bank_mask:0xf bound_ctrl:1
	v_mov_b32_dpp v5, v3 quad_perm:[1,0,3,2] row_mask:0xf bank_mask:0xf bound_ctrl:1
	;; [unrolled: 1-line block ×3, first 2 shown]
	v_and_b32_e32 v7, 1, v6
	v_cmp_eq_u32_e32 vcc, 1, v7
	s_and_saveexec_b64 s[2:3], vcc
; %bb.5:
	v_cmp_lt_i64_e32 vcc, v[2:3], v[4:5]
	v_cndmask_b32_e64 v6, v6, 1, s[0:1]
	s_and_b64 vcc, s[0:1], vcc
	v_cndmask_b32_e32 v2, v4, v2, vcc
	v_and_b32_e32 v4, 1, v6
	v_cndmask_b32_e32 v3, v5, v3, vcc
	v_cmp_eq_u32_e32 vcc, 1, v4
	s_andn2_b64 s[0:1], s[0:1], exec
	s_and_b64 s[8:9], vcc, exec
	v_and_b32_e32 v1, 0xff, v6
	s_or_b64 s[0:1], s[0:1], s[8:9]
; %bb.6:
	s_or_b64 exec, exec, s[2:3]
	v_mov_b32_dpp v6, v1 quad_perm:[2,3,0,1] row_mask:0xf bank_mask:0xf bound_ctrl:1
	v_and_b32_e32 v7, 1, v6
	v_mov_b32_dpp v4, v2 quad_perm:[2,3,0,1] row_mask:0xf bank_mask:0xf bound_ctrl:1
	v_mov_b32_dpp v5, v3 quad_perm:[2,3,0,1] row_mask:0xf bank_mask:0xf bound_ctrl:1
	v_cmp_eq_u32_e32 vcc, 1, v7
	s_and_saveexec_b64 s[2:3], vcc
; %bb.7:
	v_cmp_lt_i64_e32 vcc, v[2:3], v[4:5]
	v_cndmask_b32_e64 v6, v6, 1, s[0:1]
	s_and_b64 vcc, s[0:1], vcc
	v_cndmask_b32_e32 v2, v4, v2, vcc
	v_and_b32_e32 v4, 1, v6
	v_cndmask_b32_e32 v3, v5, v3, vcc
	v_cmp_eq_u32_e32 vcc, 1, v4
	s_andn2_b64 s[0:1], s[0:1], exec
	s_and_b64 s[8:9], vcc, exec
	v_and_b32_e32 v1, 0xff, v6
	s_or_b64 s[0:1], s[0:1], s[8:9]
; %bb.8:
	s_or_b64 exec, exec, s[2:3]
	v_mov_b32_dpp v6, v1 row_ror:4 row_mask:0xf bank_mask:0xf bound_ctrl:1
	v_and_b32_e32 v7, 1, v6
	v_mov_b32_dpp v4, v2 row_ror:4 row_mask:0xf bank_mask:0xf bound_ctrl:1
	v_mov_b32_dpp v5, v3 row_ror:4 row_mask:0xf bank_mask:0xf bound_ctrl:1
	v_cmp_eq_u32_e32 vcc, 1, v7
	s_and_saveexec_b64 s[2:3], vcc
; %bb.9:
	v_cmp_lt_i64_e32 vcc, v[2:3], v[4:5]
	v_cndmask_b32_e64 v6, v6, 1, s[0:1]
	s_and_b64 vcc, s[0:1], vcc
	v_cndmask_b32_e32 v2, v4, v2, vcc
	v_and_b32_e32 v4, 1, v6
	v_cndmask_b32_e32 v3, v5, v3, vcc
	v_cmp_eq_u32_e32 vcc, 1, v4
	s_andn2_b64 s[0:1], s[0:1], exec
	s_and_b64 s[8:9], vcc, exec
	v_and_b32_e32 v1, 0xff, v6
	s_or_b64 s[0:1], s[0:1], s[8:9]
; %bb.10:
	s_or_b64 exec, exec, s[2:3]
	v_mov_b32_dpp v6, v1 row_ror:8 row_mask:0xf bank_mask:0xf bound_ctrl:1
	v_and_b32_e32 v7, 1, v6
	v_mov_b32_dpp v4, v2 row_ror:8 row_mask:0xf bank_mask:0xf bound_ctrl:1
	v_mov_b32_dpp v5, v3 row_ror:8 row_mask:0xf bank_mask:0xf bound_ctrl:1
	v_cmp_eq_u32_e32 vcc, 1, v7
	s_and_saveexec_b64 s[2:3], vcc
; %bb.11:
	v_cmp_lt_i64_e32 vcc, v[2:3], v[4:5]
	v_cndmask_b32_e64 v6, v6, 1, s[0:1]
	s_and_b64 vcc, s[0:1], vcc
	v_cndmask_b32_e32 v2, v4, v2, vcc
	v_and_b32_e32 v4, 1, v6
	v_cndmask_b32_e32 v3, v5, v3, vcc
	v_cmp_eq_u32_e32 vcc, 1, v4
	s_andn2_b64 s[0:1], s[0:1], exec
	s_and_b64 s[8:9], vcc, exec
	v_and_b32_e32 v1, 0xff, v6
	s_or_b64 s[0:1], s[0:1], s[8:9]
; %bb.12:
	s_or_b64 exec, exec, s[2:3]
	v_mov_b32_dpp v6, v1 row_bcast:15 row_mask:0xf bank_mask:0xf bound_ctrl:1
	v_and_b32_e32 v7, 1, v6
	v_mov_b32_dpp v4, v2 row_bcast:15 row_mask:0xf bank_mask:0xf bound_ctrl:1
	v_mov_b32_dpp v5, v3 row_bcast:15 row_mask:0xf bank_mask:0xf bound_ctrl:1
	v_cmp_eq_u32_e32 vcc, 1, v7
	s_and_saveexec_b64 s[2:3], vcc
; %bb.13:
	v_cmp_lt_i64_e32 vcc, v[2:3], v[4:5]
	v_cndmask_b32_e64 v6, v6, 1, s[0:1]
	s_and_b64 vcc, s[0:1], vcc
	v_cndmask_b32_e32 v2, v4, v2, vcc
	v_and_b32_e32 v4, 1, v6
	v_cndmask_b32_e32 v3, v5, v3, vcc
	v_cmp_eq_u32_e32 vcc, 1, v4
	s_andn2_b64 s[0:1], s[0:1], exec
	s_and_b64 s[8:9], vcc, exec
	v_and_b32_e32 v1, 0xff, v6
	s_or_b64 s[0:1], s[0:1], s[8:9]
; %bb.14:
	s_or_b64 exec, exec, s[2:3]
	v_mov_b32_dpp v6, v1 row_bcast:31 row_mask:0xf bank_mask:0xf bound_ctrl:1
	v_and_b32_e32 v7, 1, v6
	v_mov_b32_dpp v4, v2 row_bcast:31 row_mask:0xf bank_mask:0xf bound_ctrl:1
	v_mov_b32_dpp v5, v3 row_bcast:31 row_mask:0xf bank_mask:0xf bound_ctrl:1
	v_cmp_eq_u32_e32 vcc, 1, v7
	s_and_saveexec_b64 s[2:3], vcc
; %bb.15:
	v_cmp_lt_i64_e32 vcc, v[2:3], v[4:5]
	v_and_b32_e32 v1, 0xff, v6
	s_and_b64 vcc, s[0:1], vcc
	v_cndmask_b32_e32 v2, v4, v2, vcc
	v_cndmask_b32_e32 v3, v5, v3, vcc
	v_cndmask_b32_e64 v1, v1, 1, s[0:1]
; %bb.16:
	s_or_b64 exec, exec, s[2:3]
	v_mbcnt_lo_u32_b32 v4, -1, 0
	v_mbcnt_hi_u32_b32 v4, -1, v4
	v_bfrev_b32_e32 v5, 0.5
	v_lshl_or_b32 v5, v4, 2, v5
	ds_bpermute_b32 v7, v5, v1
	ds_bpermute_b32 v2, v5, v2
	;; [unrolled: 1-line block ×3, first 2 shown]
	v_cmp_eq_u32_e32 vcc, 0, v4
	s_and_saveexec_b64 s[0:1], vcc
	s_cbranch_execz .LBB162_18
; %bb.17:
	v_lshrrev_b32_e32 v1, 2, v0
	v_and_b32_e32 v1, 48, v1
	s_waitcnt lgkmcnt(2)
	ds_write_b8 v1, v7 offset:192
	s_waitcnt lgkmcnt(1)
	ds_write_b64 v1, v[2:3] offset:200
.LBB162_18:
	s_or_b64 exec, exec, s[0:1]
	v_cmp_gt_u32_e32 vcc, 64, v0
	s_waitcnt lgkmcnt(0)
	s_barrier
	s_and_saveexec_b64 s[2:3], vcc
	s_cbranch_execz .LBB162_20
; %bb.19:
	v_and_b32_e32 v1, 3, v4
	v_lshlrev_b32_e32 v2, 4, v1
	ds_read_u8 v5, v2 offset:192
	ds_read_b64 v[2:3], v2 offset:200
	v_cmp_ne_u32_e32 vcc, 3, v1
	v_addc_co_u32_e32 v6, vcc, 0, v4, vcc
	s_waitcnt lgkmcnt(1)
	v_and_b32_e32 v7, 0xff, v5
	v_lshlrev_b32_e32 v8, 2, v6
	ds_bpermute_b32 v9, v8, v7
	s_waitcnt lgkmcnt(1)
	ds_bpermute_b32 v6, v8, v2
	ds_bpermute_b32 v7, v8, v3
	v_and_b32_e32 v8, 1, v5
	s_waitcnt lgkmcnt(2)
	v_and_b32_e32 v10, 1, v9
	v_cmp_eq_u32_e64 s[0:1], 1, v10
	s_waitcnt lgkmcnt(0)
	v_cmp_lt_i64_e32 vcc, v[6:7], v[2:3]
	s_and_b64 vcc, s[0:1], vcc
	v_cndmask_b32_e64 v5, v5, 1, s[0:1]
	v_cndmask_b32_e32 v2, v2, v6, vcc
	v_cndmask_b32_e32 v3, v3, v7, vcc
	v_cmp_eq_u32_e32 vcc, 1, v8
	v_cndmask_b32_e32 v8, v9, v5, vcc
	v_cndmask_b32_e32 v3, v7, v3, vcc
	;; [unrolled: 1-line block ×3, first 2 shown]
	v_cmp_gt_u32_e32 vcc, 2, v1
	v_cndmask_b32_e64 v1, 0, 1, vcc
	v_lshlrev_b32_e32 v1, 1, v1
	v_and_b32_e32 v5, 0xff, v8
	v_add_lshl_u32 v1, v1, v4, 2
	ds_bpermute_b32 v6, v1, v5
	ds_bpermute_b32 v4, v1, v2
	;; [unrolled: 1-line block ×3, first 2 shown]
	v_and_b32_e32 v1, 1, v8
	s_waitcnt lgkmcnt(2)
	v_and_b32_e32 v7, 1, v6
	v_cmp_eq_u32_e64 s[0:1], 1, v7
	s_waitcnt lgkmcnt(0)
	v_cmp_lt_i64_e32 vcc, v[4:5], v[2:3]
	s_and_b64 vcc, s[0:1], vcc
	v_cndmask_b32_e64 v7, v8, 1, s[0:1]
	v_cndmask_b32_e32 v2, v2, v4, vcc
	v_cndmask_b32_e32 v3, v3, v5, vcc
	v_cmp_eq_u32_e32 vcc, 1, v1
	v_cndmask_b32_e32 v1, v6, v7, vcc
	v_cndmask_b32_e32 v3, v5, v3, vcc
	;; [unrolled: 1-line block ×3, first 2 shown]
	v_and_b32_e32 v7, 0xff, v1
.LBB162_20:
	s_or_b64 exec, exec, s[2:3]
	s_branch .LBB162_89
.LBB162_21:
	s_mov_b64 s[10:11], 0
                                        ; implicit-def: $vgpr4_vgpr5
                                        ; implicit-def: $vgpr1
	s_cbranch_execnz .LBB162_133
	s_branch .LBB162_208
.LBB162_22:
	s_mov_b64 s[28:29], -1
.LBB162_23:
	s_mov_b64 s[10:11], 0
                                        ; implicit-def: $vgpr4_vgpr5
                                        ; implicit-def: $vgpr1
	s_and_b64 vcc, exec, s[28:29]
	s_cbranch_vccz .LBB162_94
.LBB162_24:
	s_cmp_eq_u32 s36, 4
	s_cbranch_scc0 .LBB162_43
; %bb.25:
	s_mov_b32 s7, 0
	s_lshl_b32 s16, s6, 10
	s_mov_b32 s17, s7
	s_lshr_b64 s[0:1], s[22:23], 10
	s_lshl_b64 s[2:3], s[16:17], 2
	s_add_u32 s12, s24, s2
	s_addc_u32 s13, s25, s3
	s_add_u32 s14, s26, s2
	s_addc_u32 s15, s27, s3
	;; [unrolled: 2-line block ×3, first 2 shown]
	s_cmp_lg_u64 s[0:1], s[6:7]
	s_cbranch_scc0 .LBB162_95
; %bb.26:
	v_lshlrev_b32_e32 v1, 2, v0
	global_load_dword v2, v1, s[12:13] offset:2048
	global_load_dword v3, v1, s[14:15] offset:1024
	s_waitcnt lgkmcnt(1)
	global_load_dword v4, v1, s[14:15] offset:2048
	s_waitcnt lgkmcnt(0)
	global_load_dword v5, v1, s[14:15] offset:3072
	global_load_dword v6, v1, s[12:13] offset:3072
	;; [unrolled: 1-line block ×3, first 2 shown]
	global_load_dword v8, v1, s[14:15]
	global_load_dword v9, v1, s[12:13]
	v_mov_b32_e32 v1, s29
	v_add_co_u32_e32 v13, vcc, s28, v0
	v_mov_b32_e32 v10, 0x200
	v_mov_b32_e32 v11, 0x100
	v_addc_co_u32_e32 v1, vcc, 0, v1, vcc
	v_mov_b32_e32 v12, 0x300
	s_waitcnt vmcnt(5)
	v_cmp_ne_u32_e32 vcc, v2, v4
	s_waitcnt vmcnt(3)
	v_cmp_ne_u32_e64 s[0:1], v6, v5
	s_waitcnt vmcnt(2)
	v_cmp_ne_u32_e64 s[2:3], v7, v3
	v_cndmask_b32_e64 v2, v10, v11, s[2:3]
	s_waitcnt vmcnt(0)
	v_cmp_ne_u32_e64 s[8:9], v9, v8
	s_or_b64 s[2:3], s[8:9], s[2:3]
	v_cndmask_b32_e64 v2, v2, 0, s[8:9]
	s_or_b64 vcc, s[2:3], vcc
	v_cndmask_b32_e32 v2, v12, v2, vcc
	v_add_co_u32_e64 v2, s[2:3], v13, v2
	s_or_b64 s[0:1], vcc, s[0:1]
	v_addc_co_u32_e64 v3, s[2:3], 0, v1, s[2:3]
	v_cndmask_b32_e64 v1, 0, 1, s[0:1]
	v_mov_b32_dpp v4, v2 quad_perm:[1,0,3,2] row_mask:0xf bank_mask:0xf bound_ctrl:1
	v_mov_b32_dpp v5, v3 quad_perm:[1,0,3,2] row_mask:0xf bank_mask:0xf bound_ctrl:1
	;; [unrolled: 1-line block ×3, first 2 shown]
	v_and_b32_e32 v7, 1, v6
	v_cmp_eq_u32_e32 vcc, 1, v7
	s_and_saveexec_b64 s[2:3], vcc
; %bb.27:
	v_cmp_lt_i64_e32 vcc, v[2:3], v[4:5]
	v_cndmask_b32_e64 v6, v6, 1, s[0:1]
	s_and_b64 vcc, s[0:1], vcc
	v_cndmask_b32_e32 v2, v4, v2, vcc
	v_and_b32_e32 v4, 1, v6
	v_cndmask_b32_e32 v3, v5, v3, vcc
	v_cmp_eq_u32_e32 vcc, 1, v4
	s_andn2_b64 s[0:1], s[0:1], exec
	s_and_b64 s[8:9], vcc, exec
	v_and_b32_e32 v1, 0xff, v6
	s_or_b64 s[0:1], s[0:1], s[8:9]
; %bb.28:
	s_or_b64 exec, exec, s[2:3]
	v_mov_b32_dpp v6, v1 quad_perm:[2,3,0,1] row_mask:0xf bank_mask:0xf bound_ctrl:1
	v_and_b32_e32 v7, 1, v6
	v_mov_b32_dpp v4, v2 quad_perm:[2,3,0,1] row_mask:0xf bank_mask:0xf bound_ctrl:1
	v_mov_b32_dpp v5, v3 quad_perm:[2,3,0,1] row_mask:0xf bank_mask:0xf bound_ctrl:1
	v_cmp_eq_u32_e32 vcc, 1, v7
	s_and_saveexec_b64 s[2:3], vcc
; %bb.29:
	v_cmp_lt_i64_e32 vcc, v[2:3], v[4:5]
	v_cndmask_b32_e64 v6, v6, 1, s[0:1]
	s_and_b64 vcc, s[0:1], vcc
	v_cndmask_b32_e32 v2, v4, v2, vcc
	v_and_b32_e32 v4, 1, v6
	v_cndmask_b32_e32 v3, v5, v3, vcc
	v_cmp_eq_u32_e32 vcc, 1, v4
	s_andn2_b64 s[0:1], s[0:1], exec
	s_and_b64 s[8:9], vcc, exec
	v_and_b32_e32 v1, 0xff, v6
	s_or_b64 s[0:1], s[0:1], s[8:9]
; %bb.30:
	s_or_b64 exec, exec, s[2:3]
	v_mov_b32_dpp v6, v1 row_ror:4 row_mask:0xf bank_mask:0xf bound_ctrl:1
	v_and_b32_e32 v7, 1, v6
	v_mov_b32_dpp v4, v2 row_ror:4 row_mask:0xf bank_mask:0xf bound_ctrl:1
	v_mov_b32_dpp v5, v3 row_ror:4 row_mask:0xf bank_mask:0xf bound_ctrl:1
	v_cmp_eq_u32_e32 vcc, 1, v7
	s_and_saveexec_b64 s[2:3], vcc
; %bb.31:
	v_cmp_lt_i64_e32 vcc, v[2:3], v[4:5]
	v_cndmask_b32_e64 v6, v6, 1, s[0:1]
	s_and_b64 vcc, s[0:1], vcc
	v_cndmask_b32_e32 v2, v4, v2, vcc
	v_and_b32_e32 v4, 1, v6
	v_cndmask_b32_e32 v3, v5, v3, vcc
	v_cmp_eq_u32_e32 vcc, 1, v4
	s_andn2_b64 s[0:1], s[0:1], exec
	s_and_b64 s[8:9], vcc, exec
	v_and_b32_e32 v1, 0xff, v6
	s_or_b64 s[0:1], s[0:1], s[8:9]
; %bb.32:
	s_or_b64 exec, exec, s[2:3]
	v_mov_b32_dpp v6, v1 row_ror:8 row_mask:0xf bank_mask:0xf bound_ctrl:1
	v_and_b32_e32 v7, 1, v6
	v_mov_b32_dpp v4, v2 row_ror:8 row_mask:0xf bank_mask:0xf bound_ctrl:1
	v_mov_b32_dpp v5, v3 row_ror:8 row_mask:0xf bank_mask:0xf bound_ctrl:1
	v_cmp_eq_u32_e32 vcc, 1, v7
	s_and_saveexec_b64 s[2:3], vcc
; %bb.33:
	v_cmp_lt_i64_e32 vcc, v[2:3], v[4:5]
	v_cndmask_b32_e64 v6, v6, 1, s[0:1]
	s_and_b64 vcc, s[0:1], vcc
	v_cndmask_b32_e32 v2, v4, v2, vcc
	v_and_b32_e32 v4, 1, v6
	v_cndmask_b32_e32 v3, v5, v3, vcc
	v_cmp_eq_u32_e32 vcc, 1, v4
	s_andn2_b64 s[0:1], s[0:1], exec
	s_and_b64 s[8:9], vcc, exec
	v_and_b32_e32 v1, 0xff, v6
	s_or_b64 s[0:1], s[0:1], s[8:9]
; %bb.34:
	s_or_b64 exec, exec, s[2:3]
	v_mov_b32_dpp v6, v1 row_bcast:15 row_mask:0xf bank_mask:0xf bound_ctrl:1
	v_and_b32_e32 v7, 1, v6
	v_mov_b32_dpp v4, v2 row_bcast:15 row_mask:0xf bank_mask:0xf bound_ctrl:1
	v_mov_b32_dpp v5, v3 row_bcast:15 row_mask:0xf bank_mask:0xf bound_ctrl:1
	v_cmp_eq_u32_e32 vcc, 1, v7
	s_and_saveexec_b64 s[2:3], vcc
; %bb.35:
	v_cmp_lt_i64_e32 vcc, v[2:3], v[4:5]
	v_cndmask_b32_e64 v6, v6, 1, s[0:1]
	s_and_b64 vcc, s[0:1], vcc
	v_cndmask_b32_e32 v2, v4, v2, vcc
	v_and_b32_e32 v4, 1, v6
	v_cndmask_b32_e32 v3, v5, v3, vcc
	v_cmp_eq_u32_e32 vcc, 1, v4
	s_andn2_b64 s[0:1], s[0:1], exec
	s_and_b64 s[8:9], vcc, exec
	v_and_b32_e32 v1, 0xff, v6
	s_or_b64 s[0:1], s[0:1], s[8:9]
; %bb.36:
	s_or_b64 exec, exec, s[2:3]
	v_mov_b32_dpp v6, v1 row_bcast:31 row_mask:0xf bank_mask:0xf bound_ctrl:1
	v_and_b32_e32 v7, 1, v6
	v_mov_b32_dpp v4, v2 row_bcast:31 row_mask:0xf bank_mask:0xf bound_ctrl:1
	v_mov_b32_dpp v5, v3 row_bcast:31 row_mask:0xf bank_mask:0xf bound_ctrl:1
	v_cmp_eq_u32_e32 vcc, 1, v7
	s_and_saveexec_b64 s[2:3], vcc
; %bb.37:
	v_cmp_lt_i64_e32 vcc, v[2:3], v[4:5]
	v_and_b32_e32 v1, 0xff, v6
	s_and_b64 vcc, s[0:1], vcc
	v_cndmask_b32_e32 v2, v4, v2, vcc
	v_cndmask_b32_e32 v3, v5, v3, vcc
	v_cndmask_b32_e64 v1, v1, 1, s[0:1]
; %bb.38:
	s_or_b64 exec, exec, s[2:3]
	v_mbcnt_lo_u32_b32 v4, -1, 0
	v_mbcnt_hi_u32_b32 v4, -1, v4
	v_bfrev_b32_e32 v5, 0.5
	v_lshl_or_b32 v5, v4, 2, v5
	ds_bpermute_b32 v6, v5, v1
	ds_bpermute_b32 v2, v5, v2
	ds_bpermute_b32 v3, v5, v3
	v_cmp_eq_u32_e32 vcc, 0, v4
	s_and_saveexec_b64 s[0:1], vcc
	s_cbranch_execz .LBB162_40
; %bb.39:
	v_lshrrev_b32_e32 v1, 2, v0
	v_and_b32_e32 v1, 48, v1
	s_waitcnt lgkmcnt(2)
	ds_write_b8 v1, v6 offset:128
	s_waitcnt lgkmcnt(1)
	ds_write_b64 v1, v[2:3] offset:136
.LBB162_40:
	s_or_b64 exec, exec, s[0:1]
	v_cmp_gt_u32_e32 vcc, 64, v0
	s_waitcnt lgkmcnt(0)
	s_barrier
	s_and_saveexec_b64 s[2:3], vcc
	s_cbranch_execz .LBB162_42
; %bb.41:
	v_and_b32_e32 v1, 3, v4
	v_lshlrev_b32_e32 v2, 4, v1
	ds_read_u8 v5, v2 offset:128
	ds_read_b64 v[2:3], v2 offset:136
	v_cmp_ne_u32_e32 vcc, 3, v1
	v_addc_co_u32_e32 v6, vcc, 0, v4, vcc
	s_waitcnt lgkmcnt(1)
	v_and_b32_e32 v7, 0xff, v5
	v_lshlrev_b32_e32 v8, 2, v6
	ds_bpermute_b32 v9, v8, v7
	s_waitcnt lgkmcnt(1)
	ds_bpermute_b32 v6, v8, v2
	ds_bpermute_b32 v7, v8, v3
	v_and_b32_e32 v8, 1, v5
	s_waitcnt lgkmcnt(2)
	v_and_b32_e32 v10, 1, v9
	v_cmp_eq_u32_e64 s[0:1], 1, v10
	s_waitcnt lgkmcnt(0)
	v_cmp_lt_i64_e32 vcc, v[6:7], v[2:3]
	s_and_b64 vcc, s[0:1], vcc
	v_cndmask_b32_e64 v5, v5, 1, s[0:1]
	v_cndmask_b32_e32 v2, v2, v6, vcc
	v_cndmask_b32_e32 v3, v3, v7, vcc
	v_cmp_eq_u32_e32 vcc, 1, v8
	v_cndmask_b32_e32 v8, v9, v5, vcc
	v_cndmask_b32_e32 v3, v7, v3, vcc
	;; [unrolled: 1-line block ×3, first 2 shown]
	v_cmp_gt_u32_e32 vcc, 2, v1
	v_cndmask_b32_e64 v1, 0, 1, vcc
	v_lshlrev_b32_e32 v1, 1, v1
	v_and_b32_e32 v5, 0xff, v8
	v_add_lshl_u32 v1, v1, v4, 2
	ds_bpermute_b32 v6, v1, v5
	ds_bpermute_b32 v4, v1, v2
	;; [unrolled: 1-line block ×3, first 2 shown]
	v_and_b32_e32 v1, 1, v8
	s_waitcnt lgkmcnt(2)
	v_and_b32_e32 v7, 1, v6
	v_cmp_eq_u32_e64 s[0:1], 1, v7
	s_waitcnt lgkmcnt(0)
	v_cmp_lt_i64_e32 vcc, v[4:5], v[2:3]
	s_and_b64 vcc, s[0:1], vcc
	v_cndmask_b32_e64 v7, v8, 1, s[0:1]
	v_cndmask_b32_e32 v2, v2, v4, vcc
	v_cndmask_b32_e32 v3, v3, v5, vcc
	v_cmp_eq_u32_e32 vcc, 1, v1
	v_cndmask_b32_e32 v1, v6, v7, vcc
	v_cndmask_b32_e32 v3, v5, v3, vcc
	;; [unrolled: 1-line block ×3, first 2 shown]
	v_and_b32_e32 v6, 0xff, v1
.LBB162_42:
	s_or_b64 exec, exec, s[2:3]
	s_branch .LBB162_128
.LBB162_43:
                                        ; implicit-def: $vgpr4_vgpr5
                                        ; implicit-def: $vgpr1
	s_branch .LBB162_208
.LBB162_44:
                                        ; implicit-def: $vgpr2_vgpr3
                                        ; implicit-def: $vgpr7
	s_cbranch_execz .LBB162_89
; %bb.45:
	s_sub_i32 s39, s22, s14
	v_pk_mov_b32 v[4:5], 0, 0
	v_cmp_gt_u32_e32 vcc, s39, v0
	v_mov_b32_e32 v18, 0
	v_pk_mov_b32 v[2:3], v[4:5], v[4:5] op_sel:[0,1]
	v_mov_b32_e32 v1, 0
	s_and_saveexec_b64 s[0:1], vcc
	s_cbranch_execz .LBB162_47
; %bb.46:
	v_lshlrev_b32_e32 v1, 2, v0
	global_load_dword v6, v1, s[16:17]
	global_load_dword v7, v1, s[30:31]
	v_mov_b32_e32 v1, s38
	v_add_co_u32_e32 v2, vcc, s37, v0
	v_addc_co_u32_e32 v3, vcc, 0, v1, vcc
	s_waitcnt vmcnt(0)
	v_cmp_ne_u32_e32 vcc, v6, v7
	v_cndmask_b32_e64 v1, 0, 1, vcc
.LBB162_47:
	s_or_b64 exec, exec, s[0:1]
	v_or_b32_e32 v6, 0x100, v0
	v_cmp_gt_u32_e64 s[8:9], s39, v6
	s_and_saveexec_b64 s[0:1], s[8:9]
	s_cbranch_execz .LBB162_49
; %bb.48:
	v_lshlrev_b32_e32 v4, 2, v0
	global_load_dword v7, v4, s[16:17] offset:1024
	global_load_dword v8, v4, s[30:31] offset:1024
	v_mov_b32_e32 v5, s38
	v_add_co_u32_e32 v4, vcc, s37, v6
	v_addc_co_u32_e32 v5, vcc, 0, v5, vcc
	s_waitcnt vmcnt(0)
	v_cmp_ne_u32_e32 vcc, v7, v8
	v_cndmask_b32_e64 v18, 0, 1, vcc
.LBB162_49:
	s_or_b64 exec, exec, s[0:1]
	v_or_b32_e32 v8, 0x200, v0
	v_pk_mov_b32 v[6:7], 0, 0
	v_cmp_gt_u32_e32 vcc, s39, v8
	v_mov_b32_e32 v19, 0
	v_pk_mov_b32 v[12:13], v[6:7], v[6:7] op_sel:[0,1]
	v_mov_b32_e32 v23, 0
	s_and_saveexec_b64 s[2:3], vcc
	s_cbranch_execz .LBB162_51
; %bb.50:
	v_lshlrev_b32_e32 v9, 2, v0
	global_load_dword v10, v9, s[16:17] offset:2048
	global_load_dword v11, v9, s[30:31] offset:2048
	v_mov_b32_e32 v9, s38
	v_add_co_u32_e64 v12, s[0:1], s37, v8
	v_addc_co_u32_e64 v13, s[0:1], 0, v9, s[0:1]
	s_waitcnt vmcnt(0)
	v_cmp_ne_u32_e64 s[0:1], v10, v11
	v_cndmask_b32_e64 v23, 0, 1, s[0:1]
.LBB162_51:
	s_or_b64 exec, exec, s[2:3]
	v_or_b32_e32 v8, 0x300, v0
	v_cmp_gt_u32_e64 s[10:11], s39, v8
	s_and_saveexec_b64 s[2:3], s[10:11]
	s_cbranch_execz .LBB162_53
; %bb.52:
	v_lshlrev_b32_e32 v6, 2, v0
	global_load_dword v9, v6, s[16:17] offset:3072
	global_load_dword v10, v6, s[30:31] offset:3072
	v_mov_b32_e32 v7, s38
	v_add_co_u32_e64 v6, s[0:1], s37, v8
	v_addc_co_u32_e64 v7, s[0:1], 0, v7, s[0:1]
	s_waitcnt vmcnt(0)
	v_cmp_ne_u32_e64 s[0:1], v9, v10
	v_cndmask_b32_e64 v19, 0, 1, s[0:1]
.LBB162_53:
	s_or_b64 exec, exec, s[2:3]
	v_or_b32_e32 v10, 0x400, v0
	v_pk_mov_b32 v[8:9], 0, 0
	v_cmp_gt_u32_e64 s[0:1], s39, v10
	v_mov_b32_e32 v20, 0
	v_pk_mov_b32 v[14:15], v[8:9], v[8:9] op_sel:[0,1]
	v_mov_b32_e32 v24, 0
	s_and_saveexec_b64 s[12:13], s[0:1]
	s_cbranch_execz .LBB162_55
; %bb.54:
	v_lshlrev_b32_e32 v11, 2, v10
	global_load_dword v16, v11, s[16:17]
	global_load_dword v17, v11, s[30:31]
	v_mov_b32_e32 v11, s38
	v_add_co_u32_e64 v14, s[2:3], s37, v10
	v_addc_co_u32_e64 v15, s[2:3], 0, v11, s[2:3]
	s_waitcnt vmcnt(0)
	v_cmp_ne_u32_e64 s[2:3], v16, v17
	v_cndmask_b32_e64 v24, 0, 1, s[2:3]
.LBB162_55:
	s_or_b64 exec, exec, s[12:13]
	v_or_b32_e32 v10, 0x500, v0
	v_cmp_gt_u32_e64 s[12:13], s39, v10
	s_and_saveexec_b64 s[14:15], s[12:13]
	s_cbranch_execz .LBB162_57
; %bb.56:
	v_lshlrev_b32_e32 v8, 2, v10
	global_load_dword v11, v8, s[16:17]
	global_load_dword v16, v8, s[30:31]
	v_mov_b32_e32 v9, s38
	v_add_co_u32_e64 v8, s[2:3], s37, v10
	v_addc_co_u32_e64 v9, s[2:3], 0, v9, s[2:3]
	s_waitcnt vmcnt(0)
	v_cmp_ne_u32_e64 s[2:3], v11, v16
	v_cndmask_b32_e64 v20, 0, 1, s[2:3]
.LBB162_57:
	s_or_b64 exec, exec, s[14:15]
	v_or_b32_e32 v25, 0x600, v0
	v_pk_mov_b32 v[10:11], 0, 0
	v_cmp_gt_u32_e64 s[2:3], s39, v25
	v_mov_b32_e32 v21, 0
	v_mov_b32_e32 v22, 0
	v_pk_mov_b32 v[16:17], v[10:11], v[10:11] op_sel:[0,1]
	s_and_saveexec_b64 s[34:35], s[2:3]
	s_cbranch_execz .LBB162_59
; %bb.58:
	v_lshlrev_b32_e32 v16, 2, v25
	global_load_dword v22, v16, s[16:17]
	global_load_dword v26, v16, s[30:31]
	v_mov_b32_e32 v17, s38
	v_add_co_u32_e64 v16, s[14:15], s37, v25
	v_addc_co_u32_e64 v17, s[14:15], 0, v17, s[14:15]
	s_waitcnt vmcnt(0)
	v_cmp_ne_u32_e64 s[14:15], v22, v26
	v_cndmask_b32_e64 v22, 0, 1, s[14:15]
.LBB162_59:
	s_or_b64 exec, exec, s[34:35]
	v_or_b32_e32 v25, 0x700, v0
	v_cmp_gt_u32_e64 s[14:15], s39, v25
	s_and_saveexec_b64 s[34:35], s[14:15]
	s_cbranch_execnz .LBB162_240
; %bb.60:
	s_or_b64 exec, exec, s[34:35]
	s_and_saveexec_b64 s[30:31], s[8:9]
	s_cbranch_execnz .LBB162_241
.LBB162_61:
	s_or_b64 exec, exec, s[30:31]
	s_and_saveexec_b64 s[16:17], vcc
	s_cbranch_execnz .LBB162_242
.LBB162_62:
	s_or_b64 exec, exec, s[16:17]
	s_and_saveexec_b64 s[16:17], s[10:11]
	s_cbranch_execnz .LBB162_243
.LBB162_63:
	s_or_b64 exec, exec, s[16:17]
	s_and_saveexec_b64 s[8:9], s[0:1]
	s_cbranch_execnz .LBB162_244
.LBB162_64:
	s_or_b64 exec, exec, s[8:9]
	s_and_saveexec_b64 s[8:9], s[12:13]
	s_cbranch_execnz .LBB162_245
.LBB162_65:
	s_or_b64 exec, exec, s[8:9]
	s_and_saveexec_b64 s[8:9], s[2:3]
	s_cbranch_execnz .LBB162_246
.LBB162_66:
	s_or_b64 exec, exec, s[8:9]
	s_and_saveexec_b64 s[2:3], s[14:15]
	s_cbranch_execz .LBB162_68
.LBB162_67:
	v_and_b32_e32 v5, 1, v21
	v_cmp_lt_i64_e32 vcc, v[10:11], v[2:3]
	v_cmp_eq_u32_e64 s[0:1], 1, v5
	v_and_b32_e32 v4, 1, v1
	s_and_b64 vcc, s[0:1], vcc
	v_cndmask_b32_e64 v1, v1, 1, s[0:1]
	v_cndmask_b32_e32 v2, v2, v10, vcc
	v_cndmask_b32_e32 v3, v3, v11, vcc
	v_cmp_eq_u32_e32 vcc, 1, v4
	v_cndmask_b32_e32 v1, v21, v1, vcc
	v_cndmask_b32_e32 v3, v11, v3, vcc
	;; [unrolled: 1-line block ×3, first 2 shown]
.LBB162_68:
	s_or_b64 exec, exec, s[2:3]
	v_mbcnt_lo_u32_b32 v4, -1, 0
	v_mbcnt_hi_u32_b32 v6, -1, v4
	v_and_b32_e32 v8, 63, v6
	v_cmp_ne_u32_e32 vcc, 63, v8
	v_addc_co_u32_e32 v4, vcc, 0, v6, vcc
	v_and_b32_e32 v7, 0xffff, v1
	v_lshlrev_b32_e32 v5, 2, v4
	ds_bpermute_b32 v11, v5, v7
	ds_bpermute_b32 v4, v5, v2
	;; [unrolled: 1-line block ×3, first 2 shown]
	s_min_u32 s8, s39, 0x100
	v_and_b32_e32 v9, 0xc0, v0
	v_sub_u32_e64 v10, s8, v9 clamp
	v_add_u32_e32 v9, 1, v8
	v_cmp_lt_u32_e32 vcc, v9, v10
	v_mov_b32_e32 v9, v7
	s_and_saveexec_b64 s[0:1], vcc
	s_xor_b64 s[2:3], exec, s[0:1]
	s_cbranch_execz .LBB162_70
; %bb.69:
	s_waitcnt lgkmcnt(2)
	v_and_b32_e32 v9, 1, v11
	s_waitcnt lgkmcnt(0)
	v_cmp_lt_i64_e32 vcc, v[4:5], v[2:3]
	v_cmp_eq_u32_e64 s[0:1], 1, v9
	v_and_b32_e32 v1, 1, v1
	s_and_b64 vcc, s[0:1], vcc
	v_cndmask_b32_e64 v7, v7, 1, s[0:1]
	v_cndmask_b32_e32 v2, v2, v4, vcc
	v_cndmask_b32_e32 v3, v3, v5, vcc
	v_cmp_eq_u32_e32 vcc, 1, v1
	v_cndmask_b32_e32 v9, v11, v7, vcc
	v_cndmask_b32_e32 v3, v5, v3, vcc
	;; [unrolled: 1-line block ×3, first 2 shown]
	v_and_b32_e32 v7, 0xff, v9
.LBB162_70:
	s_or_b64 exec, exec, s[2:3]
	v_cmp_gt_u32_e32 vcc, 62, v8
	v_cndmask_b32_e64 v1, 0, 1, vcc
	v_lshlrev_b32_e32 v1, 1, v1
	s_waitcnt lgkmcnt(0)
	v_add_lshl_u32 v5, v1, v6, 2
	ds_bpermute_b32 v1, v5, v7
	ds_bpermute_b32 v4, v5, v2
	ds_bpermute_b32 v5, v5, v3
	v_add_u32_e32 v11, 2, v8
	v_cmp_lt_u32_e32 vcc, v11, v10
	s_and_saveexec_b64 s[2:3], vcc
	s_cbranch_execz .LBB162_72
; %bb.71:
	s_waitcnt lgkmcnt(2)
	v_and_b32_e32 v11, 1, v1
	s_waitcnt lgkmcnt(0)
	v_cmp_lt_i64_e32 vcc, v[4:5], v[2:3]
	v_cmp_eq_u32_e64 s[0:1], 1, v11
	v_and_b32_e32 v7, 1, v9
	s_and_b64 vcc, s[0:1], vcc
	v_cndmask_b32_e64 v9, v9, 1, s[0:1]
	v_cndmask_b32_e32 v2, v2, v4, vcc
	v_cndmask_b32_e32 v3, v3, v5, vcc
	v_cmp_eq_u32_e32 vcc, 1, v7
	v_cndmask_b32_e32 v9, v1, v9, vcc
	v_cndmask_b32_e32 v3, v5, v3, vcc
	v_cndmask_b32_e32 v2, v4, v2, vcc
	v_and_b32_e32 v7, 0xff, v9
.LBB162_72:
	s_or_b64 exec, exec, s[2:3]
	v_cmp_gt_u32_e32 vcc, 60, v8
	s_waitcnt lgkmcnt(2)
	v_cndmask_b32_e64 v1, 0, 1, vcc
	v_lshlrev_b32_e32 v1, 2, v1
	s_waitcnt lgkmcnt(0)
	v_add_lshl_u32 v5, v1, v6, 2
	ds_bpermute_b32 v1, v5, v7
	ds_bpermute_b32 v4, v5, v2
	ds_bpermute_b32 v5, v5, v3
	v_add_u32_e32 v11, 4, v8
	v_cmp_lt_u32_e32 vcc, v11, v10
	s_and_saveexec_b64 s[2:3], vcc
	s_cbranch_execz .LBB162_74
; %bb.73:
	s_waitcnt lgkmcnt(2)
	v_and_b32_e32 v11, 1, v1
	s_waitcnt lgkmcnt(0)
	v_cmp_lt_i64_e32 vcc, v[4:5], v[2:3]
	v_cmp_eq_u32_e64 s[0:1], 1, v11
	v_and_b32_e32 v7, 1, v9
	s_and_b64 vcc, s[0:1], vcc
	v_cndmask_b32_e64 v9, v9, 1, s[0:1]
	v_cndmask_b32_e32 v2, v2, v4, vcc
	v_cndmask_b32_e32 v3, v3, v5, vcc
	v_cmp_eq_u32_e32 vcc, 1, v7
	v_cndmask_b32_e32 v9, v1, v9, vcc
	v_cndmask_b32_e32 v3, v5, v3, vcc
	v_cndmask_b32_e32 v2, v4, v2, vcc
	v_and_b32_e32 v7, 0xff, v9
.LBB162_74:
	s_or_b64 exec, exec, s[2:3]
	v_cmp_gt_u32_e32 vcc, 56, v8
	s_waitcnt lgkmcnt(2)
	;; [unrolled: 31-line block ×4, first 2 shown]
	v_cndmask_b32_e64 v1, 0, 1, vcc
	v_lshlrev_b32_e32 v1, 5, v1
	s_waitcnt lgkmcnt(0)
	v_add_lshl_u32 v5, v1, v6, 2
	ds_bpermute_b32 v1, v5, v7
	ds_bpermute_b32 v4, v5, v2
	;; [unrolled: 1-line block ×3, first 2 shown]
	v_add_u32_e32 v8, 32, v8
	v_cmp_lt_u32_e32 vcc, v8, v10
	s_and_saveexec_b64 s[2:3], vcc
	s_cbranch_execz .LBB162_80
; %bb.79:
	s_waitcnt lgkmcnt(2)
	v_and_b32_e32 v8, 1, v1
	s_waitcnt lgkmcnt(0)
	v_cmp_lt_i64_e32 vcc, v[4:5], v[2:3]
	v_cmp_eq_u32_e64 s[0:1], 1, v8
	v_and_b32_e32 v7, 1, v9
	s_and_b64 vcc, s[0:1], vcc
	v_cndmask_b32_e64 v8, v9, 1, s[0:1]
	v_cndmask_b32_e32 v2, v2, v4, vcc
	v_cndmask_b32_e32 v3, v3, v5, vcc
	v_cmp_eq_u32_e32 vcc, 1, v7
	v_cndmask_b32_e32 v9, v1, v8, vcc
	v_cndmask_b32_e32 v3, v5, v3, vcc
	;; [unrolled: 1-line block ×3, first 2 shown]
	v_and_b32_e32 v7, 0xff, v9
.LBB162_80:
	s_or_b64 exec, exec, s[2:3]
	v_cmp_eq_u32_e32 vcc, 0, v6
	s_and_saveexec_b64 s[0:1], vcc
	s_cbranch_execz .LBB162_82
; %bb.81:
	s_waitcnt lgkmcnt(2)
	v_lshrrev_b32_e32 v1, 2, v0
	v_and_b32_e32 v1, 48, v1
	ds_write_b8 v1, v9 offset:256
	ds_write_b64 v1, v[2:3] offset:264
.LBB162_82:
	s_or_b64 exec, exec, s[0:1]
	v_cmp_gt_u32_e32 vcc, 4, v0
	s_waitcnt lgkmcnt(0)
	s_barrier
	s_and_saveexec_b64 s[2:3], vcc
	s_cbranch_execz .LBB162_88
; %bb.83:
	v_lshlrev_b32_e32 v2, 4, v6
	ds_read_u8 v1, v2 offset:256
	ds_read_b64 v[2:3], v2 offset:264
	v_and_b32_e32 v8, 3, v6
	v_cmp_ne_u32_e32 vcc, 3, v8
	v_addc_co_u32_e32 v4, vcc, 0, v6, vcc
	s_waitcnt lgkmcnt(1)
	v_and_b32_e32 v7, 0xff, v1
	v_lshlrev_b32_e32 v5, 2, v4
	ds_bpermute_b32 v9, v5, v7
	s_waitcnt lgkmcnt(1)
	ds_bpermute_b32 v4, v5, v2
	ds_bpermute_b32 v5, v5, v3
	s_add_i32 s8, s8, 63
	s_lshr_b32 s10, s8, 6
	v_add_u32_e32 v10, 1, v8
	v_cmp_gt_u32_e32 vcc, s10, v10
	s_and_saveexec_b64 s[8:9], vcc
	s_cbranch_execz .LBB162_85
; %bb.84:
	s_waitcnt lgkmcnt(2)
	v_and_b32_e32 v10, 1, v9
	s_waitcnt lgkmcnt(0)
	v_cmp_lt_i64_e32 vcc, v[4:5], v[2:3]
	v_cmp_eq_u32_e64 s[0:1], 1, v10
	v_and_b32_e32 v7, 1, v1
	s_and_b64 vcc, s[0:1], vcc
	v_cndmask_b32_e64 v1, v1, 1, s[0:1]
	v_cndmask_b32_e32 v2, v2, v4, vcc
	v_cndmask_b32_e32 v3, v3, v5, vcc
	v_cmp_eq_u32_e32 vcc, 1, v7
	v_cndmask_b32_e32 v1, v9, v1, vcc
	v_cndmask_b32_e32 v3, v5, v3, vcc
	;; [unrolled: 1-line block ×3, first 2 shown]
	v_and_b32_e32 v7, 0xff, v1
.LBB162_85:
	s_or_b64 exec, exec, s[8:9]
	v_cmp_gt_u32_e32 vcc, 2, v8
	s_waitcnt lgkmcnt(1)
	v_cndmask_b32_e64 v4, 0, 1, vcc
	v_lshlrev_b32_e32 v4, 1, v4
	s_waitcnt lgkmcnt(0)
	v_add_lshl_u32 v5, v4, v6, 2
	ds_bpermute_b32 v6, v5, v7
	ds_bpermute_b32 v4, v5, v2
	;; [unrolled: 1-line block ×3, first 2 shown]
	v_add_u32_e32 v8, 2, v8
	v_cmp_gt_u32_e32 vcc, s10, v8
	s_and_saveexec_b64 s[8:9], vcc
	s_cbranch_execz .LBB162_87
; %bb.86:
	s_waitcnt lgkmcnt(2)
	v_and_b32_e32 v8, 1, v6
	s_waitcnt lgkmcnt(0)
	v_cmp_lt_i64_e32 vcc, v[4:5], v[2:3]
	v_cmp_eq_u32_e64 s[0:1], 1, v8
	v_and_b32_e32 v7, 1, v1
	s_and_b64 vcc, s[0:1], vcc
	v_cndmask_b32_e64 v1, v1, 1, s[0:1]
	v_cndmask_b32_e32 v2, v2, v4, vcc
	v_cndmask_b32_e32 v3, v3, v5, vcc
	v_cmp_eq_u32_e32 vcc, 1, v7
	v_cndmask_b32_e32 v1, v6, v1, vcc
	v_cndmask_b32_e32 v3, v5, v3, vcc
	;; [unrolled: 1-line block ×3, first 2 shown]
	v_and_b32_e32 v7, 0xff, v1
.LBB162_87:
	s_or_b64 exec, exec, s[8:9]
.LBB162_88:
	s_or_b64 exec, exec, s[2:3]
.LBB162_89:
	v_cmp_eq_u32_e32 vcc, 0, v0
	s_mov_b64 s[10:11], 0
                                        ; implicit-def: $vgpr4_vgpr5
                                        ; implicit-def: $vgpr1
	s_and_saveexec_b64 s[0:1], vcc
	s_xor_b64 s[8:9], exec, s[0:1]
	s_cbranch_execz .LBB162_93
; %bb.90:
	s_cmp_eq_u64 s[22:23], 0
	s_waitcnt lgkmcnt(0)
	v_pk_mov_b32 v[4:5], s[18:19], s[18:19] op_sel:[0,1]
	v_mov_b32_e32 v1, s33
	s_cbranch_scc1 .LBB162_92
; %bb.91:
	v_and_b32_e32 v1, 1, v7
	s_bitcmp1_b32 s33, 0
	v_mov_b32_e32 v4, s33
	v_cmp_eq_u32_e32 vcc, 1, v1
	v_cmp_gt_i64_e64 s[2:3], s[18:19], v[2:3]
	v_cndmask_b32_e64 v1, v4, 1, vcc
	s_cselect_b64 s[0:1], -1, 0
	v_mov_b32_e32 v4, s18
	s_and_b64 vcc, vcc, s[2:3]
	v_mov_b32_e32 v5, s19
	v_cndmask_b32_e32 v4, v4, v2, vcc
	v_cndmask_b32_e32 v5, v5, v3, vcc
	v_cndmask_b32_e64 v1, v7, v1, s[0:1]
	v_cndmask_b32_e64 v5, v3, v5, s[0:1]
	;; [unrolled: 1-line block ×3, first 2 shown]
.LBB162_92:
	s_mov_b64 s[10:11], exec
.LBB162_93:
	s_or_b64 exec, exec, s[8:9]
	s_and_b64 vcc, exec, s[28:29]
	s_cbranch_vccnz .LBB162_24
.LBB162_94:
	s_branch .LBB162_208
.LBB162_95:
                                        ; implicit-def: $vgpr2_vgpr3
                                        ; implicit-def: $vgpr6
	s_cbranch_execz .LBB162_128
; %bb.96:
	s_sub_i32 s30, s22, s16
	s_waitcnt lgkmcnt(0)
	v_pk_mov_b32 v[4:5], 0, 0
	v_cmp_gt_u32_e32 vcc, s30, v0
	v_mov_b32_e32 v1, 0
	v_pk_mov_b32 v[2:3], v[4:5], v[4:5] op_sel:[0,1]
	v_mov_b32_e32 v10, 0
	s_and_saveexec_b64 s[0:1], vcc
	s_cbranch_execz .LBB162_98
; %bb.97:
	v_lshlrev_b32_e32 v2, 2, v0
	global_load_dword v6, v2, s[12:13]
	global_load_dword v7, v2, s[14:15]
	v_mov_b32_e32 v3, s29
	v_add_co_u32_e32 v2, vcc, s28, v0
	v_addc_co_u32_e32 v3, vcc, 0, v3, vcc
	s_waitcnt vmcnt(0)
	v_cmp_ne_u32_e32 vcc, v6, v7
	v_cndmask_b32_e64 v10, 0, 1, vcc
.LBB162_98:
	s_or_b64 exec, exec, s[0:1]
	v_or_b32_e32 v6, 0x100, v0
	v_cmp_gt_u32_e64 s[0:1], s30, v6
	s_and_saveexec_b64 s[2:3], s[0:1]
	s_cbranch_execz .LBB162_100
; %bb.99:
	v_lshlrev_b32_e32 v1, 2, v0
	global_load_dword v7, v1, s[12:13] offset:1024
	global_load_dword v8, v1, s[14:15] offset:1024
	v_mov_b32_e32 v1, s29
	v_add_co_u32_e32 v4, vcc, s28, v6
	v_addc_co_u32_e32 v5, vcc, 0, v1, vcc
	s_waitcnt vmcnt(0)
	v_cmp_ne_u32_e32 vcc, v7, v8
	v_cndmask_b32_e64 v1, 0, 1, vcc
.LBB162_100:
	s_or_b64 exec, exec, s[2:3]
	v_or_b32_e32 v13, 0x200, v0
	v_pk_mov_b32 v[6:7], 0, 0
	v_cmp_gt_u32_e32 vcc, s30, v13
	v_mov_b32_e32 v11, 0
	v_pk_mov_b32 v[8:9], v[6:7], v[6:7] op_sel:[0,1]
	v_mov_b32_e32 v12, 0
	s_and_saveexec_b64 s[8:9], vcc
	s_cbranch_execz .LBB162_102
; %bb.101:
	v_lshlrev_b32_e32 v8, 2, v0
	global_load_dword v12, v8, s[12:13] offset:2048
	global_load_dword v14, v8, s[14:15] offset:2048
	v_mov_b32_e32 v9, s29
	v_add_co_u32_e64 v8, s[2:3], s28, v13
	v_addc_co_u32_e64 v9, s[2:3], 0, v9, s[2:3]
	s_waitcnt vmcnt(0)
	v_cmp_ne_u32_e64 s[2:3], v12, v14
	v_cndmask_b32_e64 v12, 0, 1, s[2:3]
.LBB162_102:
	s_or_b64 exec, exec, s[8:9]
	v_or_b32_e32 v13, 0x300, v0
	v_cmp_gt_u32_e64 s[2:3], s30, v13
	s_and_saveexec_b64 s[16:17], s[2:3]
	s_cbranch_execnz .LBB162_247
; %bb.103:
	s_or_b64 exec, exec, s[16:17]
	s_and_saveexec_b64 s[12:13], s[0:1]
	s_cbranch_execnz .LBB162_248
.LBB162_104:
	s_or_b64 exec, exec, s[12:13]
	s_and_saveexec_b64 s[8:9], vcc
	s_cbranch_execnz .LBB162_249
.LBB162_105:
	s_or_b64 exec, exec, s[8:9]
	s_and_saveexec_b64 s[8:9], s[2:3]
	s_cbranch_execz .LBB162_107
.LBB162_106:
	v_and_b32_e32 v4, 1, v11
	v_cmp_lt_i64_e32 vcc, v[6:7], v[2:3]
	v_cmp_eq_u32_e64 s[0:1], 1, v4
	v_and_b32_e32 v1, 1, v10
	s_and_b64 vcc, s[0:1], vcc
	v_cndmask_b32_e64 v4, v10, 1, s[0:1]
	v_cndmask_b32_e32 v2, v2, v6, vcc
	v_cndmask_b32_e32 v3, v3, v7, vcc
	v_cmp_eq_u32_e32 vcc, 1, v1
	v_cndmask_b32_e32 v10, v11, v4, vcc
	v_cndmask_b32_e32 v3, v7, v3, vcc
	;; [unrolled: 1-line block ×3, first 2 shown]
.LBB162_107:
	s_or_b64 exec, exec, s[8:9]
	v_mbcnt_lo_u32_b32 v1, -1, 0
	v_mbcnt_hi_u32_b32 v1, -1, v1
	v_and_b32_e32 v7, 63, v1
	v_cmp_ne_u32_e32 vcc, 63, v7
	v_addc_co_u32_e32 v4, vcc, 0, v1, vcc
	v_and_b32_e32 v6, 0xffff, v10
	v_lshlrev_b32_e32 v5, 2, v4
	ds_bpermute_b32 v11, v5, v6
	ds_bpermute_b32 v4, v5, v2
	;; [unrolled: 1-line block ×3, first 2 shown]
	s_min_u32 s8, s30, 0x100
	v_and_b32_e32 v8, 0xc0, v0
	v_sub_u32_e64 v9, s8, v8 clamp
	v_add_u32_e32 v8, 1, v7
	v_cmp_lt_u32_e32 vcc, v8, v9
	v_mov_b32_e32 v8, v6
	s_and_saveexec_b64 s[0:1], vcc
	s_xor_b64 s[2:3], exec, s[0:1]
	s_cbranch_execz .LBB162_109
; %bb.108:
	v_and_b32_e32 v8, 1, v10
	s_waitcnt lgkmcnt(2)
	v_and_b32_e32 v10, 1, v11
	s_waitcnt lgkmcnt(0)
	v_cmp_lt_i64_e32 vcc, v[4:5], v[2:3]
	v_cmp_eq_u32_e64 s[0:1], 1, v10
	s_and_b64 vcc, s[0:1], vcc
	v_cndmask_b32_e64 v6, v6, 1, s[0:1]
	v_cndmask_b32_e32 v2, v2, v4, vcc
	v_cndmask_b32_e32 v3, v3, v5, vcc
	v_cmp_eq_u32_e32 vcc, 1, v8
	v_cndmask_b32_e32 v8, v11, v6, vcc
	v_cndmask_b32_e32 v3, v5, v3, vcc
	;; [unrolled: 1-line block ×3, first 2 shown]
	v_and_b32_e32 v6, 0xff, v8
.LBB162_109:
	s_or_b64 exec, exec, s[2:3]
	v_cmp_gt_u32_e32 vcc, 62, v7
	s_waitcnt lgkmcnt(1)
	v_cndmask_b32_e64 v4, 0, 1, vcc
	v_lshlrev_b32_e32 v4, 1, v4
	s_waitcnt lgkmcnt(0)
	v_add_lshl_u32 v5, v4, v1, 2
	ds_bpermute_b32 v10, v5, v6
	ds_bpermute_b32 v4, v5, v2
	ds_bpermute_b32 v5, v5, v3
	v_add_u32_e32 v11, 2, v7
	v_cmp_lt_u32_e32 vcc, v11, v9
	s_and_saveexec_b64 s[2:3], vcc
	s_cbranch_execz .LBB162_111
; %bb.110:
	s_waitcnt lgkmcnt(2)
	v_and_b32_e32 v11, 1, v10
	s_waitcnt lgkmcnt(0)
	v_cmp_lt_i64_e32 vcc, v[4:5], v[2:3]
	v_cmp_eq_u32_e64 s[0:1], 1, v11
	v_and_b32_e32 v6, 1, v8
	s_and_b64 vcc, s[0:1], vcc
	v_cndmask_b32_e64 v8, v8, 1, s[0:1]
	v_cndmask_b32_e32 v2, v2, v4, vcc
	v_cndmask_b32_e32 v3, v3, v5, vcc
	v_cmp_eq_u32_e32 vcc, 1, v6
	v_cndmask_b32_e32 v8, v10, v8, vcc
	v_cndmask_b32_e32 v3, v5, v3, vcc
	v_cndmask_b32_e32 v2, v4, v2, vcc
	v_and_b32_e32 v6, 0xff, v8
.LBB162_111:
	s_or_b64 exec, exec, s[2:3]
	v_cmp_gt_u32_e32 vcc, 60, v7
	s_waitcnt lgkmcnt(1)
	v_cndmask_b32_e64 v4, 0, 1, vcc
	v_lshlrev_b32_e32 v4, 2, v4
	s_waitcnt lgkmcnt(0)
	v_add_lshl_u32 v5, v4, v1, 2
	ds_bpermute_b32 v10, v5, v6
	ds_bpermute_b32 v4, v5, v2
	ds_bpermute_b32 v5, v5, v3
	v_add_u32_e32 v11, 4, v7
	v_cmp_lt_u32_e32 vcc, v11, v9
	s_and_saveexec_b64 s[2:3], vcc
	s_cbranch_execz .LBB162_113
; %bb.112:
	s_waitcnt lgkmcnt(2)
	v_and_b32_e32 v11, 1, v10
	s_waitcnt lgkmcnt(0)
	v_cmp_lt_i64_e32 vcc, v[4:5], v[2:3]
	v_cmp_eq_u32_e64 s[0:1], 1, v11
	v_and_b32_e32 v6, 1, v8
	s_and_b64 vcc, s[0:1], vcc
	v_cndmask_b32_e64 v8, v8, 1, s[0:1]
	v_cndmask_b32_e32 v2, v2, v4, vcc
	v_cndmask_b32_e32 v3, v3, v5, vcc
	v_cmp_eq_u32_e32 vcc, 1, v6
	v_cndmask_b32_e32 v8, v10, v8, vcc
	v_cndmask_b32_e32 v3, v5, v3, vcc
	v_cndmask_b32_e32 v2, v4, v2, vcc
	v_and_b32_e32 v6, 0xff, v8
.LBB162_113:
	;; [unrolled: 31-line block ×5, first 2 shown]
	s_or_b64 exec, exec, s[2:3]
	v_cmp_eq_u32_e32 vcc, 0, v1
	s_and_saveexec_b64 s[0:1], vcc
	s_cbranch_execz .LBB162_121
; %bb.120:
	s_waitcnt lgkmcnt(1)
	v_lshrrev_b32_e32 v4, 2, v0
	v_and_b32_e32 v4, 48, v4
	ds_write_b8 v4, v8 offset:256
	ds_write_b64 v4, v[2:3] offset:264
.LBB162_121:
	s_or_b64 exec, exec, s[0:1]
	v_cmp_gt_u32_e32 vcc, 4, v0
	s_waitcnt lgkmcnt(0)
	s_barrier
	s_and_saveexec_b64 s[2:3], vcc
	s_cbranch_execz .LBB162_127
; %bb.122:
	v_lshlrev_b32_e32 v2, 4, v1
	ds_read_u8 v7, v2 offset:256
	ds_read_b64 v[2:3], v2 offset:264
	v_and_b32_e32 v8, 3, v1
	v_cmp_ne_u32_e32 vcc, 3, v8
	v_addc_co_u32_e32 v4, vcc, 0, v1, vcc
	s_waitcnt lgkmcnt(1)
	v_and_b32_e32 v6, 0xff, v7
	v_lshlrev_b32_e32 v5, 2, v4
	ds_bpermute_b32 v9, v5, v6
	s_waitcnt lgkmcnt(1)
	ds_bpermute_b32 v4, v5, v2
	ds_bpermute_b32 v5, v5, v3
	s_add_i32 s8, s8, 63
	s_lshr_b32 s12, s8, 6
	v_add_u32_e32 v10, 1, v8
	v_cmp_gt_u32_e32 vcc, s12, v10
	s_and_saveexec_b64 s[8:9], vcc
	s_cbranch_execz .LBB162_124
; %bb.123:
	s_waitcnt lgkmcnt(2)
	v_and_b32_e32 v10, 1, v9
	s_waitcnt lgkmcnt(0)
	v_cmp_lt_i64_e32 vcc, v[4:5], v[2:3]
	v_cmp_eq_u32_e64 s[0:1], 1, v10
	v_and_b32_e32 v6, 1, v7
	s_and_b64 vcc, s[0:1], vcc
	v_cndmask_b32_e64 v7, v7, 1, s[0:1]
	v_cndmask_b32_e32 v2, v2, v4, vcc
	v_cndmask_b32_e32 v3, v3, v5, vcc
	v_cmp_eq_u32_e32 vcc, 1, v6
	v_cndmask_b32_e32 v7, v9, v7, vcc
	v_cndmask_b32_e32 v3, v5, v3, vcc
	;; [unrolled: 1-line block ×3, first 2 shown]
	v_and_b32_e32 v6, 0xff, v7
.LBB162_124:
	s_or_b64 exec, exec, s[8:9]
	v_cmp_gt_u32_e32 vcc, 2, v8
	s_waitcnt lgkmcnt(1)
	v_cndmask_b32_e64 v4, 0, 1, vcc
	v_lshlrev_b32_e32 v4, 1, v4
	s_waitcnt lgkmcnt(0)
	v_add_lshl_u32 v5, v4, v1, 2
	ds_bpermute_b32 v1, v5, v6
	ds_bpermute_b32 v4, v5, v2
	;; [unrolled: 1-line block ×3, first 2 shown]
	v_add_u32_e32 v8, 2, v8
	v_cmp_gt_u32_e32 vcc, s12, v8
	s_and_saveexec_b64 s[8:9], vcc
	s_cbranch_execz .LBB162_126
; %bb.125:
	s_waitcnt lgkmcnt(2)
	v_and_b32_e32 v8, 1, v1
	s_waitcnt lgkmcnt(0)
	v_cmp_lt_i64_e32 vcc, v[4:5], v[2:3]
	v_cmp_eq_u32_e64 s[0:1], 1, v8
	v_and_b32_e32 v6, 1, v7
	s_and_b64 vcc, s[0:1], vcc
	v_cndmask_b32_e64 v7, v7, 1, s[0:1]
	v_cndmask_b32_e32 v2, v2, v4, vcc
	v_cndmask_b32_e32 v3, v3, v5, vcc
	v_cmp_eq_u32_e32 vcc, 1, v6
	v_cndmask_b32_e32 v1, v1, v7, vcc
	v_cndmask_b32_e32 v3, v5, v3, vcc
	;; [unrolled: 1-line block ×3, first 2 shown]
	v_and_b32_e32 v6, 0xff, v1
.LBB162_126:
	s_or_b64 exec, exec, s[8:9]
.LBB162_127:
	s_or_b64 exec, exec, s[2:3]
.LBB162_128:
	v_cmp_eq_u32_e32 vcc, 0, v0
                                        ; implicit-def: $vgpr4_vgpr5
                                        ; implicit-def: $vgpr1
	s_and_saveexec_b64 s[0:1], vcc
	s_xor_b64 s[8:9], exec, s[0:1]
	s_cbranch_execz .LBB162_132
; %bb.129:
	s_cmp_eq_u64 s[22:23], 0
	s_waitcnt lgkmcnt(0)
	v_pk_mov_b32 v[4:5], s[18:19], s[18:19] op_sel:[0,1]
	v_mov_b32_e32 v1, s33
	s_cbranch_scc1 .LBB162_131
; %bb.130:
	v_and_b32_e32 v1, 1, v6
	s_bitcmp1_b32 s33, 0
	v_mov_b32_e32 v4, s33
	v_cmp_eq_u32_e32 vcc, 1, v1
	v_cmp_gt_i64_e64 s[2:3], s[18:19], v[2:3]
	v_cndmask_b32_e64 v1, v4, 1, vcc
	s_cselect_b64 s[0:1], -1, 0
	v_mov_b32_e32 v4, s18
	s_and_b64 vcc, vcc, s[2:3]
	v_mov_b32_e32 v5, s19
	v_cndmask_b32_e32 v4, v4, v2, vcc
	v_cndmask_b32_e32 v5, v5, v3, vcc
	v_cndmask_b32_e64 v1, v6, v1, s[0:1]
	v_cndmask_b32_e64 v5, v3, v5, s[0:1]
	;; [unrolled: 1-line block ×3, first 2 shown]
.LBB162_131:
	s_or_b64 s[10:11], s[10:11], exec
.LBB162_132:
	s_or_b64 exec, exec, s[8:9]
	s_branch .LBB162_208
.LBB162_133:
	s_cmp_gt_i32 s36, 1
	s_cbranch_scc0 .LBB162_153
; %bb.134:
	s_cmp_eq_u32 s36, 2
	s_cbranch_scc0 .LBB162_154
; %bb.135:
	s_mov_b32 s7, 0
	s_lshl_b32 s12, s6, 9
	s_mov_b32 s13, s7
	s_lshr_b64 s[0:1], s[22:23], 9
	s_lshl_b64 s[8:9], s[12:13], 2
	s_add_u32 s2, s24, s8
	s_addc_u32 s3, s25, s9
	s_add_u32 s8, s26, s8
	s_addc_u32 s9, s27, s9
	;; [unrolled: 2-line block ×3, first 2 shown]
	s_cmp_lg_u64 s[0:1], s[6:7]
	s_cbranch_scc0 .LBB162_155
; %bb.136:
	s_waitcnt lgkmcnt(2)
	v_lshlrev_b32_e32 v1, 2, v0
	global_load_dword v2, v1, s[8:9] offset:1024
	global_load_dword v3, v1, s[8:9]
	s_waitcnt lgkmcnt(1)
	global_load_dword v4, v1, s[2:3] offset:1024
	s_waitcnt lgkmcnt(0)
	global_load_dword v5, v1, s[2:3]
	v_mov_b32_e32 v1, s17
	v_add_co_u32_e32 v6, vcc, s16, v0
	v_addc_co_u32_e32 v1, vcc, 0, v1, vcc
	v_add_co_u32_e32 v7, vcc, 0x100, v6
	v_addc_co_u32_e32 v8, vcc, 0, v1, vcc
	s_waitcnt vmcnt(1)
	v_cmp_ne_u32_e32 vcc, v4, v2
	s_waitcnt vmcnt(0)
	v_cmp_ne_u32_e64 s[0:1], v5, v3
	v_cndmask_b32_e64 v3, v8, v1, s[0:1]
	v_cndmask_b32_e64 v2, v7, v6, s[0:1]
	s_or_b64 s[0:1], s[0:1], vcc
	v_cndmask_b32_e64 v1, 0, 1, s[0:1]
	v_mov_b32_dpp v4, v2 quad_perm:[1,0,3,2] row_mask:0xf bank_mask:0xf bound_ctrl:1
	v_mov_b32_dpp v5, v3 quad_perm:[1,0,3,2] row_mask:0xf bank_mask:0xf bound_ctrl:1
	;; [unrolled: 1-line block ×3, first 2 shown]
	v_and_b32_e32 v7, 1, v6
	v_cmp_eq_u32_e32 vcc, 1, v7
	s_and_saveexec_b64 s[14:15], vcc
; %bb.137:
	v_cmp_lt_i64_e32 vcc, v[2:3], v[4:5]
	v_cndmask_b32_e64 v6, v6, 1, s[0:1]
	s_and_b64 vcc, s[0:1], vcc
	v_cndmask_b32_e32 v2, v4, v2, vcc
	v_and_b32_e32 v4, 1, v6
	v_cndmask_b32_e32 v3, v5, v3, vcc
	v_cmp_eq_u32_e32 vcc, 1, v4
	s_andn2_b64 s[0:1], s[0:1], exec
	s_and_b64 s[28:29], vcc, exec
	v_and_b32_e32 v1, 0xff, v6
	s_or_b64 s[0:1], s[0:1], s[28:29]
; %bb.138:
	s_or_b64 exec, exec, s[14:15]
	v_mov_b32_dpp v6, v1 quad_perm:[2,3,0,1] row_mask:0xf bank_mask:0xf bound_ctrl:1
	v_and_b32_e32 v7, 1, v6
	v_mov_b32_dpp v4, v2 quad_perm:[2,3,0,1] row_mask:0xf bank_mask:0xf bound_ctrl:1
	v_mov_b32_dpp v5, v3 quad_perm:[2,3,0,1] row_mask:0xf bank_mask:0xf bound_ctrl:1
	v_cmp_eq_u32_e32 vcc, 1, v7
	s_and_saveexec_b64 s[14:15], vcc
; %bb.139:
	v_cmp_lt_i64_e32 vcc, v[2:3], v[4:5]
	v_cndmask_b32_e64 v6, v6, 1, s[0:1]
	s_and_b64 vcc, s[0:1], vcc
	v_cndmask_b32_e32 v2, v4, v2, vcc
	v_and_b32_e32 v4, 1, v6
	v_cndmask_b32_e32 v3, v5, v3, vcc
	v_cmp_eq_u32_e32 vcc, 1, v4
	s_andn2_b64 s[0:1], s[0:1], exec
	s_and_b64 s[28:29], vcc, exec
	v_and_b32_e32 v1, 0xff, v6
	s_or_b64 s[0:1], s[0:1], s[28:29]
; %bb.140:
	s_or_b64 exec, exec, s[14:15]
	v_mov_b32_dpp v6, v1 row_ror:4 row_mask:0xf bank_mask:0xf bound_ctrl:1
	v_and_b32_e32 v7, 1, v6
	v_mov_b32_dpp v4, v2 row_ror:4 row_mask:0xf bank_mask:0xf bound_ctrl:1
	v_mov_b32_dpp v5, v3 row_ror:4 row_mask:0xf bank_mask:0xf bound_ctrl:1
	v_cmp_eq_u32_e32 vcc, 1, v7
	s_and_saveexec_b64 s[14:15], vcc
; %bb.141:
	v_cmp_lt_i64_e32 vcc, v[2:3], v[4:5]
	v_cndmask_b32_e64 v6, v6, 1, s[0:1]
	s_and_b64 vcc, s[0:1], vcc
	v_cndmask_b32_e32 v2, v4, v2, vcc
	v_and_b32_e32 v4, 1, v6
	v_cndmask_b32_e32 v3, v5, v3, vcc
	v_cmp_eq_u32_e32 vcc, 1, v4
	s_andn2_b64 s[0:1], s[0:1], exec
	s_and_b64 s[28:29], vcc, exec
	v_and_b32_e32 v1, 0xff, v6
	s_or_b64 s[0:1], s[0:1], s[28:29]
; %bb.142:
	s_or_b64 exec, exec, s[14:15]
	v_mov_b32_dpp v6, v1 row_ror:8 row_mask:0xf bank_mask:0xf bound_ctrl:1
	v_and_b32_e32 v7, 1, v6
	v_mov_b32_dpp v4, v2 row_ror:8 row_mask:0xf bank_mask:0xf bound_ctrl:1
	v_mov_b32_dpp v5, v3 row_ror:8 row_mask:0xf bank_mask:0xf bound_ctrl:1
	v_cmp_eq_u32_e32 vcc, 1, v7
	s_and_saveexec_b64 s[14:15], vcc
; %bb.143:
	v_cmp_lt_i64_e32 vcc, v[2:3], v[4:5]
	v_cndmask_b32_e64 v6, v6, 1, s[0:1]
	s_and_b64 vcc, s[0:1], vcc
	v_cndmask_b32_e32 v2, v4, v2, vcc
	v_and_b32_e32 v4, 1, v6
	v_cndmask_b32_e32 v3, v5, v3, vcc
	v_cmp_eq_u32_e32 vcc, 1, v4
	s_andn2_b64 s[0:1], s[0:1], exec
	s_and_b64 s[28:29], vcc, exec
	v_and_b32_e32 v1, 0xff, v6
	s_or_b64 s[0:1], s[0:1], s[28:29]
; %bb.144:
	s_or_b64 exec, exec, s[14:15]
	v_mov_b32_dpp v6, v1 row_bcast:15 row_mask:0xf bank_mask:0xf bound_ctrl:1
	v_and_b32_e32 v7, 1, v6
	v_mov_b32_dpp v4, v2 row_bcast:15 row_mask:0xf bank_mask:0xf bound_ctrl:1
	v_mov_b32_dpp v5, v3 row_bcast:15 row_mask:0xf bank_mask:0xf bound_ctrl:1
	v_cmp_eq_u32_e32 vcc, 1, v7
	s_and_saveexec_b64 s[14:15], vcc
; %bb.145:
	v_cmp_lt_i64_e32 vcc, v[2:3], v[4:5]
	v_cndmask_b32_e64 v6, v6, 1, s[0:1]
	s_and_b64 vcc, s[0:1], vcc
	v_cndmask_b32_e32 v2, v4, v2, vcc
	v_and_b32_e32 v4, 1, v6
	v_cndmask_b32_e32 v3, v5, v3, vcc
	v_cmp_eq_u32_e32 vcc, 1, v4
	s_andn2_b64 s[0:1], s[0:1], exec
	s_and_b64 s[28:29], vcc, exec
	v_and_b32_e32 v1, 0xff, v6
	s_or_b64 s[0:1], s[0:1], s[28:29]
; %bb.146:
	s_or_b64 exec, exec, s[14:15]
	v_mov_b32_dpp v6, v1 row_bcast:31 row_mask:0xf bank_mask:0xf bound_ctrl:1
	v_and_b32_e32 v7, 1, v6
	v_mov_b32_dpp v4, v2 row_bcast:31 row_mask:0xf bank_mask:0xf bound_ctrl:1
	v_mov_b32_dpp v5, v3 row_bcast:31 row_mask:0xf bank_mask:0xf bound_ctrl:1
	v_cmp_eq_u32_e32 vcc, 1, v7
	s_and_saveexec_b64 s[14:15], vcc
; %bb.147:
	v_cmp_lt_i64_e32 vcc, v[2:3], v[4:5]
	v_and_b32_e32 v1, 0xff, v6
	s_and_b64 vcc, s[0:1], vcc
	v_cndmask_b32_e32 v2, v4, v2, vcc
	v_cndmask_b32_e32 v3, v5, v3, vcc
	v_cndmask_b32_e64 v1, v1, 1, s[0:1]
; %bb.148:
	s_or_b64 exec, exec, s[14:15]
	v_mbcnt_lo_u32_b32 v4, -1, 0
	v_mbcnt_hi_u32_b32 v4, -1, v4
	v_bfrev_b32_e32 v5, 0.5
	v_lshl_or_b32 v5, v4, 2, v5
	ds_bpermute_b32 v6, v5, v1
	ds_bpermute_b32 v2, v5, v2
	;; [unrolled: 1-line block ×3, first 2 shown]
	v_cmp_eq_u32_e32 vcc, 0, v4
	s_and_saveexec_b64 s[0:1], vcc
	s_cbranch_execz .LBB162_150
; %bb.149:
	v_lshrrev_b32_e32 v1, 2, v0
	v_and_b32_e32 v1, 48, v1
	s_waitcnt lgkmcnt(2)
	ds_write_b8 v1, v6 offset:64
	s_waitcnt lgkmcnt(1)
	ds_write_b64 v1, v[2:3] offset:72
.LBB162_150:
	s_or_b64 exec, exec, s[0:1]
	v_cmp_gt_u32_e32 vcc, 64, v0
	s_waitcnt lgkmcnt(0)
	s_barrier
	s_and_saveexec_b64 s[14:15], vcc
	s_cbranch_execz .LBB162_152
; %bb.151:
	v_and_b32_e32 v1, 3, v4
	v_lshlrev_b32_e32 v2, 4, v1
	ds_read_u8 v5, v2 offset:64
	ds_read_b64 v[2:3], v2 offset:72
	v_cmp_ne_u32_e32 vcc, 3, v1
	v_addc_co_u32_e32 v6, vcc, 0, v4, vcc
	s_waitcnt lgkmcnt(1)
	v_and_b32_e32 v7, 0xff, v5
	v_lshlrev_b32_e32 v8, 2, v6
	ds_bpermute_b32 v9, v8, v7
	s_waitcnt lgkmcnt(1)
	ds_bpermute_b32 v6, v8, v2
	ds_bpermute_b32 v7, v8, v3
	v_and_b32_e32 v8, 1, v5
	s_waitcnt lgkmcnt(2)
	v_and_b32_e32 v10, 1, v9
	v_cmp_eq_u32_e64 s[0:1], 1, v10
	s_waitcnt lgkmcnt(0)
	v_cmp_lt_i64_e32 vcc, v[6:7], v[2:3]
	s_and_b64 vcc, s[0:1], vcc
	v_cndmask_b32_e64 v5, v5, 1, s[0:1]
	v_cndmask_b32_e32 v2, v2, v6, vcc
	v_cndmask_b32_e32 v3, v3, v7, vcc
	v_cmp_eq_u32_e32 vcc, 1, v8
	v_cndmask_b32_e32 v8, v9, v5, vcc
	v_cndmask_b32_e32 v3, v7, v3, vcc
	;; [unrolled: 1-line block ×3, first 2 shown]
	v_cmp_gt_u32_e32 vcc, 2, v1
	v_cndmask_b32_e64 v1, 0, 1, vcc
	v_lshlrev_b32_e32 v1, 1, v1
	v_and_b32_e32 v5, 0xff, v8
	v_add_lshl_u32 v1, v1, v4, 2
	ds_bpermute_b32 v6, v1, v5
	ds_bpermute_b32 v4, v1, v2
	;; [unrolled: 1-line block ×3, first 2 shown]
	v_and_b32_e32 v1, 1, v8
	s_waitcnt lgkmcnt(2)
	v_and_b32_e32 v7, 1, v6
	v_cmp_eq_u32_e64 s[0:1], 1, v7
	s_waitcnt lgkmcnt(0)
	v_cmp_lt_i64_e32 vcc, v[4:5], v[2:3]
	s_and_b64 vcc, s[0:1], vcc
	v_cndmask_b32_e64 v7, v8, 1, s[0:1]
	v_cndmask_b32_e32 v2, v2, v4, vcc
	v_cndmask_b32_e32 v3, v3, v5, vcc
	v_cmp_eq_u32_e32 vcc, 1, v1
	v_cndmask_b32_e32 v1, v6, v7, vcc
	v_cndmask_b32_e32 v3, v5, v3, vcc
	;; [unrolled: 1-line block ×3, first 2 shown]
	v_and_b32_e32 v6, 0xff, v1
.LBB162_152:
	s_or_b64 exec, exec, s[14:15]
	s_branch .LBB162_183
.LBB162_153:
                                        ; implicit-def: $vgpr4_vgpr5
                                        ; implicit-def: $vgpr1
	s_cbranch_execnz .LBB162_188
	s_branch .LBB162_208
.LBB162_154:
                                        ; implicit-def: $vgpr4_vgpr5
                                        ; implicit-def: $vgpr1
	s_branch .LBB162_208
.LBB162_155:
                                        ; implicit-def: $vgpr2_vgpr3
                                        ; implicit-def: $vgpr6
	s_cbranch_execz .LBB162_183
; %bb.156:
	s_sub_i32 s14, s22, s12
	s_waitcnt lgkmcnt(0)
	v_pk_mov_b32 v[4:5], 0, 0
	v_cmp_gt_u32_e32 vcc, s14, v0
	v_mov_b32_e32 v1, 0
	v_pk_mov_b32 v[2:3], v[4:5], v[4:5] op_sel:[0,1]
	v_mov_b32_e32 v7, 0
	s_and_saveexec_b64 s[0:1], vcc
	s_cbranch_execz .LBB162_158
; %bb.157:
	v_lshlrev_b32_e32 v2, 2, v0
	global_load_dword v6, v2, s[2:3]
	global_load_dword v7, v2, s[8:9]
	v_mov_b32_e32 v3, s17
	v_add_co_u32_e32 v2, vcc, s16, v0
	v_addc_co_u32_e32 v3, vcc, 0, v3, vcc
	s_waitcnt vmcnt(0)
	v_cmp_ne_u32_e32 vcc, v6, v7
	v_cndmask_b32_e64 v7, 0, 1, vcc
.LBB162_158:
	s_or_b64 exec, exec, s[0:1]
	v_or_b32_e32 v6, 0x100, v0
	v_cmp_gt_u32_e32 vcc, s14, v6
	s_and_saveexec_b64 s[12:13], vcc
	s_cbranch_execz .LBB162_160
; %bb.159:
	v_lshlrev_b32_e32 v1, 2, v0
	global_load_dword v8, v1, s[2:3] offset:1024
	global_load_dword v9, v1, s[8:9] offset:1024
	v_mov_b32_e32 v1, s17
	v_add_co_u32_e64 v4, s[0:1], s16, v6
	v_addc_co_u32_e64 v5, s[0:1], 0, v1, s[0:1]
	s_waitcnt vmcnt(0)
	v_cmp_ne_u32_e64 s[0:1], v8, v9
	v_cndmask_b32_e64 v1, 0, 1, s[0:1]
.LBB162_160:
	s_or_b64 exec, exec, s[12:13]
	s_and_saveexec_b64 s[2:3], vcc
	s_cbranch_execz .LBB162_162
; %bb.161:
	v_and_b32_e32 v8, 1, v1
	v_cmp_lt_i64_e32 vcc, v[4:5], v[2:3]
	v_cmp_eq_u32_e64 s[0:1], 1, v8
	v_and_b32_e32 v6, 1, v7
	s_and_b64 vcc, s[0:1], vcc
	v_cndmask_b32_e64 v7, v7, 1, s[0:1]
	v_cndmask_b32_e32 v2, v2, v4, vcc
	v_cndmask_b32_e32 v3, v3, v5, vcc
	v_cmp_eq_u32_e32 vcc, 1, v6
	v_cndmask_b32_e32 v7, v1, v7, vcc
	v_cndmask_b32_e32 v3, v5, v3, vcc
	;; [unrolled: 1-line block ×3, first 2 shown]
.LBB162_162:
	s_or_b64 exec, exec, s[2:3]
	v_mbcnt_lo_u32_b32 v1, -1, 0
	v_mbcnt_hi_u32_b32 v1, -1, v1
	v_and_b32_e32 v8, 63, v1
	v_cmp_ne_u32_e32 vcc, 63, v8
	v_addc_co_u32_e32 v4, vcc, 0, v1, vcc
	v_and_b32_e32 v6, 0xffff, v7
	v_lshlrev_b32_e32 v5, 2, v4
	ds_bpermute_b32 v10, v5, v6
	ds_bpermute_b32 v4, v5, v2
	;; [unrolled: 1-line block ×3, first 2 shown]
	s_min_u32 s8, s14, 0x100
	v_and_b32_e32 v9, 0xc0, v0
	v_sub_u32_e64 v9, s8, v9 clamp
	v_add_u32_e32 v11, 1, v8
	v_cmp_lt_u32_e32 vcc, v11, v9
	s_and_saveexec_b64 s[2:3], vcc
	s_cbranch_execz .LBB162_164
; %bb.163:
	s_waitcnt lgkmcnt(2)
	v_and_b32_e32 v11, 1, v10
	s_waitcnt lgkmcnt(0)
	v_cmp_lt_i64_e32 vcc, v[4:5], v[2:3]
	v_cmp_eq_u32_e64 s[0:1], 1, v11
	v_and_b32_e32 v6, 1, v7
	s_and_b64 vcc, s[0:1], vcc
	v_cndmask_b32_e64 v7, v7, 1, s[0:1]
	v_cndmask_b32_e32 v2, v2, v4, vcc
	v_cndmask_b32_e32 v3, v3, v5, vcc
	v_cmp_eq_u32_e32 vcc, 1, v6
	v_cndmask_b32_e32 v7, v10, v7, vcc
	v_cndmask_b32_e32 v3, v5, v3, vcc
	v_cndmask_b32_e32 v2, v4, v2, vcc
	v_and_b32_e32 v6, 0xff, v7
.LBB162_164:
	s_or_b64 exec, exec, s[2:3]
	v_cmp_gt_u32_e32 vcc, 62, v8
	s_waitcnt lgkmcnt(1)
	v_cndmask_b32_e64 v4, 0, 1, vcc
	v_lshlrev_b32_e32 v4, 1, v4
	s_waitcnt lgkmcnt(0)
	v_add_lshl_u32 v5, v4, v1, 2
	ds_bpermute_b32 v10, v5, v6
	ds_bpermute_b32 v4, v5, v2
	ds_bpermute_b32 v5, v5, v3
	v_add_u32_e32 v11, 2, v8
	v_cmp_lt_u32_e32 vcc, v11, v9
	s_and_saveexec_b64 s[2:3], vcc
	s_cbranch_execz .LBB162_166
; %bb.165:
	s_waitcnt lgkmcnt(2)
	v_and_b32_e32 v11, 1, v10
	s_waitcnt lgkmcnt(0)
	v_cmp_lt_i64_e32 vcc, v[4:5], v[2:3]
	v_cmp_eq_u32_e64 s[0:1], 1, v11
	v_and_b32_e32 v6, 1, v7
	s_and_b64 vcc, s[0:1], vcc
	v_cndmask_b32_e64 v7, v7, 1, s[0:1]
	v_cndmask_b32_e32 v2, v2, v4, vcc
	v_cndmask_b32_e32 v3, v3, v5, vcc
	v_cmp_eq_u32_e32 vcc, 1, v6
	v_cndmask_b32_e32 v7, v10, v7, vcc
	v_cndmask_b32_e32 v3, v5, v3, vcc
	v_cndmask_b32_e32 v2, v4, v2, vcc
	v_and_b32_e32 v6, 0xff, v7
.LBB162_166:
	s_or_b64 exec, exec, s[2:3]
	v_cmp_gt_u32_e32 vcc, 60, v8
	s_waitcnt lgkmcnt(1)
	v_cndmask_b32_e64 v4, 0, 1, vcc
	v_lshlrev_b32_e32 v4, 2, v4
	s_waitcnt lgkmcnt(0)
	v_add_lshl_u32 v5, v4, v1, 2
	ds_bpermute_b32 v10, v5, v6
	ds_bpermute_b32 v4, v5, v2
	ds_bpermute_b32 v5, v5, v3
	;; [unrolled: 31-line block ×5, first 2 shown]
	v_add_u32_e32 v8, 32, v8
	v_cmp_lt_u32_e32 vcc, v8, v9
	s_and_saveexec_b64 s[2:3], vcc
	s_cbranch_execz .LBB162_174
; %bb.173:
	s_waitcnt lgkmcnt(2)
	v_and_b32_e32 v8, 1, v10
	s_waitcnt lgkmcnt(0)
	v_cmp_lt_i64_e32 vcc, v[4:5], v[2:3]
	v_cmp_eq_u32_e64 s[0:1], 1, v8
	v_and_b32_e32 v6, 1, v7
	s_and_b64 vcc, s[0:1], vcc
	v_cndmask_b32_e64 v7, v7, 1, s[0:1]
	v_cndmask_b32_e32 v2, v2, v4, vcc
	v_cndmask_b32_e32 v3, v3, v5, vcc
	v_cmp_eq_u32_e32 vcc, 1, v6
	v_cndmask_b32_e32 v7, v10, v7, vcc
	v_cndmask_b32_e32 v3, v5, v3, vcc
	;; [unrolled: 1-line block ×3, first 2 shown]
	v_and_b32_e32 v6, 0xff, v7
.LBB162_174:
	s_or_b64 exec, exec, s[2:3]
	v_cmp_eq_u32_e32 vcc, 0, v1
	s_and_saveexec_b64 s[0:1], vcc
	s_cbranch_execz .LBB162_176
; %bb.175:
	s_waitcnt lgkmcnt(1)
	v_lshrrev_b32_e32 v4, 2, v0
	v_and_b32_e32 v4, 48, v4
	ds_write_b8 v4, v7 offset:256
	ds_write_b64 v4, v[2:3] offset:264
.LBB162_176:
	s_or_b64 exec, exec, s[0:1]
	v_cmp_gt_u32_e32 vcc, 4, v0
	s_waitcnt lgkmcnt(0)
	s_barrier
	s_and_saveexec_b64 s[2:3], vcc
	s_cbranch_execz .LBB162_182
; %bb.177:
	v_lshlrev_b32_e32 v2, 4, v1
	ds_read_u8 v7, v2 offset:256
	ds_read_b64 v[2:3], v2 offset:264
	v_and_b32_e32 v8, 3, v1
	v_cmp_ne_u32_e32 vcc, 3, v8
	v_addc_co_u32_e32 v4, vcc, 0, v1, vcc
	s_waitcnt lgkmcnt(1)
	v_and_b32_e32 v6, 0xff, v7
	v_lshlrev_b32_e32 v5, 2, v4
	ds_bpermute_b32 v9, v5, v6
	s_waitcnt lgkmcnt(1)
	ds_bpermute_b32 v4, v5, v2
	ds_bpermute_b32 v5, v5, v3
	s_add_i32 s8, s8, 63
	s_lshr_b32 s12, s8, 6
	v_add_u32_e32 v10, 1, v8
	v_cmp_gt_u32_e32 vcc, s12, v10
	s_and_saveexec_b64 s[8:9], vcc
	s_cbranch_execz .LBB162_179
; %bb.178:
	s_waitcnt lgkmcnt(2)
	v_and_b32_e32 v10, 1, v9
	s_waitcnt lgkmcnt(0)
	v_cmp_lt_i64_e32 vcc, v[4:5], v[2:3]
	v_cmp_eq_u32_e64 s[0:1], 1, v10
	v_and_b32_e32 v6, 1, v7
	s_and_b64 vcc, s[0:1], vcc
	v_cndmask_b32_e64 v7, v7, 1, s[0:1]
	v_cndmask_b32_e32 v2, v2, v4, vcc
	v_cndmask_b32_e32 v3, v3, v5, vcc
	v_cmp_eq_u32_e32 vcc, 1, v6
	v_cndmask_b32_e32 v7, v9, v7, vcc
	v_cndmask_b32_e32 v3, v5, v3, vcc
	;; [unrolled: 1-line block ×3, first 2 shown]
	v_and_b32_e32 v6, 0xff, v7
.LBB162_179:
	s_or_b64 exec, exec, s[8:9]
	v_cmp_gt_u32_e32 vcc, 2, v8
	s_waitcnt lgkmcnt(1)
	v_cndmask_b32_e64 v4, 0, 1, vcc
	v_lshlrev_b32_e32 v4, 1, v4
	s_waitcnt lgkmcnt(0)
	v_add_lshl_u32 v5, v4, v1, 2
	ds_bpermute_b32 v1, v5, v6
	ds_bpermute_b32 v4, v5, v2
	;; [unrolled: 1-line block ×3, first 2 shown]
	v_add_u32_e32 v8, 2, v8
	v_cmp_gt_u32_e32 vcc, s12, v8
	s_and_saveexec_b64 s[8:9], vcc
	s_cbranch_execz .LBB162_181
; %bb.180:
	s_waitcnt lgkmcnt(2)
	v_and_b32_e32 v8, 1, v1
	s_waitcnt lgkmcnt(0)
	v_cmp_lt_i64_e32 vcc, v[4:5], v[2:3]
	v_cmp_eq_u32_e64 s[0:1], 1, v8
	v_and_b32_e32 v6, 1, v7
	s_and_b64 vcc, s[0:1], vcc
	v_cndmask_b32_e64 v7, v7, 1, s[0:1]
	v_cndmask_b32_e32 v2, v2, v4, vcc
	v_cndmask_b32_e32 v3, v3, v5, vcc
	v_cmp_eq_u32_e32 vcc, 1, v6
	v_cndmask_b32_e32 v1, v1, v7, vcc
	v_cndmask_b32_e32 v3, v5, v3, vcc
	;; [unrolled: 1-line block ×3, first 2 shown]
	v_and_b32_e32 v6, 0xff, v1
.LBB162_181:
	s_or_b64 exec, exec, s[8:9]
.LBB162_182:
	s_or_b64 exec, exec, s[2:3]
.LBB162_183:
	v_cmp_eq_u32_e32 vcc, 0, v0
                                        ; implicit-def: $vgpr4_vgpr5
                                        ; implicit-def: $vgpr1
	s_and_saveexec_b64 s[0:1], vcc
	s_xor_b64 s[8:9], exec, s[0:1]
	s_cbranch_execz .LBB162_187
; %bb.184:
	s_cmp_eq_u64 s[22:23], 0
	s_waitcnt lgkmcnt(0)
	v_pk_mov_b32 v[4:5], s[18:19], s[18:19] op_sel:[0,1]
	v_mov_b32_e32 v1, s33
	s_cbranch_scc1 .LBB162_186
; %bb.185:
	v_and_b32_e32 v1, 1, v6
	s_bitcmp1_b32 s33, 0
	v_mov_b32_e32 v4, s33
	v_cmp_eq_u32_e32 vcc, 1, v1
	v_cmp_gt_i64_e64 s[2:3], s[18:19], v[2:3]
	v_cndmask_b32_e64 v1, v4, 1, vcc
	s_cselect_b64 s[0:1], -1, 0
	v_mov_b32_e32 v4, s18
	s_and_b64 vcc, vcc, s[2:3]
	v_mov_b32_e32 v5, s19
	v_cndmask_b32_e32 v4, v4, v2, vcc
	v_cndmask_b32_e32 v5, v5, v3, vcc
	v_cndmask_b32_e64 v1, v6, v1, s[0:1]
	v_cndmask_b32_e64 v5, v3, v5, s[0:1]
	;; [unrolled: 1-line block ×3, first 2 shown]
.LBB162_186:
	s_or_b64 s[10:11], s[10:11], exec
.LBB162_187:
	s_or_b64 exec, exec, s[8:9]
	s_branch .LBB162_208
.LBB162_188:
	s_cmp_eq_u32 s36, 1
	s_cbranch_scc0 .LBB162_207
; %bb.189:
	s_mov_b32 s3, 0
	s_lshl_b32 s2, s6, 8
	s_mov_b32 s7, s3
	s_lshr_b64 s[0:1], s[22:23], 8
	s_cmp_lg_u64 s[0:1], s[6:7]
	s_cbranch_scc0 .LBB162_211
; %bb.190:
	s_lshl_b64 s[0:1], s[2:3], 2
	s_add_u32 s8, s24, s0
	s_addc_u32 s9, s25, s1
	s_add_u32 s0, s26, s0
	s_waitcnt lgkmcnt(2)
	v_lshlrev_b32_e32 v1, 2, v0
	s_addc_u32 s1, s27, s1
	s_waitcnt lgkmcnt(0)
	global_load_dword v5, v1, s[8:9]
	global_load_dword v6, v1, s[0:1]
	s_add_u32 s0, s20, s2
	s_addc_u32 s1, s21, 0
	v_mov_b32_e32 v1, s1
	v_add_co_u32_e32 v2, vcc, s0, v0
	v_addc_co_u32_e32 v3, vcc, 0, v1, vcc
	s_nop 0
	v_mov_b32_dpp v4, v2 quad_perm:[1,0,3,2] row_mask:0xf bank_mask:0xf bound_ctrl:1
	s_waitcnt vmcnt(0)
	v_cmp_ne_u32_e32 vcc, v5, v6
	v_cndmask_b32_e64 v1, 0, 1, vcc
	v_cndmask_b32_e64 v6, 0, 1, vcc
	v_mov_b32_dpp v5, v3 quad_perm:[1,0,3,2] row_mask:0xf bank_mask:0xf bound_ctrl:1
	v_mov_b32_dpp v1, v1 quad_perm:[1,0,3,2] row_mask:0xf bank_mask:0xf bound_ctrl:1
	v_and_b32_e32 v7, 1, v1
	v_cmp_eq_u32_e64 s[0:1], 1, v7
	s_and_saveexec_b64 s[8:9], s[0:1]
; %bb.191:
	v_cmp_lt_i64_e64 s[0:1], v[2:3], v[4:5]
	v_cndmask_b32_e64 v6, v1, 1, vcc
	s_and_b64 vcc, vcc, s[0:1]
	v_cndmask_b32_e32 v3, v5, v3, vcc
	v_cndmask_b32_e32 v2, v4, v2, vcc
; %bb.192:
	s_or_b64 exec, exec, s[8:9]
	v_and_b32_e32 v1, 0xff, v6
	v_and_b32_e32 v6, 1, v6
	v_mov_b32_dpp v4, v2 quad_perm:[2,3,0,1] row_mask:0xf bank_mask:0xf bound_ctrl:1
	v_mov_b32_dpp v7, v1 quad_perm:[2,3,0,1] row_mask:0xf bank_mask:0xf bound_ctrl:1
	v_and_b32_e32 v8, 1, v7
	v_mov_b32_dpp v5, v3 quad_perm:[2,3,0,1] row_mask:0xf bank_mask:0xf bound_ctrl:1
	v_cmp_eq_u32_e32 vcc, 1, v8
	v_cmp_eq_u32_e64 s[0:1], 1, v6
	s_and_saveexec_b64 s[8:9], vcc
; %bb.193:
	v_cmp_lt_i64_e32 vcc, v[2:3], v[4:5]
	v_cndmask_b32_e64 v6, v7, 1, s[0:1]
	s_and_b64 vcc, s[0:1], vcc
	v_cndmask_b32_e32 v2, v4, v2, vcc
	v_and_b32_e32 v4, 1, v6
	v_cndmask_b32_e32 v3, v5, v3, vcc
	v_cmp_eq_u32_e32 vcc, 1, v4
	s_andn2_b64 s[0:1], s[0:1], exec
	s_and_b64 s[12:13], vcc, exec
	v_and_b32_e32 v1, 0xff, v6
	s_or_b64 s[0:1], s[0:1], s[12:13]
; %bb.194:
	s_or_b64 exec, exec, s[8:9]
	v_mov_b32_dpp v6, v1 row_ror:4 row_mask:0xf bank_mask:0xf bound_ctrl:1
	v_and_b32_e32 v7, 1, v6
	v_mov_b32_dpp v4, v2 row_ror:4 row_mask:0xf bank_mask:0xf bound_ctrl:1
	v_mov_b32_dpp v5, v3 row_ror:4 row_mask:0xf bank_mask:0xf bound_ctrl:1
	v_cmp_eq_u32_e32 vcc, 1, v7
	s_and_saveexec_b64 s[8:9], vcc
; %bb.195:
	v_cmp_lt_i64_e32 vcc, v[2:3], v[4:5]
	v_cndmask_b32_e64 v6, v6, 1, s[0:1]
	s_and_b64 vcc, s[0:1], vcc
	v_cndmask_b32_e32 v2, v4, v2, vcc
	v_and_b32_e32 v4, 1, v6
	v_cndmask_b32_e32 v3, v5, v3, vcc
	v_cmp_eq_u32_e32 vcc, 1, v4
	s_andn2_b64 s[0:1], s[0:1], exec
	s_and_b64 s[12:13], vcc, exec
	v_and_b32_e32 v1, 0xff, v6
	s_or_b64 s[0:1], s[0:1], s[12:13]
; %bb.196:
	s_or_b64 exec, exec, s[8:9]
	v_mov_b32_dpp v6, v1 row_ror:8 row_mask:0xf bank_mask:0xf bound_ctrl:1
	v_and_b32_e32 v7, 1, v6
	v_mov_b32_dpp v4, v2 row_ror:8 row_mask:0xf bank_mask:0xf bound_ctrl:1
	v_mov_b32_dpp v5, v3 row_ror:8 row_mask:0xf bank_mask:0xf bound_ctrl:1
	v_cmp_eq_u32_e32 vcc, 1, v7
	s_and_saveexec_b64 s[8:9], vcc
; %bb.197:
	v_cmp_lt_i64_e32 vcc, v[2:3], v[4:5]
	v_cndmask_b32_e64 v6, v6, 1, s[0:1]
	s_and_b64 vcc, s[0:1], vcc
	v_cndmask_b32_e32 v2, v4, v2, vcc
	v_and_b32_e32 v4, 1, v6
	v_cndmask_b32_e32 v3, v5, v3, vcc
	v_cmp_eq_u32_e32 vcc, 1, v4
	s_andn2_b64 s[0:1], s[0:1], exec
	s_and_b64 s[12:13], vcc, exec
	v_and_b32_e32 v1, 0xff, v6
	s_or_b64 s[0:1], s[0:1], s[12:13]
; %bb.198:
	s_or_b64 exec, exec, s[8:9]
	v_mov_b32_dpp v6, v1 row_bcast:15 row_mask:0xf bank_mask:0xf bound_ctrl:1
	v_and_b32_e32 v7, 1, v6
	v_mov_b32_dpp v4, v2 row_bcast:15 row_mask:0xf bank_mask:0xf bound_ctrl:1
	v_mov_b32_dpp v5, v3 row_bcast:15 row_mask:0xf bank_mask:0xf bound_ctrl:1
	v_cmp_eq_u32_e32 vcc, 1, v7
	s_and_saveexec_b64 s[8:9], vcc
; %bb.199:
	v_cmp_lt_i64_e32 vcc, v[2:3], v[4:5]
	v_cndmask_b32_e64 v6, v6, 1, s[0:1]
	s_and_b64 vcc, s[0:1], vcc
	v_cndmask_b32_e32 v2, v4, v2, vcc
	v_and_b32_e32 v4, 1, v6
	v_cndmask_b32_e32 v3, v5, v3, vcc
	v_cmp_eq_u32_e32 vcc, 1, v4
	s_andn2_b64 s[0:1], s[0:1], exec
	s_and_b64 s[12:13], vcc, exec
	v_and_b32_e32 v1, 0xff, v6
	s_or_b64 s[0:1], s[0:1], s[12:13]
; %bb.200:
	s_or_b64 exec, exec, s[8:9]
	v_mov_b32_dpp v6, v1 row_bcast:31 row_mask:0xf bank_mask:0xf bound_ctrl:1
	v_and_b32_e32 v7, 1, v6
	v_mov_b32_dpp v4, v2 row_bcast:31 row_mask:0xf bank_mask:0xf bound_ctrl:1
	v_mov_b32_dpp v5, v3 row_bcast:31 row_mask:0xf bank_mask:0xf bound_ctrl:1
	v_cmp_eq_u32_e32 vcc, 1, v7
	s_and_saveexec_b64 s[8:9], vcc
; %bb.201:
	v_cmp_lt_i64_e32 vcc, v[2:3], v[4:5]
	v_and_b32_e32 v1, 0xff, v6
	s_and_b64 vcc, s[0:1], vcc
	v_cndmask_b32_e32 v2, v4, v2, vcc
	v_cndmask_b32_e32 v3, v5, v3, vcc
	v_cndmask_b32_e64 v1, v1, 1, s[0:1]
; %bb.202:
	s_or_b64 exec, exec, s[8:9]
	v_mbcnt_lo_u32_b32 v4, -1, 0
	v_mbcnt_hi_u32_b32 v4, -1, v4
	v_bfrev_b32_e32 v5, 0.5
	v_lshl_or_b32 v5, v4, 2, v5
	ds_bpermute_b32 v6, v5, v1
	ds_bpermute_b32 v2, v5, v2
	;; [unrolled: 1-line block ×3, first 2 shown]
	v_cmp_eq_u32_e32 vcc, 0, v4
	s_and_saveexec_b64 s[0:1], vcc
	s_cbranch_execz .LBB162_204
; %bb.203:
	v_lshrrev_b32_e32 v1, 2, v0
	v_and_b32_e32 v1, 48, v1
	s_waitcnt lgkmcnt(2)
	ds_write_b8 v1, v6
	s_waitcnt lgkmcnt(1)
	ds_write_b64 v1, v[2:3] offset:8
.LBB162_204:
	s_or_b64 exec, exec, s[0:1]
	v_cmp_gt_u32_e32 vcc, 64, v0
	s_waitcnt lgkmcnt(0)
	s_barrier
	s_and_saveexec_b64 s[8:9], vcc
	s_cbranch_execz .LBB162_206
; %bb.205:
	v_and_b32_e32 v1, 3, v4
	v_lshlrev_b32_e32 v2, 4, v1
	ds_read_u8 v5, v2
	ds_read_b64 v[2:3], v2 offset:8
	v_cmp_ne_u32_e32 vcc, 3, v1
	v_addc_co_u32_e32 v6, vcc, 0, v4, vcc
	s_waitcnt lgkmcnt(1)
	v_and_b32_e32 v7, 0xff, v5
	v_lshlrev_b32_e32 v8, 2, v6
	ds_bpermute_b32 v9, v8, v7
	s_waitcnt lgkmcnt(1)
	ds_bpermute_b32 v6, v8, v2
	ds_bpermute_b32 v7, v8, v3
	v_and_b32_e32 v8, 1, v5
	s_waitcnt lgkmcnt(2)
	v_and_b32_e32 v10, 1, v9
	v_cmp_eq_u32_e64 s[0:1], 1, v10
	s_waitcnt lgkmcnt(0)
	v_cmp_lt_i64_e32 vcc, v[6:7], v[2:3]
	s_and_b64 vcc, s[0:1], vcc
	v_cndmask_b32_e64 v5, v5, 1, s[0:1]
	v_cndmask_b32_e32 v2, v2, v6, vcc
	v_cndmask_b32_e32 v3, v3, v7, vcc
	v_cmp_eq_u32_e32 vcc, 1, v8
	v_cndmask_b32_e32 v8, v9, v5, vcc
	v_cndmask_b32_e32 v3, v7, v3, vcc
	;; [unrolled: 1-line block ×3, first 2 shown]
	v_cmp_gt_u32_e32 vcc, 2, v1
	v_cndmask_b32_e64 v1, 0, 1, vcc
	v_lshlrev_b32_e32 v1, 1, v1
	v_and_b32_e32 v5, 0xff, v8
	v_add_lshl_u32 v1, v1, v4, 2
	ds_bpermute_b32 v6, v1, v5
	ds_bpermute_b32 v4, v1, v2
	ds_bpermute_b32 v5, v1, v3
	v_and_b32_e32 v1, 1, v8
	s_waitcnt lgkmcnt(2)
	v_and_b32_e32 v7, 1, v6
	v_cmp_eq_u32_e64 s[0:1], 1, v7
	s_waitcnt lgkmcnt(0)
	v_cmp_lt_i64_e32 vcc, v[4:5], v[2:3]
	s_and_b64 vcc, s[0:1], vcc
	v_cndmask_b32_e64 v7, v8, 1, s[0:1]
	v_cndmask_b32_e32 v2, v2, v4, vcc
	v_cndmask_b32_e32 v3, v3, v5, vcc
	v_cmp_eq_u32_e32 vcc, 1, v1
	v_cndmask_b32_e32 v1, v6, v7, vcc
	v_cndmask_b32_e32 v3, v5, v3, vcc
	;; [unrolled: 1-line block ×3, first 2 shown]
	v_and_b32_e32 v6, 0xff, v1
.LBB162_206:
	s_or_b64 exec, exec, s[8:9]
	s_branch .LBB162_235
.LBB162_207:
                                        ; implicit-def: $vgpr4_vgpr5
                                        ; implicit-def: $vgpr1
                                        ; implicit-def: $sgpr6_sgpr7
.LBB162_208:
	s_and_saveexec_b64 s[0:1], s[10:11]
	s_cbranch_execz .LBB162_210
.LBB162_209:
	s_load_dwordx2 s[0:1], s[4:5], 0x38
	s_lshl_b64 s[2:3], s[6:7], 4
	v_mov_b32_e32 v0, 0
	s_waitcnt lgkmcnt(0)
	s_add_u32 s0, s0, s2
	s_addc_u32 s1, s1, s3
	global_store_byte v0, v1, s[0:1]
	global_store_dwordx2 v0, v[4:5], s[0:1] offset:8
.LBB162_210:
	s_endpgm
.LBB162_211:
                                        ; implicit-def: $vgpr2_vgpr3
                                        ; implicit-def: $vgpr6
	s_cbranch_execz .LBB162_235
; %bb.212:
	s_sub_i32 s8, s22, s2
	v_cmp_gt_u32_e32 vcc, s8, v0
	v_pk_mov_b32 v[2:3], 0, 0
	v_mov_b32_e32 v7, 0
	s_and_saveexec_b64 s[0:1], vcc
	s_cbranch_execz .LBB162_214
; %bb.213:
	s_lshl_b64 s[12:13], s[2:3], 2
	s_add_u32 s14, s26, s12
	s_addc_u32 s15, s27, s13
	s_add_u32 s12, s24, s12
	s_addc_u32 s13, s25, s13
	s_waitcnt lgkmcnt(2)
	v_lshlrev_b32_e32 v1, 2, v0
	s_waitcnt lgkmcnt(1)
	global_load_dword v4, v1, s[12:13]
	s_waitcnt lgkmcnt(0)
	global_load_dword v5, v1, s[14:15]
	s_add_u32 s2, s20, s2
	s_addc_u32 s3, s21, 0
	v_mov_b32_e32 v1, s3
	v_add_co_u32_e32 v2, vcc, s2, v0
	v_addc_co_u32_e32 v3, vcc, 0, v1, vcc
	s_waitcnt vmcnt(0)
	v_cmp_ne_u32_e32 vcc, v4, v5
	v_cndmask_b32_e64 v7, 0, 1, vcc
.LBB162_214:
	s_or_b64 exec, exec, s[0:1]
	s_waitcnt lgkmcnt(2)
	v_mbcnt_lo_u32_b32 v1, -1, 0
	v_mbcnt_hi_u32_b32 v1, -1, v1
	v_and_b32_e32 v8, 63, v1
	v_cmp_ne_u32_e32 vcc, 63, v8
	s_waitcnt lgkmcnt(1)
	v_addc_co_u32_e32 v4, vcc, 0, v1, vcc
	v_and_b32_e32 v6, 0xffff, v7
	s_waitcnt lgkmcnt(0)
	v_lshlrev_b32_e32 v5, 2, v4
	ds_bpermute_b32 v10, v5, v6
	ds_bpermute_b32 v4, v5, v2
	;; [unrolled: 1-line block ×3, first 2 shown]
	s_min_u32 s8, s8, 0x100
	v_and_b32_e32 v9, 0xc0, v0
	v_sub_u32_e64 v9, s8, v9 clamp
	v_add_u32_e32 v11, 1, v8
	v_cmp_lt_u32_e32 vcc, v11, v9
	s_and_saveexec_b64 s[2:3], vcc
	s_cbranch_execz .LBB162_216
; %bb.215:
	s_waitcnt lgkmcnt(2)
	v_and_b32_e32 v11, 1, v10
	s_waitcnt lgkmcnt(0)
	v_cmp_lt_i64_e32 vcc, v[4:5], v[2:3]
	v_cmp_eq_u32_e64 s[0:1], 1, v11
	v_and_b32_e32 v6, 1, v7
	s_and_b64 vcc, s[0:1], vcc
	v_cndmask_b32_e64 v7, v7, 1, s[0:1]
	v_cndmask_b32_e32 v2, v2, v4, vcc
	v_cndmask_b32_e32 v3, v3, v5, vcc
	v_cmp_eq_u32_e32 vcc, 1, v6
	v_cndmask_b32_e32 v7, v10, v7, vcc
	v_cndmask_b32_e32 v3, v5, v3, vcc
	v_cndmask_b32_e32 v2, v4, v2, vcc
	v_and_b32_e32 v6, 0xff, v7
.LBB162_216:
	s_or_b64 exec, exec, s[2:3]
	v_cmp_gt_u32_e32 vcc, 62, v8
	s_waitcnt lgkmcnt(1)
	v_cndmask_b32_e64 v4, 0, 1, vcc
	v_lshlrev_b32_e32 v4, 1, v4
	s_waitcnt lgkmcnt(0)
	v_add_lshl_u32 v5, v4, v1, 2
	ds_bpermute_b32 v10, v5, v6
	ds_bpermute_b32 v4, v5, v2
	ds_bpermute_b32 v5, v5, v3
	v_add_u32_e32 v11, 2, v8
	v_cmp_lt_u32_e32 vcc, v11, v9
	s_and_saveexec_b64 s[2:3], vcc
	s_cbranch_execz .LBB162_218
; %bb.217:
	s_waitcnt lgkmcnt(2)
	v_and_b32_e32 v11, 1, v10
	s_waitcnt lgkmcnt(0)
	v_cmp_lt_i64_e32 vcc, v[4:5], v[2:3]
	v_cmp_eq_u32_e64 s[0:1], 1, v11
	v_and_b32_e32 v6, 1, v7
	s_and_b64 vcc, s[0:1], vcc
	v_cndmask_b32_e64 v7, v7, 1, s[0:1]
	v_cndmask_b32_e32 v2, v2, v4, vcc
	v_cndmask_b32_e32 v3, v3, v5, vcc
	v_cmp_eq_u32_e32 vcc, 1, v6
	v_cndmask_b32_e32 v7, v10, v7, vcc
	v_cndmask_b32_e32 v3, v5, v3, vcc
	v_cndmask_b32_e32 v2, v4, v2, vcc
	v_and_b32_e32 v6, 0xff, v7
.LBB162_218:
	s_or_b64 exec, exec, s[2:3]
	v_cmp_gt_u32_e32 vcc, 60, v8
	s_waitcnt lgkmcnt(1)
	v_cndmask_b32_e64 v4, 0, 1, vcc
	v_lshlrev_b32_e32 v4, 2, v4
	s_waitcnt lgkmcnt(0)
	v_add_lshl_u32 v5, v4, v1, 2
	ds_bpermute_b32 v10, v5, v6
	ds_bpermute_b32 v4, v5, v2
	ds_bpermute_b32 v5, v5, v3
	;; [unrolled: 31-line block ×5, first 2 shown]
	v_add_u32_e32 v8, 32, v8
	v_cmp_lt_u32_e32 vcc, v8, v9
	s_and_saveexec_b64 s[2:3], vcc
	s_cbranch_execz .LBB162_226
; %bb.225:
	s_waitcnt lgkmcnt(2)
	v_and_b32_e32 v8, 1, v10
	s_waitcnt lgkmcnt(0)
	v_cmp_lt_i64_e32 vcc, v[4:5], v[2:3]
	v_cmp_eq_u32_e64 s[0:1], 1, v8
	v_and_b32_e32 v6, 1, v7
	s_and_b64 vcc, s[0:1], vcc
	v_cndmask_b32_e64 v7, v7, 1, s[0:1]
	v_cndmask_b32_e32 v2, v2, v4, vcc
	v_cndmask_b32_e32 v3, v3, v5, vcc
	v_cmp_eq_u32_e32 vcc, 1, v6
	v_cndmask_b32_e32 v7, v10, v7, vcc
	v_cndmask_b32_e32 v3, v5, v3, vcc
	;; [unrolled: 1-line block ×3, first 2 shown]
	v_and_b32_e32 v6, 0xff, v7
.LBB162_226:
	s_or_b64 exec, exec, s[2:3]
	v_cmp_eq_u32_e32 vcc, 0, v1
	s_and_saveexec_b64 s[0:1], vcc
	s_cbranch_execz .LBB162_228
; %bb.227:
	s_waitcnt lgkmcnt(1)
	v_lshrrev_b32_e32 v4, 2, v0
	v_and_b32_e32 v4, 48, v4
	ds_write_b8 v4, v7 offset:256
	ds_write_b64 v4, v[2:3] offset:264
.LBB162_228:
	s_or_b64 exec, exec, s[0:1]
	v_cmp_gt_u32_e32 vcc, 4, v0
	s_waitcnt lgkmcnt(0)
	s_barrier
	s_and_saveexec_b64 s[2:3], vcc
	s_cbranch_execz .LBB162_234
; %bb.229:
	v_lshlrev_b32_e32 v2, 4, v1
	ds_read_u8 v7, v2 offset:256
	ds_read_b64 v[2:3], v2 offset:264
	v_and_b32_e32 v8, 3, v1
	v_cmp_ne_u32_e32 vcc, 3, v8
	v_addc_co_u32_e32 v4, vcc, 0, v1, vcc
	s_waitcnt lgkmcnt(1)
	v_and_b32_e32 v6, 0xff, v7
	v_lshlrev_b32_e32 v5, 2, v4
	ds_bpermute_b32 v9, v5, v6
	s_waitcnt lgkmcnt(1)
	ds_bpermute_b32 v4, v5, v2
	ds_bpermute_b32 v5, v5, v3
	s_add_i32 s8, s8, 63
	s_lshr_b32 s12, s8, 6
	v_add_u32_e32 v10, 1, v8
	v_cmp_gt_u32_e32 vcc, s12, v10
	s_and_saveexec_b64 s[8:9], vcc
	s_cbranch_execz .LBB162_231
; %bb.230:
	s_waitcnt lgkmcnt(2)
	v_and_b32_e32 v10, 1, v9
	s_waitcnt lgkmcnt(0)
	v_cmp_lt_i64_e32 vcc, v[4:5], v[2:3]
	v_cmp_eq_u32_e64 s[0:1], 1, v10
	v_and_b32_e32 v6, 1, v7
	s_and_b64 vcc, s[0:1], vcc
	v_cndmask_b32_e64 v7, v7, 1, s[0:1]
	v_cndmask_b32_e32 v2, v2, v4, vcc
	v_cndmask_b32_e32 v3, v3, v5, vcc
	v_cmp_eq_u32_e32 vcc, 1, v6
	v_cndmask_b32_e32 v7, v9, v7, vcc
	v_cndmask_b32_e32 v3, v5, v3, vcc
	;; [unrolled: 1-line block ×3, first 2 shown]
	v_and_b32_e32 v6, 0xff, v7
.LBB162_231:
	s_or_b64 exec, exec, s[8:9]
	v_cmp_gt_u32_e32 vcc, 2, v8
	s_waitcnt lgkmcnt(1)
	v_cndmask_b32_e64 v4, 0, 1, vcc
	v_lshlrev_b32_e32 v4, 1, v4
	s_waitcnt lgkmcnt(0)
	v_add_lshl_u32 v5, v4, v1, 2
	ds_bpermute_b32 v1, v5, v6
	ds_bpermute_b32 v4, v5, v2
	;; [unrolled: 1-line block ×3, first 2 shown]
	v_add_u32_e32 v8, 2, v8
	v_cmp_gt_u32_e32 vcc, s12, v8
	s_and_saveexec_b64 s[8:9], vcc
	s_cbranch_execz .LBB162_233
; %bb.232:
	s_waitcnt lgkmcnt(2)
	v_and_b32_e32 v8, 1, v1
	s_waitcnt lgkmcnt(0)
	v_cmp_lt_i64_e32 vcc, v[4:5], v[2:3]
	v_cmp_eq_u32_e64 s[0:1], 1, v8
	v_and_b32_e32 v6, 1, v7
	s_and_b64 vcc, s[0:1], vcc
	v_cndmask_b32_e64 v7, v7, 1, s[0:1]
	v_cndmask_b32_e32 v2, v2, v4, vcc
	v_cndmask_b32_e32 v3, v3, v5, vcc
	v_cmp_eq_u32_e32 vcc, 1, v6
	v_cndmask_b32_e32 v1, v1, v7, vcc
	v_cndmask_b32_e32 v3, v5, v3, vcc
	;; [unrolled: 1-line block ×3, first 2 shown]
	v_and_b32_e32 v6, 0xff, v1
.LBB162_233:
	s_or_b64 exec, exec, s[8:9]
.LBB162_234:
	s_or_b64 exec, exec, s[2:3]
.LBB162_235:
	v_cmp_eq_u32_e32 vcc, 0, v0
                                        ; implicit-def: $vgpr4_vgpr5
                                        ; implicit-def: $vgpr1
	s_and_saveexec_b64 s[8:9], vcc
	s_cbranch_execz .LBB162_239
; %bb.236:
	s_cmp_eq_u64 s[22:23], 0
	s_waitcnt lgkmcnt(0)
	v_pk_mov_b32 v[4:5], s[18:19], s[18:19] op_sel:[0,1]
	v_mov_b32_e32 v1, s33
	s_cbranch_scc1 .LBB162_238
; %bb.237:
	v_and_b32_e32 v0, 1, v6
	s_bitcmp1_b32 s33, 0
	v_mov_b32_e32 v1, s33
	v_cmp_eq_u32_e32 vcc, 1, v0
	v_cmp_gt_i64_e64 s[2:3], s[18:19], v[2:3]
	v_cndmask_b32_e64 v0, v1, 1, vcc
	s_cselect_b64 s[0:1], -1, 0
	v_mov_b32_e32 v1, s18
	s_and_b64 vcc, vcc, s[2:3]
	v_cndmask_b32_e32 v4, v1, v2, vcc
	v_mov_b32_e32 v1, s19
	v_cndmask_b32_e32 v5, v1, v3, vcc
	v_cndmask_b32_e64 v1, v6, v0, s[0:1]
	v_cndmask_b32_e64 v5, v3, v5, s[0:1]
	;; [unrolled: 1-line block ×3, first 2 shown]
.LBB162_238:
	s_or_b64 s[10:11], s[10:11], exec
.LBB162_239:
	s_or_b64 exec, exec, s[8:9]
	s_and_saveexec_b64 s[0:1], s[10:11]
	s_cbranch_execnz .LBB162_209
	s_branch .LBB162_210
.LBB162_240:
	v_lshlrev_b32_e32 v10, 2, v25
	global_load_dword v21, v10, s[16:17]
	global_load_dword v26, v10, s[30:31]
	v_mov_b32_e32 v11, s38
	v_add_co_u32_e64 v10, s[16:17], s37, v25
	v_addc_co_u32_e64 v11, s[16:17], 0, v11, s[16:17]
	s_waitcnt vmcnt(0)
	v_cmp_ne_u32_e64 s[16:17], v21, v26
	v_cndmask_b32_e64 v21, 0, 1, s[16:17]
	s_or_b64 exec, exec, s[34:35]
	s_and_saveexec_b64 s[30:31], s[8:9]
	s_cbranch_execz .LBB162_61
.LBB162_241:
	v_and_b32_e32 v26, 1, v18
	v_cmp_lt_i64_e64 s[8:9], v[4:5], v[2:3]
	v_cmp_eq_u32_e64 s[16:17], 1, v26
	v_and_b32_e32 v25, 1, v1
	s_and_b64 s[8:9], s[16:17], s[8:9]
	v_cndmask_b32_e64 v1, v1, 1, s[16:17]
	v_cndmask_b32_e64 v2, v2, v4, s[8:9]
	;; [unrolled: 1-line block ×3, first 2 shown]
	v_cmp_eq_u32_e64 s[8:9], 1, v25
	v_cndmask_b32_e64 v1, v18, v1, s[8:9]
	v_cndmask_b32_e64 v3, v5, v3, s[8:9]
	;; [unrolled: 1-line block ×3, first 2 shown]
	s_or_b64 exec, exec, s[30:31]
	s_and_saveexec_b64 s[16:17], vcc
	s_cbranch_execz .LBB162_62
.LBB162_242:
	v_and_b32_e32 v5, 1, v23
	v_cmp_lt_i64_e32 vcc, v[12:13], v[2:3]
	v_cmp_eq_u32_e64 s[8:9], 1, v5
	v_and_b32_e32 v4, 1, v1
	s_and_b64 vcc, s[8:9], vcc
	v_cndmask_b32_e64 v1, v1, 1, s[8:9]
	v_cndmask_b32_e32 v2, v2, v12, vcc
	v_cndmask_b32_e32 v3, v3, v13, vcc
	v_cmp_eq_u32_e32 vcc, 1, v4
	v_cndmask_b32_e32 v1, v23, v1, vcc
	v_cndmask_b32_e32 v3, v13, v3, vcc
	;; [unrolled: 1-line block ×3, first 2 shown]
	s_or_b64 exec, exec, s[16:17]
	s_and_saveexec_b64 s[16:17], s[10:11]
	s_cbranch_execz .LBB162_63
.LBB162_243:
	v_and_b32_e32 v5, 1, v19
	v_cmp_lt_i64_e32 vcc, v[6:7], v[2:3]
	v_cmp_eq_u32_e64 s[8:9], 1, v5
	v_and_b32_e32 v4, 1, v1
	s_and_b64 vcc, s[8:9], vcc
	v_cndmask_b32_e64 v1, v1, 1, s[8:9]
	v_cndmask_b32_e32 v2, v2, v6, vcc
	v_cndmask_b32_e32 v3, v3, v7, vcc
	v_cmp_eq_u32_e32 vcc, 1, v4
	v_cndmask_b32_e32 v1, v19, v1, vcc
	v_cndmask_b32_e32 v3, v7, v3, vcc
	;; [unrolled: 1-line block ×3, first 2 shown]
	s_or_b64 exec, exec, s[16:17]
	s_and_saveexec_b64 s[8:9], s[0:1]
	s_cbranch_execz .LBB162_64
.LBB162_244:
	v_and_b32_e32 v5, 1, v24
	v_cmp_lt_i64_e32 vcc, v[14:15], v[2:3]
	v_cmp_eq_u32_e64 s[0:1], 1, v5
	v_and_b32_e32 v4, 1, v1
	s_and_b64 vcc, s[0:1], vcc
	v_cndmask_b32_e64 v1, v1, 1, s[0:1]
	v_cndmask_b32_e32 v2, v2, v14, vcc
	v_cndmask_b32_e32 v3, v3, v15, vcc
	v_cmp_eq_u32_e32 vcc, 1, v4
	v_cndmask_b32_e32 v1, v24, v1, vcc
	v_cndmask_b32_e32 v3, v15, v3, vcc
	;; [unrolled: 1-line block ×3, first 2 shown]
	s_or_b64 exec, exec, s[8:9]
	s_and_saveexec_b64 s[8:9], s[12:13]
	s_cbranch_execz .LBB162_65
.LBB162_245:
	v_and_b32_e32 v5, 1, v20
	v_cmp_lt_i64_e32 vcc, v[8:9], v[2:3]
	v_cmp_eq_u32_e64 s[0:1], 1, v5
	v_and_b32_e32 v4, 1, v1
	s_and_b64 vcc, s[0:1], vcc
	v_cndmask_b32_e64 v1, v1, 1, s[0:1]
	v_cndmask_b32_e32 v2, v2, v8, vcc
	v_cndmask_b32_e32 v3, v3, v9, vcc
	v_cmp_eq_u32_e32 vcc, 1, v4
	v_cndmask_b32_e32 v1, v20, v1, vcc
	v_cndmask_b32_e32 v3, v9, v3, vcc
	;; [unrolled: 1-line block ×3, first 2 shown]
	s_or_b64 exec, exec, s[8:9]
	s_and_saveexec_b64 s[8:9], s[2:3]
	s_cbranch_execz .LBB162_66
.LBB162_246:
	v_and_b32_e32 v5, 1, v22
	v_cmp_lt_i64_e32 vcc, v[16:17], v[2:3]
	v_cmp_eq_u32_e64 s[0:1], 1, v5
	v_and_b32_e32 v4, 1, v1
	s_and_b64 vcc, s[0:1], vcc
	v_cndmask_b32_e64 v1, v1, 1, s[0:1]
	v_cndmask_b32_e32 v2, v2, v16, vcc
	v_cndmask_b32_e32 v3, v3, v17, vcc
	v_cmp_eq_u32_e32 vcc, 1, v4
	v_cndmask_b32_e32 v1, v22, v1, vcc
	v_cndmask_b32_e32 v3, v17, v3, vcc
	v_cndmask_b32_e32 v2, v16, v2, vcc
	s_or_b64 exec, exec, s[8:9]
	s_and_saveexec_b64 s[2:3], s[14:15]
	s_cbranch_execnz .LBB162_67
	s_branch .LBB162_68
.LBB162_247:
	v_lshlrev_b32_e32 v6, 2, v0
	global_load_dword v11, v6, s[12:13] offset:3072
	global_load_dword v14, v6, s[14:15] offset:3072
	v_mov_b32_e32 v7, s29
	v_add_co_u32_e64 v6, s[8:9], s28, v13
	v_addc_co_u32_e64 v7, s[8:9], 0, v7, s[8:9]
	s_waitcnt vmcnt(0)
	v_cmp_ne_u32_e64 s[8:9], v11, v14
	v_cndmask_b32_e64 v11, 0, 1, s[8:9]
	s_or_b64 exec, exec, s[16:17]
	s_and_saveexec_b64 s[12:13], s[0:1]
	s_cbranch_execz .LBB162_104
.LBB162_248:
	v_and_b32_e32 v14, 1, v1
	v_cmp_lt_i64_e64 s[0:1], v[4:5], v[2:3]
	v_cmp_eq_u32_e64 s[8:9], 1, v14
	v_and_b32_e32 v13, 1, v10
	s_and_b64 s[0:1], s[8:9], s[0:1]
	v_cndmask_b32_e64 v10, v10, 1, s[8:9]
	v_cndmask_b32_e64 v2, v2, v4, s[0:1]
	;; [unrolled: 1-line block ×3, first 2 shown]
	v_cmp_eq_u32_e64 s[0:1], 1, v13
	v_cndmask_b32_e64 v10, v1, v10, s[0:1]
	v_cndmask_b32_e64 v3, v5, v3, s[0:1]
	;; [unrolled: 1-line block ×3, first 2 shown]
	s_or_b64 exec, exec, s[12:13]
	s_and_saveexec_b64 s[8:9], vcc
	s_cbranch_execz .LBB162_105
.LBB162_249:
	v_and_b32_e32 v4, 1, v12
	v_cmp_lt_i64_e32 vcc, v[8:9], v[2:3]
	v_cmp_eq_u32_e64 s[0:1], 1, v4
	v_and_b32_e32 v1, 1, v10
	s_and_b64 vcc, s[0:1], vcc
	v_cndmask_b32_e64 v4, v10, 1, s[0:1]
	v_cndmask_b32_e32 v2, v2, v8, vcc
	v_cndmask_b32_e32 v3, v3, v9, vcc
	v_cmp_eq_u32_e32 vcc, 1, v1
	v_cndmask_b32_e32 v10, v12, v4, vcc
	v_cndmask_b32_e32 v3, v9, v3, vcc
	;; [unrolled: 1-line block ×3, first 2 shown]
	s_or_b64 exec, exec, s[8:9]
	s_and_saveexec_b64 s[8:9], s[2:3]
	s_cbranch_execnz .LBB162_106
	s_branch .LBB162_107
	.section	.rodata,"a",@progbits
	.p2align	6, 0x0
	.amdhsa_kernel _ZN7rocprim17ROCPRIM_400000_NS6detail17trampoline_kernelINS0_14default_configENS1_22reduce_config_selectorIN6thrust23THRUST_200600_302600_NS5tupleIblNS6_9null_typeES8_S8_S8_S8_S8_S8_S8_EEEEZNS1_11reduce_implILb1ES3_NS6_12zip_iteratorINS7_INS6_11hip_rocprim26transform_input_iterator_tIbNSD_35transform_pair_of_input_iterators_tIbNS6_6detail15normal_iteratorINS6_10device_ptrIKjEEEESL_NS6_8equal_toIjEEEENSG_9not_fun_tINSD_8identityEEEEENSD_19counting_iterator_tIlEES8_S8_S8_S8_S8_S8_S8_S8_EEEEPS9_S9_NSD_9__find_if7functorIS9_EEEE10hipError_tPvRmT1_T2_T3_mT4_P12ihipStream_tbEUlT_E1_NS1_11comp_targetILNS1_3genE4ELNS1_11target_archE910ELNS1_3gpuE8ELNS1_3repE0EEENS1_30default_config_static_selectorELNS0_4arch9wavefront6targetE1EEEvS14_
		.amdhsa_group_segment_fixed_size 320
		.amdhsa_private_segment_fixed_size 0
		.amdhsa_kernarg_size 88
		.amdhsa_user_sgpr_count 6
		.amdhsa_user_sgpr_private_segment_buffer 1
		.amdhsa_user_sgpr_dispatch_ptr 0
		.amdhsa_user_sgpr_queue_ptr 0
		.amdhsa_user_sgpr_kernarg_segment_ptr 1
		.amdhsa_user_sgpr_dispatch_id 0
		.amdhsa_user_sgpr_flat_scratch_init 0
		.amdhsa_user_sgpr_kernarg_preload_length 0
		.amdhsa_user_sgpr_kernarg_preload_offset 0
		.amdhsa_user_sgpr_private_segment_size 0
		.amdhsa_uses_dynamic_stack 0
		.amdhsa_system_sgpr_private_segment_wavefront_offset 0
		.amdhsa_system_sgpr_workgroup_id_x 1
		.amdhsa_system_sgpr_workgroup_id_y 0
		.amdhsa_system_sgpr_workgroup_id_z 0
		.amdhsa_system_sgpr_workgroup_info 0
		.amdhsa_system_vgpr_workitem_id 0
		.amdhsa_next_free_vgpr 27
		.amdhsa_next_free_sgpr 40
		.amdhsa_accum_offset 28
		.amdhsa_reserve_vcc 1
		.amdhsa_reserve_flat_scratch 0
		.amdhsa_float_round_mode_32 0
		.amdhsa_float_round_mode_16_64 0
		.amdhsa_float_denorm_mode_32 3
		.amdhsa_float_denorm_mode_16_64 3
		.amdhsa_dx10_clamp 1
		.amdhsa_ieee_mode 1
		.amdhsa_fp16_overflow 0
		.amdhsa_tg_split 0
		.amdhsa_exception_fp_ieee_invalid_op 0
		.amdhsa_exception_fp_denorm_src 0
		.amdhsa_exception_fp_ieee_div_zero 0
		.amdhsa_exception_fp_ieee_overflow 0
		.amdhsa_exception_fp_ieee_underflow 0
		.amdhsa_exception_fp_ieee_inexact 0
		.amdhsa_exception_int_div_zero 0
	.end_amdhsa_kernel
	.section	.text._ZN7rocprim17ROCPRIM_400000_NS6detail17trampoline_kernelINS0_14default_configENS1_22reduce_config_selectorIN6thrust23THRUST_200600_302600_NS5tupleIblNS6_9null_typeES8_S8_S8_S8_S8_S8_S8_EEEEZNS1_11reduce_implILb1ES3_NS6_12zip_iteratorINS7_INS6_11hip_rocprim26transform_input_iterator_tIbNSD_35transform_pair_of_input_iterators_tIbNS6_6detail15normal_iteratorINS6_10device_ptrIKjEEEESL_NS6_8equal_toIjEEEENSG_9not_fun_tINSD_8identityEEEEENSD_19counting_iterator_tIlEES8_S8_S8_S8_S8_S8_S8_S8_EEEEPS9_S9_NSD_9__find_if7functorIS9_EEEE10hipError_tPvRmT1_T2_T3_mT4_P12ihipStream_tbEUlT_E1_NS1_11comp_targetILNS1_3genE4ELNS1_11target_archE910ELNS1_3gpuE8ELNS1_3repE0EEENS1_30default_config_static_selectorELNS0_4arch9wavefront6targetE1EEEvS14_,"axG",@progbits,_ZN7rocprim17ROCPRIM_400000_NS6detail17trampoline_kernelINS0_14default_configENS1_22reduce_config_selectorIN6thrust23THRUST_200600_302600_NS5tupleIblNS6_9null_typeES8_S8_S8_S8_S8_S8_S8_EEEEZNS1_11reduce_implILb1ES3_NS6_12zip_iteratorINS7_INS6_11hip_rocprim26transform_input_iterator_tIbNSD_35transform_pair_of_input_iterators_tIbNS6_6detail15normal_iteratorINS6_10device_ptrIKjEEEESL_NS6_8equal_toIjEEEENSG_9not_fun_tINSD_8identityEEEEENSD_19counting_iterator_tIlEES8_S8_S8_S8_S8_S8_S8_S8_EEEEPS9_S9_NSD_9__find_if7functorIS9_EEEE10hipError_tPvRmT1_T2_T3_mT4_P12ihipStream_tbEUlT_E1_NS1_11comp_targetILNS1_3genE4ELNS1_11target_archE910ELNS1_3gpuE8ELNS1_3repE0EEENS1_30default_config_static_selectorELNS0_4arch9wavefront6targetE1EEEvS14_,comdat
.Lfunc_end162:
	.size	_ZN7rocprim17ROCPRIM_400000_NS6detail17trampoline_kernelINS0_14default_configENS1_22reduce_config_selectorIN6thrust23THRUST_200600_302600_NS5tupleIblNS6_9null_typeES8_S8_S8_S8_S8_S8_S8_EEEEZNS1_11reduce_implILb1ES3_NS6_12zip_iteratorINS7_INS6_11hip_rocprim26transform_input_iterator_tIbNSD_35transform_pair_of_input_iterators_tIbNS6_6detail15normal_iteratorINS6_10device_ptrIKjEEEESL_NS6_8equal_toIjEEEENSG_9not_fun_tINSD_8identityEEEEENSD_19counting_iterator_tIlEES8_S8_S8_S8_S8_S8_S8_S8_EEEEPS9_S9_NSD_9__find_if7functorIS9_EEEE10hipError_tPvRmT1_T2_T3_mT4_P12ihipStream_tbEUlT_E1_NS1_11comp_targetILNS1_3genE4ELNS1_11target_archE910ELNS1_3gpuE8ELNS1_3repE0EEENS1_30default_config_static_selectorELNS0_4arch9wavefront6targetE1EEEvS14_, .Lfunc_end162-_ZN7rocprim17ROCPRIM_400000_NS6detail17trampoline_kernelINS0_14default_configENS1_22reduce_config_selectorIN6thrust23THRUST_200600_302600_NS5tupleIblNS6_9null_typeES8_S8_S8_S8_S8_S8_S8_EEEEZNS1_11reduce_implILb1ES3_NS6_12zip_iteratorINS7_INS6_11hip_rocprim26transform_input_iterator_tIbNSD_35transform_pair_of_input_iterators_tIbNS6_6detail15normal_iteratorINS6_10device_ptrIKjEEEESL_NS6_8equal_toIjEEEENSG_9not_fun_tINSD_8identityEEEEENSD_19counting_iterator_tIlEES8_S8_S8_S8_S8_S8_S8_S8_EEEEPS9_S9_NSD_9__find_if7functorIS9_EEEE10hipError_tPvRmT1_T2_T3_mT4_P12ihipStream_tbEUlT_E1_NS1_11comp_targetILNS1_3genE4ELNS1_11target_archE910ELNS1_3gpuE8ELNS1_3repE0EEENS1_30default_config_static_selectorELNS0_4arch9wavefront6targetE1EEEvS14_
                                        ; -- End function
	.section	.AMDGPU.csdata,"",@progbits
; Kernel info:
; codeLenInByte = 13144
; NumSgprs: 44
; NumVgprs: 27
; NumAgprs: 0
; TotalNumVgprs: 27
; ScratchSize: 0
; MemoryBound: 0
; FloatMode: 240
; IeeeMode: 1
; LDSByteSize: 320 bytes/workgroup (compile time only)
; SGPRBlocks: 5
; VGPRBlocks: 3
; NumSGPRsForWavesPerEU: 44
; NumVGPRsForWavesPerEU: 27
; AccumOffset: 28
; Occupancy: 8
; WaveLimiterHint : 0
; COMPUTE_PGM_RSRC2:SCRATCH_EN: 0
; COMPUTE_PGM_RSRC2:USER_SGPR: 6
; COMPUTE_PGM_RSRC2:TRAP_HANDLER: 0
; COMPUTE_PGM_RSRC2:TGID_X_EN: 1
; COMPUTE_PGM_RSRC2:TGID_Y_EN: 0
; COMPUTE_PGM_RSRC2:TGID_Z_EN: 0
; COMPUTE_PGM_RSRC2:TIDIG_COMP_CNT: 0
; COMPUTE_PGM_RSRC3_GFX90A:ACCUM_OFFSET: 6
; COMPUTE_PGM_RSRC3_GFX90A:TG_SPLIT: 0
	.section	.text._ZN7rocprim17ROCPRIM_400000_NS6detail17trampoline_kernelINS0_14default_configENS1_22reduce_config_selectorIN6thrust23THRUST_200600_302600_NS5tupleIblNS6_9null_typeES8_S8_S8_S8_S8_S8_S8_EEEEZNS1_11reduce_implILb1ES3_NS6_12zip_iteratorINS7_INS6_11hip_rocprim26transform_input_iterator_tIbNSD_35transform_pair_of_input_iterators_tIbNS6_6detail15normal_iteratorINS6_10device_ptrIKjEEEESL_NS6_8equal_toIjEEEENSG_9not_fun_tINSD_8identityEEEEENSD_19counting_iterator_tIlEES8_S8_S8_S8_S8_S8_S8_S8_EEEEPS9_S9_NSD_9__find_if7functorIS9_EEEE10hipError_tPvRmT1_T2_T3_mT4_P12ihipStream_tbEUlT_E1_NS1_11comp_targetILNS1_3genE3ELNS1_11target_archE908ELNS1_3gpuE7ELNS1_3repE0EEENS1_30default_config_static_selectorELNS0_4arch9wavefront6targetE1EEEvS14_,"axG",@progbits,_ZN7rocprim17ROCPRIM_400000_NS6detail17trampoline_kernelINS0_14default_configENS1_22reduce_config_selectorIN6thrust23THRUST_200600_302600_NS5tupleIblNS6_9null_typeES8_S8_S8_S8_S8_S8_S8_EEEEZNS1_11reduce_implILb1ES3_NS6_12zip_iteratorINS7_INS6_11hip_rocprim26transform_input_iterator_tIbNSD_35transform_pair_of_input_iterators_tIbNS6_6detail15normal_iteratorINS6_10device_ptrIKjEEEESL_NS6_8equal_toIjEEEENSG_9not_fun_tINSD_8identityEEEEENSD_19counting_iterator_tIlEES8_S8_S8_S8_S8_S8_S8_S8_EEEEPS9_S9_NSD_9__find_if7functorIS9_EEEE10hipError_tPvRmT1_T2_T3_mT4_P12ihipStream_tbEUlT_E1_NS1_11comp_targetILNS1_3genE3ELNS1_11target_archE908ELNS1_3gpuE7ELNS1_3repE0EEENS1_30default_config_static_selectorELNS0_4arch9wavefront6targetE1EEEvS14_,comdat
	.protected	_ZN7rocprim17ROCPRIM_400000_NS6detail17trampoline_kernelINS0_14default_configENS1_22reduce_config_selectorIN6thrust23THRUST_200600_302600_NS5tupleIblNS6_9null_typeES8_S8_S8_S8_S8_S8_S8_EEEEZNS1_11reduce_implILb1ES3_NS6_12zip_iteratorINS7_INS6_11hip_rocprim26transform_input_iterator_tIbNSD_35transform_pair_of_input_iterators_tIbNS6_6detail15normal_iteratorINS6_10device_ptrIKjEEEESL_NS6_8equal_toIjEEEENSG_9not_fun_tINSD_8identityEEEEENSD_19counting_iterator_tIlEES8_S8_S8_S8_S8_S8_S8_S8_EEEEPS9_S9_NSD_9__find_if7functorIS9_EEEE10hipError_tPvRmT1_T2_T3_mT4_P12ihipStream_tbEUlT_E1_NS1_11comp_targetILNS1_3genE3ELNS1_11target_archE908ELNS1_3gpuE7ELNS1_3repE0EEENS1_30default_config_static_selectorELNS0_4arch9wavefront6targetE1EEEvS14_ ; -- Begin function _ZN7rocprim17ROCPRIM_400000_NS6detail17trampoline_kernelINS0_14default_configENS1_22reduce_config_selectorIN6thrust23THRUST_200600_302600_NS5tupleIblNS6_9null_typeES8_S8_S8_S8_S8_S8_S8_EEEEZNS1_11reduce_implILb1ES3_NS6_12zip_iteratorINS7_INS6_11hip_rocprim26transform_input_iterator_tIbNSD_35transform_pair_of_input_iterators_tIbNS6_6detail15normal_iteratorINS6_10device_ptrIKjEEEESL_NS6_8equal_toIjEEEENSG_9not_fun_tINSD_8identityEEEEENSD_19counting_iterator_tIlEES8_S8_S8_S8_S8_S8_S8_S8_EEEEPS9_S9_NSD_9__find_if7functorIS9_EEEE10hipError_tPvRmT1_T2_T3_mT4_P12ihipStream_tbEUlT_E1_NS1_11comp_targetILNS1_3genE3ELNS1_11target_archE908ELNS1_3gpuE7ELNS1_3repE0EEENS1_30default_config_static_selectorELNS0_4arch9wavefront6targetE1EEEvS14_
	.globl	_ZN7rocprim17ROCPRIM_400000_NS6detail17trampoline_kernelINS0_14default_configENS1_22reduce_config_selectorIN6thrust23THRUST_200600_302600_NS5tupleIblNS6_9null_typeES8_S8_S8_S8_S8_S8_S8_EEEEZNS1_11reduce_implILb1ES3_NS6_12zip_iteratorINS7_INS6_11hip_rocprim26transform_input_iterator_tIbNSD_35transform_pair_of_input_iterators_tIbNS6_6detail15normal_iteratorINS6_10device_ptrIKjEEEESL_NS6_8equal_toIjEEEENSG_9not_fun_tINSD_8identityEEEEENSD_19counting_iterator_tIlEES8_S8_S8_S8_S8_S8_S8_S8_EEEEPS9_S9_NSD_9__find_if7functorIS9_EEEE10hipError_tPvRmT1_T2_T3_mT4_P12ihipStream_tbEUlT_E1_NS1_11comp_targetILNS1_3genE3ELNS1_11target_archE908ELNS1_3gpuE7ELNS1_3repE0EEENS1_30default_config_static_selectorELNS0_4arch9wavefront6targetE1EEEvS14_
	.p2align	8
	.type	_ZN7rocprim17ROCPRIM_400000_NS6detail17trampoline_kernelINS0_14default_configENS1_22reduce_config_selectorIN6thrust23THRUST_200600_302600_NS5tupleIblNS6_9null_typeES8_S8_S8_S8_S8_S8_S8_EEEEZNS1_11reduce_implILb1ES3_NS6_12zip_iteratorINS7_INS6_11hip_rocprim26transform_input_iterator_tIbNSD_35transform_pair_of_input_iterators_tIbNS6_6detail15normal_iteratorINS6_10device_ptrIKjEEEESL_NS6_8equal_toIjEEEENSG_9not_fun_tINSD_8identityEEEEENSD_19counting_iterator_tIlEES8_S8_S8_S8_S8_S8_S8_S8_EEEEPS9_S9_NSD_9__find_if7functorIS9_EEEE10hipError_tPvRmT1_T2_T3_mT4_P12ihipStream_tbEUlT_E1_NS1_11comp_targetILNS1_3genE3ELNS1_11target_archE908ELNS1_3gpuE7ELNS1_3repE0EEENS1_30default_config_static_selectorELNS0_4arch9wavefront6targetE1EEEvS14_,@function
_ZN7rocprim17ROCPRIM_400000_NS6detail17trampoline_kernelINS0_14default_configENS1_22reduce_config_selectorIN6thrust23THRUST_200600_302600_NS5tupleIblNS6_9null_typeES8_S8_S8_S8_S8_S8_S8_EEEEZNS1_11reduce_implILb1ES3_NS6_12zip_iteratorINS7_INS6_11hip_rocprim26transform_input_iterator_tIbNSD_35transform_pair_of_input_iterators_tIbNS6_6detail15normal_iteratorINS6_10device_ptrIKjEEEESL_NS6_8equal_toIjEEEENSG_9not_fun_tINSD_8identityEEEEENSD_19counting_iterator_tIlEES8_S8_S8_S8_S8_S8_S8_S8_EEEEPS9_S9_NSD_9__find_if7functorIS9_EEEE10hipError_tPvRmT1_T2_T3_mT4_P12ihipStream_tbEUlT_E1_NS1_11comp_targetILNS1_3genE3ELNS1_11target_archE908ELNS1_3gpuE7ELNS1_3repE0EEENS1_30default_config_static_selectorELNS0_4arch9wavefront6targetE1EEEvS14_: ; @_ZN7rocprim17ROCPRIM_400000_NS6detail17trampoline_kernelINS0_14default_configENS1_22reduce_config_selectorIN6thrust23THRUST_200600_302600_NS5tupleIblNS6_9null_typeES8_S8_S8_S8_S8_S8_S8_EEEEZNS1_11reduce_implILb1ES3_NS6_12zip_iteratorINS7_INS6_11hip_rocprim26transform_input_iterator_tIbNSD_35transform_pair_of_input_iterators_tIbNS6_6detail15normal_iteratorINS6_10device_ptrIKjEEEESL_NS6_8equal_toIjEEEENSG_9not_fun_tINSD_8identityEEEEENSD_19counting_iterator_tIlEES8_S8_S8_S8_S8_S8_S8_S8_EEEEPS9_S9_NSD_9__find_if7functorIS9_EEEE10hipError_tPvRmT1_T2_T3_mT4_P12ihipStream_tbEUlT_E1_NS1_11comp_targetILNS1_3genE3ELNS1_11target_archE908ELNS1_3gpuE7ELNS1_3repE0EEENS1_30default_config_static_selectorELNS0_4arch9wavefront6targetE1EEEvS14_
; %bb.0:
	.section	.rodata,"a",@progbits
	.p2align	6, 0x0
	.amdhsa_kernel _ZN7rocprim17ROCPRIM_400000_NS6detail17trampoline_kernelINS0_14default_configENS1_22reduce_config_selectorIN6thrust23THRUST_200600_302600_NS5tupleIblNS6_9null_typeES8_S8_S8_S8_S8_S8_S8_EEEEZNS1_11reduce_implILb1ES3_NS6_12zip_iteratorINS7_INS6_11hip_rocprim26transform_input_iterator_tIbNSD_35transform_pair_of_input_iterators_tIbNS6_6detail15normal_iteratorINS6_10device_ptrIKjEEEESL_NS6_8equal_toIjEEEENSG_9not_fun_tINSD_8identityEEEEENSD_19counting_iterator_tIlEES8_S8_S8_S8_S8_S8_S8_S8_EEEEPS9_S9_NSD_9__find_if7functorIS9_EEEE10hipError_tPvRmT1_T2_T3_mT4_P12ihipStream_tbEUlT_E1_NS1_11comp_targetILNS1_3genE3ELNS1_11target_archE908ELNS1_3gpuE7ELNS1_3repE0EEENS1_30default_config_static_selectorELNS0_4arch9wavefront6targetE1EEEvS14_
		.amdhsa_group_segment_fixed_size 0
		.amdhsa_private_segment_fixed_size 0
		.amdhsa_kernarg_size 88
		.amdhsa_user_sgpr_count 6
		.amdhsa_user_sgpr_private_segment_buffer 1
		.amdhsa_user_sgpr_dispatch_ptr 0
		.amdhsa_user_sgpr_queue_ptr 0
		.amdhsa_user_sgpr_kernarg_segment_ptr 1
		.amdhsa_user_sgpr_dispatch_id 0
		.amdhsa_user_sgpr_flat_scratch_init 0
		.amdhsa_user_sgpr_kernarg_preload_length 0
		.amdhsa_user_sgpr_kernarg_preload_offset 0
		.amdhsa_user_sgpr_private_segment_size 0
		.amdhsa_uses_dynamic_stack 0
		.amdhsa_system_sgpr_private_segment_wavefront_offset 0
		.amdhsa_system_sgpr_workgroup_id_x 1
		.amdhsa_system_sgpr_workgroup_id_y 0
		.amdhsa_system_sgpr_workgroup_id_z 0
		.amdhsa_system_sgpr_workgroup_info 0
		.amdhsa_system_vgpr_workitem_id 0
		.amdhsa_next_free_vgpr 1
		.amdhsa_next_free_sgpr 0
		.amdhsa_accum_offset 4
		.amdhsa_reserve_vcc 0
		.amdhsa_reserve_flat_scratch 0
		.amdhsa_float_round_mode_32 0
		.amdhsa_float_round_mode_16_64 0
		.amdhsa_float_denorm_mode_32 3
		.amdhsa_float_denorm_mode_16_64 3
		.amdhsa_dx10_clamp 1
		.amdhsa_ieee_mode 1
		.amdhsa_fp16_overflow 0
		.amdhsa_tg_split 0
		.amdhsa_exception_fp_ieee_invalid_op 0
		.amdhsa_exception_fp_denorm_src 0
		.amdhsa_exception_fp_ieee_div_zero 0
		.amdhsa_exception_fp_ieee_overflow 0
		.amdhsa_exception_fp_ieee_underflow 0
		.amdhsa_exception_fp_ieee_inexact 0
		.amdhsa_exception_int_div_zero 0
	.end_amdhsa_kernel
	.section	.text._ZN7rocprim17ROCPRIM_400000_NS6detail17trampoline_kernelINS0_14default_configENS1_22reduce_config_selectorIN6thrust23THRUST_200600_302600_NS5tupleIblNS6_9null_typeES8_S8_S8_S8_S8_S8_S8_EEEEZNS1_11reduce_implILb1ES3_NS6_12zip_iteratorINS7_INS6_11hip_rocprim26transform_input_iterator_tIbNSD_35transform_pair_of_input_iterators_tIbNS6_6detail15normal_iteratorINS6_10device_ptrIKjEEEESL_NS6_8equal_toIjEEEENSG_9not_fun_tINSD_8identityEEEEENSD_19counting_iterator_tIlEES8_S8_S8_S8_S8_S8_S8_S8_EEEEPS9_S9_NSD_9__find_if7functorIS9_EEEE10hipError_tPvRmT1_T2_T3_mT4_P12ihipStream_tbEUlT_E1_NS1_11comp_targetILNS1_3genE3ELNS1_11target_archE908ELNS1_3gpuE7ELNS1_3repE0EEENS1_30default_config_static_selectorELNS0_4arch9wavefront6targetE1EEEvS14_,"axG",@progbits,_ZN7rocprim17ROCPRIM_400000_NS6detail17trampoline_kernelINS0_14default_configENS1_22reduce_config_selectorIN6thrust23THRUST_200600_302600_NS5tupleIblNS6_9null_typeES8_S8_S8_S8_S8_S8_S8_EEEEZNS1_11reduce_implILb1ES3_NS6_12zip_iteratorINS7_INS6_11hip_rocprim26transform_input_iterator_tIbNSD_35transform_pair_of_input_iterators_tIbNS6_6detail15normal_iteratorINS6_10device_ptrIKjEEEESL_NS6_8equal_toIjEEEENSG_9not_fun_tINSD_8identityEEEEENSD_19counting_iterator_tIlEES8_S8_S8_S8_S8_S8_S8_S8_EEEEPS9_S9_NSD_9__find_if7functorIS9_EEEE10hipError_tPvRmT1_T2_T3_mT4_P12ihipStream_tbEUlT_E1_NS1_11comp_targetILNS1_3genE3ELNS1_11target_archE908ELNS1_3gpuE7ELNS1_3repE0EEENS1_30default_config_static_selectorELNS0_4arch9wavefront6targetE1EEEvS14_,comdat
.Lfunc_end163:
	.size	_ZN7rocprim17ROCPRIM_400000_NS6detail17trampoline_kernelINS0_14default_configENS1_22reduce_config_selectorIN6thrust23THRUST_200600_302600_NS5tupleIblNS6_9null_typeES8_S8_S8_S8_S8_S8_S8_EEEEZNS1_11reduce_implILb1ES3_NS6_12zip_iteratorINS7_INS6_11hip_rocprim26transform_input_iterator_tIbNSD_35transform_pair_of_input_iterators_tIbNS6_6detail15normal_iteratorINS6_10device_ptrIKjEEEESL_NS6_8equal_toIjEEEENSG_9not_fun_tINSD_8identityEEEEENSD_19counting_iterator_tIlEES8_S8_S8_S8_S8_S8_S8_S8_EEEEPS9_S9_NSD_9__find_if7functorIS9_EEEE10hipError_tPvRmT1_T2_T3_mT4_P12ihipStream_tbEUlT_E1_NS1_11comp_targetILNS1_3genE3ELNS1_11target_archE908ELNS1_3gpuE7ELNS1_3repE0EEENS1_30default_config_static_selectorELNS0_4arch9wavefront6targetE1EEEvS14_, .Lfunc_end163-_ZN7rocprim17ROCPRIM_400000_NS6detail17trampoline_kernelINS0_14default_configENS1_22reduce_config_selectorIN6thrust23THRUST_200600_302600_NS5tupleIblNS6_9null_typeES8_S8_S8_S8_S8_S8_S8_EEEEZNS1_11reduce_implILb1ES3_NS6_12zip_iteratorINS7_INS6_11hip_rocprim26transform_input_iterator_tIbNSD_35transform_pair_of_input_iterators_tIbNS6_6detail15normal_iteratorINS6_10device_ptrIKjEEEESL_NS6_8equal_toIjEEEENSG_9not_fun_tINSD_8identityEEEEENSD_19counting_iterator_tIlEES8_S8_S8_S8_S8_S8_S8_S8_EEEEPS9_S9_NSD_9__find_if7functorIS9_EEEE10hipError_tPvRmT1_T2_T3_mT4_P12ihipStream_tbEUlT_E1_NS1_11comp_targetILNS1_3genE3ELNS1_11target_archE908ELNS1_3gpuE7ELNS1_3repE0EEENS1_30default_config_static_selectorELNS0_4arch9wavefront6targetE1EEEvS14_
                                        ; -- End function
	.section	.AMDGPU.csdata,"",@progbits
; Kernel info:
; codeLenInByte = 0
; NumSgprs: 4
; NumVgprs: 0
; NumAgprs: 0
; TotalNumVgprs: 0
; ScratchSize: 0
; MemoryBound: 0
; FloatMode: 240
; IeeeMode: 1
; LDSByteSize: 0 bytes/workgroup (compile time only)
; SGPRBlocks: 0
; VGPRBlocks: 0
; NumSGPRsForWavesPerEU: 4
; NumVGPRsForWavesPerEU: 1
; AccumOffset: 4
; Occupancy: 8
; WaveLimiterHint : 0
; COMPUTE_PGM_RSRC2:SCRATCH_EN: 0
; COMPUTE_PGM_RSRC2:USER_SGPR: 6
; COMPUTE_PGM_RSRC2:TRAP_HANDLER: 0
; COMPUTE_PGM_RSRC2:TGID_X_EN: 1
; COMPUTE_PGM_RSRC2:TGID_Y_EN: 0
; COMPUTE_PGM_RSRC2:TGID_Z_EN: 0
; COMPUTE_PGM_RSRC2:TIDIG_COMP_CNT: 0
; COMPUTE_PGM_RSRC3_GFX90A:ACCUM_OFFSET: 0
; COMPUTE_PGM_RSRC3_GFX90A:TG_SPLIT: 0
	.section	.text._ZN7rocprim17ROCPRIM_400000_NS6detail17trampoline_kernelINS0_14default_configENS1_22reduce_config_selectorIN6thrust23THRUST_200600_302600_NS5tupleIblNS6_9null_typeES8_S8_S8_S8_S8_S8_S8_EEEEZNS1_11reduce_implILb1ES3_NS6_12zip_iteratorINS7_INS6_11hip_rocprim26transform_input_iterator_tIbNSD_35transform_pair_of_input_iterators_tIbNS6_6detail15normal_iteratorINS6_10device_ptrIKjEEEESL_NS6_8equal_toIjEEEENSG_9not_fun_tINSD_8identityEEEEENSD_19counting_iterator_tIlEES8_S8_S8_S8_S8_S8_S8_S8_EEEEPS9_S9_NSD_9__find_if7functorIS9_EEEE10hipError_tPvRmT1_T2_T3_mT4_P12ihipStream_tbEUlT_E1_NS1_11comp_targetILNS1_3genE2ELNS1_11target_archE906ELNS1_3gpuE6ELNS1_3repE0EEENS1_30default_config_static_selectorELNS0_4arch9wavefront6targetE1EEEvS14_,"axG",@progbits,_ZN7rocprim17ROCPRIM_400000_NS6detail17trampoline_kernelINS0_14default_configENS1_22reduce_config_selectorIN6thrust23THRUST_200600_302600_NS5tupleIblNS6_9null_typeES8_S8_S8_S8_S8_S8_S8_EEEEZNS1_11reduce_implILb1ES3_NS6_12zip_iteratorINS7_INS6_11hip_rocprim26transform_input_iterator_tIbNSD_35transform_pair_of_input_iterators_tIbNS6_6detail15normal_iteratorINS6_10device_ptrIKjEEEESL_NS6_8equal_toIjEEEENSG_9not_fun_tINSD_8identityEEEEENSD_19counting_iterator_tIlEES8_S8_S8_S8_S8_S8_S8_S8_EEEEPS9_S9_NSD_9__find_if7functorIS9_EEEE10hipError_tPvRmT1_T2_T3_mT4_P12ihipStream_tbEUlT_E1_NS1_11comp_targetILNS1_3genE2ELNS1_11target_archE906ELNS1_3gpuE6ELNS1_3repE0EEENS1_30default_config_static_selectorELNS0_4arch9wavefront6targetE1EEEvS14_,comdat
	.protected	_ZN7rocprim17ROCPRIM_400000_NS6detail17trampoline_kernelINS0_14default_configENS1_22reduce_config_selectorIN6thrust23THRUST_200600_302600_NS5tupleIblNS6_9null_typeES8_S8_S8_S8_S8_S8_S8_EEEEZNS1_11reduce_implILb1ES3_NS6_12zip_iteratorINS7_INS6_11hip_rocprim26transform_input_iterator_tIbNSD_35transform_pair_of_input_iterators_tIbNS6_6detail15normal_iteratorINS6_10device_ptrIKjEEEESL_NS6_8equal_toIjEEEENSG_9not_fun_tINSD_8identityEEEEENSD_19counting_iterator_tIlEES8_S8_S8_S8_S8_S8_S8_S8_EEEEPS9_S9_NSD_9__find_if7functorIS9_EEEE10hipError_tPvRmT1_T2_T3_mT4_P12ihipStream_tbEUlT_E1_NS1_11comp_targetILNS1_3genE2ELNS1_11target_archE906ELNS1_3gpuE6ELNS1_3repE0EEENS1_30default_config_static_selectorELNS0_4arch9wavefront6targetE1EEEvS14_ ; -- Begin function _ZN7rocprim17ROCPRIM_400000_NS6detail17trampoline_kernelINS0_14default_configENS1_22reduce_config_selectorIN6thrust23THRUST_200600_302600_NS5tupleIblNS6_9null_typeES8_S8_S8_S8_S8_S8_S8_EEEEZNS1_11reduce_implILb1ES3_NS6_12zip_iteratorINS7_INS6_11hip_rocprim26transform_input_iterator_tIbNSD_35transform_pair_of_input_iterators_tIbNS6_6detail15normal_iteratorINS6_10device_ptrIKjEEEESL_NS6_8equal_toIjEEEENSG_9not_fun_tINSD_8identityEEEEENSD_19counting_iterator_tIlEES8_S8_S8_S8_S8_S8_S8_S8_EEEEPS9_S9_NSD_9__find_if7functorIS9_EEEE10hipError_tPvRmT1_T2_T3_mT4_P12ihipStream_tbEUlT_E1_NS1_11comp_targetILNS1_3genE2ELNS1_11target_archE906ELNS1_3gpuE6ELNS1_3repE0EEENS1_30default_config_static_selectorELNS0_4arch9wavefront6targetE1EEEvS14_
	.globl	_ZN7rocprim17ROCPRIM_400000_NS6detail17trampoline_kernelINS0_14default_configENS1_22reduce_config_selectorIN6thrust23THRUST_200600_302600_NS5tupleIblNS6_9null_typeES8_S8_S8_S8_S8_S8_S8_EEEEZNS1_11reduce_implILb1ES3_NS6_12zip_iteratorINS7_INS6_11hip_rocprim26transform_input_iterator_tIbNSD_35transform_pair_of_input_iterators_tIbNS6_6detail15normal_iteratorINS6_10device_ptrIKjEEEESL_NS6_8equal_toIjEEEENSG_9not_fun_tINSD_8identityEEEEENSD_19counting_iterator_tIlEES8_S8_S8_S8_S8_S8_S8_S8_EEEEPS9_S9_NSD_9__find_if7functorIS9_EEEE10hipError_tPvRmT1_T2_T3_mT4_P12ihipStream_tbEUlT_E1_NS1_11comp_targetILNS1_3genE2ELNS1_11target_archE906ELNS1_3gpuE6ELNS1_3repE0EEENS1_30default_config_static_selectorELNS0_4arch9wavefront6targetE1EEEvS14_
	.p2align	8
	.type	_ZN7rocprim17ROCPRIM_400000_NS6detail17trampoline_kernelINS0_14default_configENS1_22reduce_config_selectorIN6thrust23THRUST_200600_302600_NS5tupleIblNS6_9null_typeES8_S8_S8_S8_S8_S8_S8_EEEEZNS1_11reduce_implILb1ES3_NS6_12zip_iteratorINS7_INS6_11hip_rocprim26transform_input_iterator_tIbNSD_35transform_pair_of_input_iterators_tIbNS6_6detail15normal_iteratorINS6_10device_ptrIKjEEEESL_NS6_8equal_toIjEEEENSG_9not_fun_tINSD_8identityEEEEENSD_19counting_iterator_tIlEES8_S8_S8_S8_S8_S8_S8_S8_EEEEPS9_S9_NSD_9__find_if7functorIS9_EEEE10hipError_tPvRmT1_T2_T3_mT4_P12ihipStream_tbEUlT_E1_NS1_11comp_targetILNS1_3genE2ELNS1_11target_archE906ELNS1_3gpuE6ELNS1_3repE0EEENS1_30default_config_static_selectorELNS0_4arch9wavefront6targetE1EEEvS14_,@function
_ZN7rocprim17ROCPRIM_400000_NS6detail17trampoline_kernelINS0_14default_configENS1_22reduce_config_selectorIN6thrust23THRUST_200600_302600_NS5tupleIblNS6_9null_typeES8_S8_S8_S8_S8_S8_S8_EEEEZNS1_11reduce_implILb1ES3_NS6_12zip_iteratorINS7_INS6_11hip_rocprim26transform_input_iterator_tIbNSD_35transform_pair_of_input_iterators_tIbNS6_6detail15normal_iteratorINS6_10device_ptrIKjEEEESL_NS6_8equal_toIjEEEENSG_9not_fun_tINSD_8identityEEEEENSD_19counting_iterator_tIlEES8_S8_S8_S8_S8_S8_S8_S8_EEEEPS9_S9_NSD_9__find_if7functorIS9_EEEE10hipError_tPvRmT1_T2_T3_mT4_P12ihipStream_tbEUlT_E1_NS1_11comp_targetILNS1_3genE2ELNS1_11target_archE906ELNS1_3gpuE6ELNS1_3repE0EEENS1_30default_config_static_selectorELNS0_4arch9wavefront6targetE1EEEvS14_: ; @_ZN7rocprim17ROCPRIM_400000_NS6detail17trampoline_kernelINS0_14default_configENS1_22reduce_config_selectorIN6thrust23THRUST_200600_302600_NS5tupleIblNS6_9null_typeES8_S8_S8_S8_S8_S8_S8_EEEEZNS1_11reduce_implILb1ES3_NS6_12zip_iteratorINS7_INS6_11hip_rocprim26transform_input_iterator_tIbNSD_35transform_pair_of_input_iterators_tIbNS6_6detail15normal_iteratorINS6_10device_ptrIKjEEEESL_NS6_8equal_toIjEEEENSG_9not_fun_tINSD_8identityEEEEENSD_19counting_iterator_tIlEES8_S8_S8_S8_S8_S8_S8_S8_EEEEPS9_S9_NSD_9__find_if7functorIS9_EEEE10hipError_tPvRmT1_T2_T3_mT4_P12ihipStream_tbEUlT_E1_NS1_11comp_targetILNS1_3genE2ELNS1_11target_archE906ELNS1_3gpuE6ELNS1_3repE0EEENS1_30default_config_static_selectorELNS0_4arch9wavefront6targetE1EEEvS14_
; %bb.0:
	.section	.rodata,"a",@progbits
	.p2align	6, 0x0
	.amdhsa_kernel _ZN7rocprim17ROCPRIM_400000_NS6detail17trampoline_kernelINS0_14default_configENS1_22reduce_config_selectorIN6thrust23THRUST_200600_302600_NS5tupleIblNS6_9null_typeES8_S8_S8_S8_S8_S8_S8_EEEEZNS1_11reduce_implILb1ES3_NS6_12zip_iteratorINS7_INS6_11hip_rocprim26transform_input_iterator_tIbNSD_35transform_pair_of_input_iterators_tIbNS6_6detail15normal_iteratorINS6_10device_ptrIKjEEEESL_NS6_8equal_toIjEEEENSG_9not_fun_tINSD_8identityEEEEENSD_19counting_iterator_tIlEES8_S8_S8_S8_S8_S8_S8_S8_EEEEPS9_S9_NSD_9__find_if7functorIS9_EEEE10hipError_tPvRmT1_T2_T3_mT4_P12ihipStream_tbEUlT_E1_NS1_11comp_targetILNS1_3genE2ELNS1_11target_archE906ELNS1_3gpuE6ELNS1_3repE0EEENS1_30default_config_static_selectorELNS0_4arch9wavefront6targetE1EEEvS14_
		.amdhsa_group_segment_fixed_size 0
		.amdhsa_private_segment_fixed_size 0
		.amdhsa_kernarg_size 88
		.amdhsa_user_sgpr_count 6
		.amdhsa_user_sgpr_private_segment_buffer 1
		.amdhsa_user_sgpr_dispatch_ptr 0
		.amdhsa_user_sgpr_queue_ptr 0
		.amdhsa_user_sgpr_kernarg_segment_ptr 1
		.amdhsa_user_sgpr_dispatch_id 0
		.amdhsa_user_sgpr_flat_scratch_init 0
		.amdhsa_user_sgpr_kernarg_preload_length 0
		.amdhsa_user_sgpr_kernarg_preload_offset 0
		.amdhsa_user_sgpr_private_segment_size 0
		.amdhsa_uses_dynamic_stack 0
		.amdhsa_system_sgpr_private_segment_wavefront_offset 0
		.amdhsa_system_sgpr_workgroup_id_x 1
		.amdhsa_system_sgpr_workgroup_id_y 0
		.amdhsa_system_sgpr_workgroup_id_z 0
		.amdhsa_system_sgpr_workgroup_info 0
		.amdhsa_system_vgpr_workitem_id 0
		.amdhsa_next_free_vgpr 1
		.amdhsa_next_free_sgpr 0
		.amdhsa_accum_offset 4
		.amdhsa_reserve_vcc 0
		.amdhsa_reserve_flat_scratch 0
		.amdhsa_float_round_mode_32 0
		.amdhsa_float_round_mode_16_64 0
		.amdhsa_float_denorm_mode_32 3
		.amdhsa_float_denorm_mode_16_64 3
		.amdhsa_dx10_clamp 1
		.amdhsa_ieee_mode 1
		.amdhsa_fp16_overflow 0
		.amdhsa_tg_split 0
		.amdhsa_exception_fp_ieee_invalid_op 0
		.amdhsa_exception_fp_denorm_src 0
		.amdhsa_exception_fp_ieee_div_zero 0
		.amdhsa_exception_fp_ieee_overflow 0
		.amdhsa_exception_fp_ieee_underflow 0
		.amdhsa_exception_fp_ieee_inexact 0
		.amdhsa_exception_int_div_zero 0
	.end_amdhsa_kernel
	.section	.text._ZN7rocprim17ROCPRIM_400000_NS6detail17trampoline_kernelINS0_14default_configENS1_22reduce_config_selectorIN6thrust23THRUST_200600_302600_NS5tupleIblNS6_9null_typeES8_S8_S8_S8_S8_S8_S8_EEEEZNS1_11reduce_implILb1ES3_NS6_12zip_iteratorINS7_INS6_11hip_rocprim26transform_input_iterator_tIbNSD_35transform_pair_of_input_iterators_tIbNS6_6detail15normal_iteratorINS6_10device_ptrIKjEEEESL_NS6_8equal_toIjEEEENSG_9not_fun_tINSD_8identityEEEEENSD_19counting_iterator_tIlEES8_S8_S8_S8_S8_S8_S8_S8_EEEEPS9_S9_NSD_9__find_if7functorIS9_EEEE10hipError_tPvRmT1_T2_T3_mT4_P12ihipStream_tbEUlT_E1_NS1_11comp_targetILNS1_3genE2ELNS1_11target_archE906ELNS1_3gpuE6ELNS1_3repE0EEENS1_30default_config_static_selectorELNS0_4arch9wavefront6targetE1EEEvS14_,"axG",@progbits,_ZN7rocprim17ROCPRIM_400000_NS6detail17trampoline_kernelINS0_14default_configENS1_22reduce_config_selectorIN6thrust23THRUST_200600_302600_NS5tupleIblNS6_9null_typeES8_S8_S8_S8_S8_S8_S8_EEEEZNS1_11reduce_implILb1ES3_NS6_12zip_iteratorINS7_INS6_11hip_rocprim26transform_input_iterator_tIbNSD_35transform_pair_of_input_iterators_tIbNS6_6detail15normal_iteratorINS6_10device_ptrIKjEEEESL_NS6_8equal_toIjEEEENSG_9not_fun_tINSD_8identityEEEEENSD_19counting_iterator_tIlEES8_S8_S8_S8_S8_S8_S8_S8_EEEEPS9_S9_NSD_9__find_if7functorIS9_EEEE10hipError_tPvRmT1_T2_T3_mT4_P12ihipStream_tbEUlT_E1_NS1_11comp_targetILNS1_3genE2ELNS1_11target_archE906ELNS1_3gpuE6ELNS1_3repE0EEENS1_30default_config_static_selectorELNS0_4arch9wavefront6targetE1EEEvS14_,comdat
.Lfunc_end164:
	.size	_ZN7rocprim17ROCPRIM_400000_NS6detail17trampoline_kernelINS0_14default_configENS1_22reduce_config_selectorIN6thrust23THRUST_200600_302600_NS5tupleIblNS6_9null_typeES8_S8_S8_S8_S8_S8_S8_EEEEZNS1_11reduce_implILb1ES3_NS6_12zip_iteratorINS7_INS6_11hip_rocprim26transform_input_iterator_tIbNSD_35transform_pair_of_input_iterators_tIbNS6_6detail15normal_iteratorINS6_10device_ptrIKjEEEESL_NS6_8equal_toIjEEEENSG_9not_fun_tINSD_8identityEEEEENSD_19counting_iterator_tIlEES8_S8_S8_S8_S8_S8_S8_S8_EEEEPS9_S9_NSD_9__find_if7functorIS9_EEEE10hipError_tPvRmT1_T2_T3_mT4_P12ihipStream_tbEUlT_E1_NS1_11comp_targetILNS1_3genE2ELNS1_11target_archE906ELNS1_3gpuE6ELNS1_3repE0EEENS1_30default_config_static_selectorELNS0_4arch9wavefront6targetE1EEEvS14_, .Lfunc_end164-_ZN7rocprim17ROCPRIM_400000_NS6detail17trampoline_kernelINS0_14default_configENS1_22reduce_config_selectorIN6thrust23THRUST_200600_302600_NS5tupleIblNS6_9null_typeES8_S8_S8_S8_S8_S8_S8_EEEEZNS1_11reduce_implILb1ES3_NS6_12zip_iteratorINS7_INS6_11hip_rocprim26transform_input_iterator_tIbNSD_35transform_pair_of_input_iterators_tIbNS6_6detail15normal_iteratorINS6_10device_ptrIKjEEEESL_NS6_8equal_toIjEEEENSG_9not_fun_tINSD_8identityEEEEENSD_19counting_iterator_tIlEES8_S8_S8_S8_S8_S8_S8_S8_EEEEPS9_S9_NSD_9__find_if7functorIS9_EEEE10hipError_tPvRmT1_T2_T3_mT4_P12ihipStream_tbEUlT_E1_NS1_11comp_targetILNS1_3genE2ELNS1_11target_archE906ELNS1_3gpuE6ELNS1_3repE0EEENS1_30default_config_static_selectorELNS0_4arch9wavefront6targetE1EEEvS14_
                                        ; -- End function
	.section	.AMDGPU.csdata,"",@progbits
; Kernel info:
; codeLenInByte = 0
; NumSgprs: 4
; NumVgprs: 0
; NumAgprs: 0
; TotalNumVgprs: 0
; ScratchSize: 0
; MemoryBound: 0
; FloatMode: 240
; IeeeMode: 1
; LDSByteSize: 0 bytes/workgroup (compile time only)
; SGPRBlocks: 0
; VGPRBlocks: 0
; NumSGPRsForWavesPerEU: 4
; NumVGPRsForWavesPerEU: 1
; AccumOffset: 4
; Occupancy: 8
; WaveLimiterHint : 0
; COMPUTE_PGM_RSRC2:SCRATCH_EN: 0
; COMPUTE_PGM_RSRC2:USER_SGPR: 6
; COMPUTE_PGM_RSRC2:TRAP_HANDLER: 0
; COMPUTE_PGM_RSRC2:TGID_X_EN: 1
; COMPUTE_PGM_RSRC2:TGID_Y_EN: 0
; COMPUTE_PGM_RSRC2:TGID_Z_EN: 0
; COMPUTE_PGM_RSRC2:TIDIG_COMP_CNT: 0
; COMPUTE_PGM_RSRC3_GFX90A:ACCUM_OFFSET: 0
; COMPUTE_PGM_RSRC3_GFX90A:TG_SPLIT: 0
	.section	.text._ZN7rocprim17ROCPRIM_400000_NS6detail17trampoline_kernelINS0_14default_configENS1_22reduce_config_selectorIN6thrust23THRUST_200600_302600_NS5tupleIblNS6_9null_typeES8_S8_S8_S8_S8_S8_S8_EEEEZNS1_11reduce_implILb1ES3_NS6_12zip_iteratorINS7_INS6_11hip_rocprim26transform_input_iterator_tIbNSD_35transform_pair_of_input_iterators_tIbNS6_6detail15normal_iteratorINS6_10device_ptrIKjEEEESL_NS6_8equal_toIjEEEENSG_9not_fun_tINSD_8identityEEEEENSD_19counting_iterator_tIlEES8_S8_S8_S8_S8_S8_S8_S8_EEEEPS9_S9_NSD_9__find_if7functorIS9_EEEE10hipError_tPvRmT1_T2_T3_mT4_P12ihipStream_tbEUlT_E1_NS1_11comp_targetILNS1_3genE10ELNS1_11target_archE1201ELNS1_3gpuE5ELNS1_3repE0EEENS1_30default_config_static_selectorELNS0_4arch9wavefront6targetE1EEEvS14_,"axG",@progbits,_ZN7rocprim17ROCPRIM_400000_NS6detail17trampoline_kernelINS0_14default_configENS1_22reduce_config_selectorIN6thrust23THRUST_200600_302600_NS5tupleIblNS6_9null_typeES8_S8_S8_S8_S8_S8_S8_EEEEZNS1_11reduce_implILb1ES3_NS6_12zip_iteratorINS7_INS6_11hip_rocprim26transform_input_iterator_tIbNSD_35transform_pair_of_input_iterators_tIbNS6_6detail15normal_iteratorINS6_10device_ptrIKjEEEESL_NS6_8equal_toIjEEEENSG_9not_fun_tINSD_8identityEEEEENSD_19counting_iterator_tIlEES8_S8_S8_S8_S8_S8_S8_S8_EEEEPS9_S9_NSD_9__find_if7functorIS9_EEEE10hipError_tPvRmT1_T2_T3_mT4_P12ihipStream_tbEUlT_E1_NS1_11comp_targetILNS1_3genE10ELNS1_11target_archE1201ELNS1_3gpuE5ELNS1_3repE0EEENS1_30default_config_static_selectorELNS0_4arch9wavefront6targetE1EEEvS14_,comdat
	.protected	_ZN7rocprim17ROCPRIM_400000_NS6detail17trampoline_kernelINS0_14default_configENS1_22reduce_config_selectorIN6thrust23THRUST_200600_302600_NS5tupleIblNS6_9null_typeES8_S8_S8_S8_S8_S8_S8_EEEEZNS1_11reduce_implILb1ES3_NS6_12zip_iteratorINS7_INS6_11hip_rocprim26transform_input_iterator_tIbNSD_35transform_pair_of_input_iterators_tIbNS6_6detail15normal_iteratorINS6_10device_ptrIKjEEEESL_NS6_8equal_toIjEEEENSG_9not_fun_tINSD_8identityEEEEENSD_19counting_iterator_tIlEES8_S8_S8_S8_S8_S8_S8_S8_EEEEPS9_S9_NSD_9__find_if7functorIS9_EEEE10hipError_tPvRmT1_T2_T3_mT4_P12ihipStream_tbEUlT_E1_NS1_11comp_targetILNS1_3genE10ELNS1_11target_archE1201ELNS1_3gpuE5ELNS1_3repE0EEENS1_30default_config_static_selectorELNS0_4arch9wavefront6targetE1EEEvS14_ ; -- Begin function _ZN7rocprim17ROCPRIM_400000_NS6detail17trampoline_kernelINS0_14default_configENS1_22reduce_config_selectorIN6thrust23THRUST_200600_302600_NS5tupleIblNS6_9null_typeES8_S8_S8_S8_S8_S8_S8_EEEEZNS1_11reduce_implILb1ES3_NS6_12zip_iteratorINS7_INS6_11hip_rocprim26transform_input_iterator_tIbNSD_35transform_pair_of_input_iterators_tIbNS6_6detail15normal_iteratorINS6_10device_ptrIKjEEEESL_NS6_8equal_toIjEEEENSG_9not_fun_tINSD_8identityEEEEENSD_19counting_iterator_tIlEES8_S8_S8_S8_S8_S8_S8_S8_EEEEPS9_S9_NSD_9__find_if7functorIS9_EEEE10hipError_tPvRmT1_T2_T3_mT4_P12ihipStream_tbEUlT_E1_NS1_11comp_targetILNS1_3genE10ELNS1_11target_archE1201ELNS1_3gpuE5ELNS1_3repE0EEENS1_30default_config_static_selectorELNS0_4arch9wavefront6targetE1EEEvS14_
	.globl	_ZN7rocprim17ROCPRIM_400000_NS6detail17trampoline_kernelINS0_14default_configENS1_22reduce_config_selectorIN6thrust23THRUST_200600_302600_NS5tupleIblNS6_9null_typeES8_S8_S8_S8_S8_S8_S8_EEEEZNS1_11reduce_implILb1ES3_NS6_12zip_iteratorINS7_INS6_11hip_rocprim26transform_input_iterator_tIbNSD_35transform_pair_of_input_iterators_tIbNS6_6detail15normal_iteratorINS6_10device_ptrIKjEEEESL_NS6_8equal_toIjEEEENSG_9not_fun_tINSD_8identityEEEEENSD_19counting_iterator_tIlEES8_S8_S8_S8_S8_S8_S8_S8_EEEEPS9_S9_NSD_9__find_if7functorIS9_EEEE10hipError_tPvRmT1_T2_T3_mT4_P12ihipStream_tbEUlT_E1_NS1_11comp_targetILNS1_3genE10ELNS1_11target_archE1201ELNS1_3gpuE5ELNS1_3repE0EEENS1_30default_config_static_selectorELNS0_4arch9wavefront6targetE1EEEvS14_
	.p2align	8
	.type	_ZN7rocprim17ROCPRIM_400000_NS6detail17trampoline_kernelINS0_14default_configENS1_22reduce_config_selectorIN6thrust23THRUST_200600_302600_NS5tupleIblNS6_9null_typeES8_S8_S8_S8_S8_S8_S8_EEEEZNS1_11reduce_implILb1ES3_NS6_12zip_iteratorINS7_INS6_11hip_rocprim26transform_input_iterator_tIbNSD_35transform_pair_of_input_iterators_tIbNS6_6detail15normal_iteratorINS6_10device_ptrIKjEEEESL_NS6_8equal_toIjEEEENSG_9not_fun_tINSD_8identityEEEEENSD_19counting_iterator_tIlEES8_S8_S8_S8_S8_S8_S8_S8_EEEEPS9_S9_NSD_9__find_if7functorIS9_EEEE10hipError_tPvRmT1_T2_T3_mT4_P12ihipStream_tbEUlT_E1_NS1_11comp_targetILNS1_3genE10ELNS1_11target_archE1201ELNS1_3gpuE5ELNS1_3repE0EEENS1_30default_config_static_selectorELNS0_4arch9wavefront6targetE1EEEvS14_,@function
_ZN7rocprim17ROCPRIM_400000_NS6detail17trampoline_kernelINS0_14default_configENS1_22reduce_config_selectorIN6thrust23THRUST_200600_302600_NS5tupleIblNS6_9null_typeES8_S8_S8_S8_S8_S8_S8_EEEEZNS1_11reduce_implILb1ES3_NS6_12zip_iteratorINS7_INS6_11hip_rocprim26transform_input_iterator_tIbNSD_35transform_pair_of_input_iterators_tIbNS6_6detail15normal_iteratorINS6_10device_ptrIKjEEEESL_NS6_8equal_toIjEEEENSG_9not_fun_tINSD_8identityEEEEENSD_19counting_iterator_tIlEES8_S8_S8_S8_S8_S8_S8_S8_EEEEPS9_S9_NSD_9__find_if7functorIS9_EEEE10hipError_tPvRmT1_T2_T3_mT4_P12ihipStream_tbEUlT_E1_NS1_11comp_targetILNS1_3genE10ELNS1_11target_archE1201ELNS1_3gpuE5ELNS1_3repE0EEENS1_30default_config_static_selectorELNS0_4arch9wavefront6targetE1EEEvS14_: ; @_ZN7rocprim17ROCPRIM_400000_NS6detail17trampoline_kernelINS0_14default_configENS1_22reduce_config_selectorIN6thrust23THRUST_200600_302600_NS5tupleIblNS6_9null_typeES8_S8_S8_S8_S8_S8_S8_EEEEZNS1_11reduce_implILb1ES3_NS6_12zip_iteratorINS7_INS6_11hip_rocprim26transform_input_iterator_tIbNSD_35transform_pair_of_input_iterators_tIbNS6_6detail15normal_iteratorINS6_10device_ptrIKjEEEESL_NS6_8equal_toIjEEEENSG_9not_fun_tINSD_8identityEEEEENSD_19counting_iterator_tIlEES8_S8_S8_S8_S8_S8_S8_S8_EEEEPS9_S9_NSD_9__find_if7functorIS9_EEEE10hipError_tPvRmT1_T2_T3_mT4_P12ihipStream_tbEUlT_E1_NS1_11comp_targetILNS1_3genE10ELNS1_11target_archE1201ELNS1_3gpuE5ELNS1_3repE0EEENS1_30default_config_static_selectorELNS0_4arch9wavefront6targetE1EEEvS14_
; %bb.0:
	.section	.rodata,"a",@progbits
	.p2align	6, 0x0
	.amdhsa_kernel _ZN7rocprim17ROCPRIM_400000_NS6detail17trampoline_kernelINS0_14default_configENS1_22reduce_config_selectorIN6thrust23THRUST_200600_302600_NS5tupleIblNS6_9null_typeES8_S8_S8_S8_S8_S8_S8_EEEEZNS1_11reduce_implILb1ES3_NS6_12zip_iteratorINS7_INS6_11hip_rocprim26transform_input_iterator_tIbNSD_35transform_pair_of_input_iterators_tIbNS6_6detail15normal_iteratorINS6_10device_ptrIKjEEEESL_NS6_8equal_toIjEEEENSG_9not_fun_tINSD_8identityEEEEENSD_19counting_iterator_tIlEES8_S8_S8_S8_S8_S8_S8_S8_EEEEPS9_S9_NSD_9__find_if7functorIS9_EEEE10hipError_tPvRmT1_T2_T3_mT4_P12ihipStream_tbEUlT_E1_NS1_11comp_targetILNS1_3genE10ELNS1_11target_archE1201ELNS1_3gpuE5ELNS1_3repE0EEENS1_30default_config_static_selectorELNS0_4arch9wavefront6targetE1EEEvS14_
		.amdhsa_group_segment_fixed_size 0
		.amdhsa_private_segment_fixed_size 0
		.amdhsa_kernarg_size 88
		.amdhsa_user_sgpr_count 6
		.amdhsa_user_sgpr_private_segment_buffer 1
		.amdhsa_user_sgpr_dispatch_ptr 0
		.amdhsa_user_sgpr_queue_ptr 0
		.amdhsa_user_sgpr_kernarg_segment_ptr 1
		.amdhsa_user_sgpr_dispatch_id 0
		.amdhsa_user_sgpr_flat_scratch_init 0
		.amdhsa_user_sgpr_kernarg_preload_length 0
		.amdhsa_user_sgpr_kernarg_preload_offset 0
		.amdhsa_user_sgpr_private_segment_size 0
		.amdhsa_uses_dynamic_stack 0
		.amdhsa_system_sgpr_private_segment_wavefront_offset 0
		.amdhsa_system_sgpr_workgroup_id_x 1
		.amdhsa_system_sgpr_workgroup_id_y 0
		.amdhsa_system_sgpr_workgroup_id_z 0
		.amdhsa_system_sgpr_workgroup_info 0
		.amdhsa_system_vgpr_workitem_id 0
		.amdhsa_next_free_vgpr 1
		.amdhsa_next_free_sgpr 0
		.amdhsa_accum_offset 4
		.amdhsa_reserve_vcc 0
		.amdhsa_reserve_flat_scratch 0
		.amdhsa_float_round_mode_32 0
		.amdhsa_float_round_mode_16_64 0
		.amdhsa_float_denorm_mode_32 3
		.amdhsa_float_denorm_mode_16_64 3
		.amdhsa_dx10_clamp 1
		.amdhsa_ieee_mode 1
		.amdhsa_fp16_overflow 0
		.amdhsa_tg_split 0
		.amdhsa_exception_fp_ieee_invalid_op 0
		.amdhsa_exception_fp_denorm_src 0
		.amdhsa_exception_fp_ieee_div_zero 0
		.amdhsa_exception_fp_ieee_overflow 0
		.amdhsa_exception_fp_ieee_underflow 0
		.amdhsa_exception_fp_ieee_inexact 0
		.amdhsa_exception_int_div_zero 0
	.end_amdhsa_kernel
	.section	.text._ZN7rocprim17ROCPRIM_400000_NS6detail17trampoline_kernelINS0_14default_configENS1_22reduce_config_selectorIN6thrust23THRUST_200600_302600_NS5tupleIblNS6_9null_typeES8_S8_S8_S8_S8_S8_S8_EEEEZNS1_11reduce_implILb1ES3_NS6_12zip_iteratorINS7_INS6_11hip_rocprim26transform_input_iterator_tIbNSD_35transform_pair_of_input_iterators_tIbNS6_6detail15normal_iteratorINS6_10device_ptrIKjEEEESL_NS6_8equal_toIjEEEENSG_9not_fun_tINSD_8identityEEEEENSD_19counting_iterator_tIlEES8_S8_S8_S8_S8_S8_S8_S8_EEEEPS9_S9_NSD_9__find_if7functorIS9_EEEE10hipError_tPvRmT1_T2_T3_mT4_P12ihipStream_tbEUlT_E1_NS1_11comp_targetILNS1_3genE10ELNS1_11target_archE1201ELNS1_3gpuE5ELNS1_3repE0EEENS1_30default_config_static_selectorELNS0_4arch9wavefront6targetE1EEEvS14_,"axG",@progbits,_ZN7rocprim17ROCPRIM_400000_NS6detail17trampoline_kernelINS0_14default_configENS1_22reduce_config_selectorIN6thrust23THRUST_200600_302600_NS5tupleIblNS6_9null_typeES8_S8_S8_S8_S8_S8_S8_EEEEZNS1_11reduce_implILb1ES3_NS6_12zip_iteratorINS7_INS6_11hip_rocprim26transform_input_iterator_tIbNSD_35transform_pair_of_input_iterators_tIbNS6_6detail15normal_iteratorINS6_10device_ptrIKjEEEESL_NS6_8equal_toIjEEEENSG_9not_fun_tINSD_8identityEEEEENSD_19counting_iterator_tIlEES8_S8_S8_S8_S8_S8_S8_S8_EEEEPS9_S9_NSD_9__find_if7functorIS9_EEEE10hipError_tPvRmT1_T2_T3_mT4_P12ihipStream_tbEUlT_E1_NS1_11comp_targetILNS1_3genE10ELNS1_11target_archE1201ELNS1_3gpuE5ELNS1_3repE0EEENS1_30default_config_static_selectorELNS0_4arch9wavefront6targetE1EEEvS14_,comdat
.Lfunc_end165:
	.size	_ZN7rocprim17ROCPRIM_400000_NS6detail17trampoline_kernelINS0_14default_configENS1_22reduce_config_selectorIN6thrust23THRUST_200600_302600_NS5tupleIblNS6_9null_typeES8_S8_S8_S8_S8_S8_S8_EEEEZNS1_11reduce_implILb1ES3_NS6_12zip_iteratorINS7_INS6_11hip_rocprim26transform_input_iterator_tIbNSD_35transform_pair_of_input_iterators_tIbNS6_6detail15normal_iteratorINS6_10device_ptrIKjEEEESL_NS6_8equal_toIjEEEENSG_9not_fun_tINSD_8identityEEEEENSD_19counting_iterator_tIlEES8_S8_S8_S8_S8_S8_S8_S8_EEEEPS9_S9_NSD_9__find_if7functorIS9_EEEE10hipError_tPvRmT1_T2_T3_mT4_P12ihipStream_tbEUlT_E1_NS1_11comp_targetILNS1_3genE10ELNS1_11target_archE1201ELNS1_3gpuE5ELNS1_3repE0EEENS1_30default_config_static_selectorELNS0_4arch9wavefront6targetE1EEEvS14_, .Lfunc_end165-_ZN7rocprim17ROCPRIM_400000_NS6detail17trampoline_kernelINS0_14default_configENS1_22reduce_config_selectorIN6thrust23THRUST_200600_302600_NS5tupleIblNS6_9null_typeES8_S8_S8_S8_S8_S8_S8_EEEEZNS1_11reduce_implILb1ES3_NS6_12zip_iteratorINS7_INS6_11hip_rocprim26transform_input_iterator_tIbNSD_35transform_pair_of_input_iterators_tIbNS6_6detail15normal_iteratorINS6_10device_ptrIKjEEEESL_NS6_8equal_toIjEEEENSG_9not_fun_tINSD_8identityEEEEENSD_19counting_iterator_tIlEES8_S8_S8_S8_S8_S8_S8_S8_EEEEPS9_S9_NSD_9__find_if7functorIS9_EEEE10hipError_tPvRmT1_T2_T3_mT4_P12ihipStream_tbEUlT_E1_NS1_11comp_targetILNS1_3genE10ELNS1_11target_archE1201ELNS1_3gpuE5ELNS1_3repE0EEENS1_30default_config_static_selectorELNS0_4arch9wavefront6targetE1EEEvS14_
                                        ; -- End function
	.section	.AMDGPU.csdata,"",@progbits
; Kernel info:
; codeLenInByte = 0
; NumSgprs: 4
; NumVgprs: 0
; NumAgprs: 0
; TotalNumVgprs: 0
; ScratchSize: 0
; MemoryBound: 0
; FloatMode: 240
; IeeeMode: 1
; LDSByteSize: 0 bytes/workgroup (compile time only)
; SGPRBlocks: 0
; VGPRBlocks: 0
; NumSGPRsForWavesPerEU: 4
; NumVGPRsForWavesPerEU: 1
; AccumOffset: 4
; Occupancy: 8
; WaveLimiterHint : 0
; COMPUTE_PGM_RSRC2:SCRATCH_EN: 0
; COMPUTE_PGM_RSRC2:USER_SGPR: 6
; COMPUTE_PGM_RSRC2:TRAP_HANDLER: 0
; COMPUTE_PGM_RSRC2:TGID_X_EN: 1
; COMPUTE_PGM_RSRC2:TGID_Y_EN: 0
; COMPUTE_PGM_RSRC2:TGID_Z_EN: 0
; COMPUTE_PGM_RSRC2:TIDIG_COMP_CNT: 0
; COMPUTE_PGM_RSRC3_GFX90A:ACCUM_OFFSET: 0
; COMPUTE_PGM_RSRC3_GFX90A:TG_SPLIT: 0
	.section	.text._ZN7rocprim17ROCPRIM_400000_NS6detail17trampoline_kernelINS0_14default_configENS1_22reduce_config_selectorIN6thrust23THRUST_200600_302600_NS5tupleIblNS6_9null_typeES8_S8_S8_S8_S8_S8_S8_EEEEZNS1_11reduce_implILb1ES3_NS6_12zip_iteratorINS7_INS6_11hip_rocprim26transform_input_iterator_tIbNSD_35transform_pair_of_input_iterators_tIbNS6_6detail15normal_iteratorINS6_10device_ptrIKjEEEESL_NS6_8equal_toIjEEEENSG_9not_fun_tINSD_8identityEEEEENSD_19counting_iterator_tIlEES8_S8_S8_S8_S8_S8_S8_S8_EEEEPS9_S9_NSD_9__find_if7functorIS9_EEEE10hipError_tPvRmT1_T2_T3_mT4_P12ihipStream_tbEUlT_E1_NS1_11comp_targetILNS1_3genE10ELNS1_11target_archE1200ELNS1_3gpuE4ELNS1_3repE0EEENS1_30default_config_static_selectorELNS0_4arch9wavefront6targetE1EEEvS14_,"axG",@progbits,_ZN7rocprim17ROCPRIM_400000_NS6detail17trampoline_kernelINS0_14default_configENS1_22reduce_config_selectorIN6thrust23THRUST_200600_302600_NS5tupleIblNS6_9null_typeES8_S8_S8_S8_S8_S8_S8_EEEEZNS1_11reduce_implILb1ES3_NS6_12zip_iteratorINS7_INS6_11hip_rocprim26transform_input_iterator_tIbNSD_35transform_pair_of_input_iterators_tIbNS6_6detail15normal_iteratorINS6_10device_ptrIKjEEEESL_NS6_8equal_toIjEEEENSG_9not_fun_tINSD_8identityEEEEENSD_19counting_iterator_tIlEES8_S8_S8_S8_S8_S8_S8_S8_EEEEPS9_S9_NSD_9__find_if7functorIS9_EEEE10hipError_tPvRmT1_T2_T3_mT4_P12ihipStream_tbEUlT_E1_NS1_11comp_targetILNS1_3genE10ELNS1_11target_archE1200ELNS1_3gpuE4ELNS1_3repE0EEENS1_30default_config_static_selectorELNS0_4arch9wavefront6targetE1EEEvS14_,comdat
	.protected	_ZN7rocprim17ROCPRIM_400000_NS6detail17trampoline_kernelINS0_14default_configENS1_22reduce_config_selectorIN6thrust23THRUST_200600_302600_NS5tupleIblNS6_9null_typeES8_S8_S8_S8_S8_S8_S8_EEEEZNS1_11reduce_implILb1ES3_NS6_12zip_iteratorINS7_INS6_11hip_rocprim26transform_input_iterator_tIbNSD_35transform_pair_of_input_iterators_tIbNS6_6detail15normal_iteratorINS6_10device_ptrIKjEEEESL_NS6_8equal_toIjEEEENSG_9not_fun_tINSD_8identityEEEEENSD_19counting_iterator_tIlEES8_S8_S8_S8_S8_S8_S8_S8_EEEEPS9_S9_NSD_9__find_if7functorIS9_EEEE10hipError_tPvRmT1_T2_T3_mT4_P12ihipStream_tbEUlT_E1_NS1_11comp_targetILNS1_3genE10ELNS1_11target_archE1200ELNS1_3gpuE4ELNS1_3repE0EEENS1_30default_config_static_selectorELNS0_4arch9wavefront6targetE1EEEvS14_ ; -- Begin function _ZN7rocprim17ROCPRIM_400000_NS6detail17trampoline_kernelINS0_14default_configENS1_22reduce_config_selectorIN6thrust23THRUST_200600_302600_NS5tupleIblNS6_9null_typeES8_S8_S8_S8_S8_S8_S8_EEEEZNS1_11reduce_implILb1ES3_NS6_12zip_iteratorINS7_INS6_11hip_rocprim26transform_input_iterator_tIbNSD_35transform_pair_of_input_iterators_tIbNS6_6detail15normal_iteratorINS6_10device_ptrIKjEEEESL_NS6_8equal_toIjEEEENSG_9not_fun_tINSD_8identityEEEEENSD_19counting_iterator_tIlEES8_S8_S8_S8_S8_S8_S8_S8_EEEEPS9_S9_NSD_9__find_if7functorIS9_EEEE10hipError_tPvRmT1_T2_T3_mT4_P12ihipStream_tbEUlT_E1_NS1_11comp_targetILNS1_3genE10ELNS1_11target_archE1200ELNS1_3gpuE4ELNS1_3repE0EEENS1_30default_config_static_selectorELNS0_4arch9wavefront6targetE1EEEvS14_
	.globl	_ZN7rocprim17ROCPRIM_400000_NS6detail17trampoline_kernelINS0_14default_configENS1_22reduce_config_selectorIN6thrust23THRUST_200600_302600_NS5tupleIblNS6_9null_typeES8_S8_S8_S8_S8_S8_S8_EEEEZNS1_11reduce_implILb1ES3_NS6_12zip_iteratorINS7_INS6_11hip_rocprim26transform_input_iterator_tIbNSD_35transform_pair_of_input_iterators_tIbNS6_6detail15normal_iteratorINS6_10device_ptrIKjEEEESL_NS6_8equal_toIjEEEENSG_9not_fun_tINSD_8identityEEEEENSD_19counting_iterator_tIlEES8_S8_S8_S8_S8_S8_S8_S8_EEEEPS9_S9_NSD_9__find_if7functorIS9_EEEE10hipError_tPvRmT1_T2_T3_mT4_P12ihipStream_tbEUlT_E1_NS1_11comp_targetILNS1_3genE10ELNS1_11target_archE1200ELNS1_3gpuE4ELNS1_3repE0EEENS1_30default_config_static_selectorELNS0_4arch9wavefront6targetE1EEEvS14_
	.p2align	8
	.type	_ZN7rocprim17ROCPRIM_400000_NS6detail17trampoline_kernelINS0_14default_configENS1_22reduce_config_selectorIN6thrust23THRUST_200600_302600_NS5tupleIblNS6_9null_typeES8_S8_S8_S8_S8_S8_S8_EEEEZNS1_11reduce_implILb1ES3_NS6_12zip_iteratorINS7_INS6_11hip_rocprim26transform_input_iterator_tIbNSD_35transform_pair_of_input_iterators_tIbNS6_6detail15normal_iteratorINS6_10device_ptrIKjEEEESL_NS6_8equal_toIjEEEENSG_9not_fun_tINSD_8identityEEEEENSD_19counting_iterator_tIlEES8_S8_S8_S8_S8_S8_S8_S8_EEEEPS9_S9_NSD_9__find_if7functorIS9_EEEE10hipError_tPvRmT1_T2_T3_mT4_P12ihipStream_tbEUlT_E1_NS1_11comp_targetILNS1_3genE10ELNS1_11target_archE1200ELNS1_3gpuE4ELNS1_3repE0EEENS1_30default_config_static_selectorELNS0_4arch9wavefront6targetE1EEEvS14_,@function
_ZN7rocprim17ROCPRIM_400000_NS6detail17trampoline_kernelINS0_14default_configENS1_22reduce_config_selectorIN6thrust23THRUST_200600_302600_NS5tupleIblNS6_9null_typeES8_S8_S8_S8_S8_S8_S8_EEEEZNS1_11reduce_implILb1ES3_NS6_12zip_iteratorINS7_INS6_11hip_rocprim26transform_input_iterator_tIbNSD_35transform_pair_of_input_iterators_tIbNS6_6detail15normal_iteratorINS6_10device_ptrIKjEEEESL_NS6_8equal_toIjEEEENSG_9not_fun_tINSD_8identityEEEEENSD_19counting_iterator_tIlEES8_S8_S8_S8_S8_S8_S8_S8_EEEEPS9_S9_NSD_9__find_if7functorIS9_EEEE10hipError_tPvRmT1_T2_T3_mT4_P12ihipStream_tbEUlT_E1_NS1_11comp_targetILNS1_3genE10ELNS1_11target_archE1200ELNS1_3gpuE4ELNS1_3repE0EEENS1_30default_config_static_selectorELNS0_4arch9wavefront6targetE1EEEvS14_: ; @_ZN7rocprim17ROCPRIM_400000_NS6detail17trampoline_kernelINS0_14default_configENS1_22reduce_config_selectorIN6thrust23THRUST_200600_302600_NS5tupleIblNS6_9null_typeES8_S8_S8_S8_S8_S8_S8_EEEEZNS1_11reduce_implILb1ES3_NS6_12zip_iteratorINS7_INS6_11hip_rocprim26transform_input_iterator_tIbNSD_35transform_pair_of_input_iterators_tIbNS6_6detail15normal_iteratorINS6_10device_ptrIKjEEEESL_NS6_8equal_toIjEEEENSG_9not_fun_tINSD_8identityEEEEENSD_19counting_iterator_tIlEES8_S8_S8_S8_S8_S8_S8_S8_EEEEPS9_S9_NSD_9__find_if7functorIS9_EEEE10hipError_tPvRmT1_T2_T3_mT4_P12ihipStream_tbEUlT_E1_NS1_11comp_targetILNS1_3genE10ELNS1_11target_archE1200ELNS1_3gpuE4ELNS1_3repE0EEENS1_30default_config_static_selectorELNS0_4arch9wavefront6targetE1EEEvS14_
; %bb.0:
	.section	.rodata,"a",@progbits
	.p2align	6, 0x0
	.amdhsa_kernel _ZN7rocprim17ROCPRIM_400000_NS6detail17trampoline_kernelINS0_14default_configENS1_22reduce_config_selectorIN6thrust23THRUST_200600_302600_NS5tupleIblNS6_9null_typeES8_S8_S8_S8_S8_S8_S8_EEEEZNS1_11reduce_implILb1ES3_NS6_12zip_iteratorINS7_INS6_11hip_rocprim26transform_input_iterator_tIbNSD_35transform_pair_of_input_iterators_tIbNS6_6detail15normal_iteratorINS6_10device_ptrIKjEEEESL_NS6_8equal_toIjEEEENSG_9not_fun_tINSD_8identityEEEEENSD_19counting_iterator_tIlEES8_S8_S8_S8_S8_S8_S8_S8_EEEEPS9_S9_NSD_9__find_if7functorIS9_EEEE10hipError_tPvRmT1_T2_T3_mT4_P12ihipStream_tbEUlT_E1_NS1_11comp_targetILNS1_3genE10ELNS1_11target_archE1200ELNS1_3gpuE4ELNS1_3repE0EEENS1_30default_config_static_selectorELNS0_4arch9wavefront6targetE1EEEvS14_
		.amdhsa_group_segment_fixed_size 0
		.amdhsa_private_segment_fixed_size 0
		.amdhsa_kernarg_size 88
		.amdhsa_user_sgpr_count 6
		.amdhsa_user_sgpr_private_segment_buffer 1
		.amdhsa_user_sgpr_dispatch_ptr 0
		.amdhsa_user_sgpr_queue_ptr 0
		.amdhsa_user_sgpr_kernarg_segment_ptr 1
		.amdhsa_user_sgpr_dispatch_id 0
		.amdhsa_user_sgpr_flat_scratch_init 0
		.amdhsa_user_sgpr_kernarg_preload_length 0
		.amdhsa_user_sgpr_kernarg_preload_offset 0
		.amdhsa_user_sgpr_private_segment_size 0
		.amdhsa_uses_dynamic_stack 0
		.amdhsa_system_sgpr_private_segment_wavefront_offset 0
		.amdhsa_system_sgpr_workgroup_id_x 1
		.amdhsa_system_sgpr_workgroup_id_y 0
		.amdhsa_system_sgpr_workgroup_id_z 0
		.amdhsa_system_sgpr_workgroup_info 0
		.amdhsa_system_vgpr_workitem_id 0
		.amdhsa_next_free_vgpr 1
		.amdhsa_next_free_sgpr 0
		.amdhsa_accum_offset 4
		.amdhsa_reserve_vcc 0
		.amdhsa_reserve_flat_scratch 0
		.amdhsa_float_round_mode_32 0
		.amdhsa_float_round_mode_16_64 0
		.amdhsa_float_denorm_mode_32 3
		.amdhsa_float_denorm_mode_16_64 3
		.amdhsa_dx10_clamp 1
		.amdhsa_ieee_mode 1
		.amdhsa_fp16_overflow 0
		.amdhsa_tg_split 0
		.amdhsa_exception_fp_ieee_invalid_op 0
		.amdhsa_exception_fp_denorm_src 0
		.amdhsa_exception_fp_ieee_div_zero 0
		.amdhsa_exception_fp_ieee_overflow 0
		.amdhsa_exception_fp_ieee_underflow 0
		.amdhsa_exception_fp_ieee_inexact 0
		.amdhsa_exception_int_div_zero 0
	.end_amdhsa_kernel
	.section	.text._ZN7rocprim17ROCPRIM_400000_NS6detail17trampoline_kernelINS0_14default_configENS1_22reduce_config_selectorIN6thrust23THRUST_200600_302600_NS5tupleIblNS6_9null_typeES8_S8_S8_S8_S8_S8_S8_EEEEZNS1_11reduce_implILb1ES3_NS6_12zip_iteratorINS7_INS6_11hip_rocprim26transform_input_iterator_tIbNSD_35transform_pair_of_input_iterators_tIbNS6_6detail15normal_iteratorINS6_10device_ptrIKjEEEESL_NS6_8equal_toIjEEEENSG_9not_fun_tINSD_8identityEEEEENSD_19counting_iterator_tIlEES8_S8_S8_S8_S8_S8_S8_S8_EEEEPS9_S9_NSD_9__find_if7functorIS9_EEEE10hipError_tPvRmT1_T2_T3_mT4_P12ihipStream_tbEUlT_E1_NS1_11comp_targetILNS1_3genE10ELNS1_11target_archE1200ELNS1_3gpuE4ELNS1_3repE0EEENS1_30default_config_static_selectorELNS0_4arch9wavefront6targetE1EEEvS14_,"axG",@progbits,_ZN7rocprim17ROCPRIM_400000_NS6detail17trampoline_kernelINS0_14default_configENS1_22reduce_config_selectorIN6thrust23THRUST_200600_302600_NS5tupleIblNS6_9null_typeES8_S8_S8_S8_S8_S8_S8_EEEEZNS1_11reduce_implILb1ES3_NS6_12zip_iteratorINS7_INS6_11hip_rocprim26transform_input_iterator_tIbNSD_35transform_pair_of_input_iterators_tIbNS6_6detail15normal_iteratorINS6_10device_ptrIKjEEEESL_NS6_8equal_toIjEEEENSG_9not_fun_tINSD_8identityEEEEENSD_19counting_iterator_tIlEES8_S8_S8_S8_S8_S8_S8_S8_EEEEPS9_S9_NSD_9__find_if7functorIS9_EEEE10hipError_tPvRmT1_T2_T3_mT4_P12ihipStream_tbEUlT_E1_NS1_11comp_targetILNS1_3genE10ELNS1_11target_archE1200ELNS1_3gpuE4ELNS1_3repE0EEENS1_30default_config_static_selectorELNS0_4arch9wavefront6targetE1EEEvS14_,comdat
.Lfunc_end166:
	.size	_ZN7rocprim17ROCPRIM_400000_NS6detail17trampoline_kernelINS0_14default_configENS1_22reduce_config_selectorIN6thrust23THRUST_200600_302600_NS5tupleIblNS6_9null_typeES8_S8_S8_S8_S8_S8_S8_EEEEZNS1_11reduce_implILb1ES3_NS6_12zip_iteratorINS7_INS6_11hip_rocprim26transform_input_iterator_tIbNSD_35transform_pair_of_input_iterators_tIbNS6_6detail15normal_iteratorINS6_10device_ptrIKjEEEESL_NS6_8equal_toIjEEEENSG_9not_fun_tINSD_8identityEEEEENSD_19counting_iterator_tIlEES8_S8_S8_S8_S8_S8_S8_S8_EEEEPS9_S9_NSD_9__find_if7functorIS9_EEEE10hipError_tPvRmT1_T2_T3_mT4_P12ihipStream_tbEUlT_E1_NS1_11comp_targetILNS1_3genE10ELNS1_11target_archE1200ELNS1_3gpuE4ELNS1_3repE0EEENS1_30default_config_static_selectorELNS0_4arch9wavefront6targetE1EEEvS14_, .Lfunc_end166-_ZN7rocprim17ROCPRIM_400000_NS6detail17trampoline_kernelINS0_14default_configENS1_22reduce_config_selectorIN6thrust23THRUST_200600_302600_NS5tupleIblNS6_9null_typeES8_S8_S8_S8_S8_S8_S8_EEEEZNS1_11reduce_implILb1ES3_NS6_12zip_iteratorINS7_INS6_11hip_rocprim26transform_input_iterator_tIbNSD_35transform_pair_of_input_iterators_tIbNS6_6detail15normal_iteratorINS6_10device_ptrIKjEEEESL_NS6_8equal_toIjEEEENSG_9not_fun_tINSD_8identityEEEEENSD_19counting_iterator_tIlEES8_S8_S8_S8_S8_S8_S8_S8_EEEEPS9_S9_NSD_9__find_if7functorIS9_EEEE10hipError_tPvRmT1_T2_T3_mT4_P12ihipStream_tbEUlT_E1_NS1_11comp_targetILNS1_3genE10ELNS1_11target_archE1200ELNS1_3gpuE4ELNS1_3repE0EEENS1_30default_config_static_selectorELNS0_4arch9wavefront6targetE1EEEvS14_
                                        ; -- End function
	.section	.AMDGPU.csdata,"",@progbits
; Kernel info:
; codeLenInByte = 0
; NumSgprs: 4
; NumVgprs: 0
; NumAgprs: 0
; TotalNumVgprs: 0
; ScratchSize: 0
; MemoryBound: 0
; FloatMode: 240
; IeeeMode: 1
; LDSByteSize: 0 bytes/workgroup (compile time only)
; SGPRBlocks: 0
; VGPRBlocks: 0
; NumSGPRsForWavesPerEU: 4
; NumVGPRsForWavesPerEU: 1
; AccumOffset: 4
; Occupancy: 8
; WaveLimiterHint : 0
; COMPUTE_PGM_RSRC2:SCRATCH_EN: 0
; COMPUTE_PGM_RSRC2:USER_SGPR: 6
; COMPUTE_PGM_RSRC2:TRAP_HANDLER: 0
; COMPUTE_PGM_RSRC2:TGID_X_EN: 1
; COMPUTE_PGM_RSRC2:TGID_Y_EN: 0
; COMPUTE_PGM_RSRC2:TGID_Z_EN: 0
; COMPUTE_PGM_RSRC2:TIDIG_COMP_CNT: 0
; COMPUTE_PGM_RSRC3_GFX90A:ACCUM_OFFSET: 0
; COMPUTE_PGM_RSRC3_GFX90A:TG_SPLIT: 0
	.section	.text._ZN7rocprim17ROCPRIM_400000_NS6detail17trampoline_kernelINS0_14default_configENS1_22reduce_config_selectorIN6thrust23THRUST_200600_302600_NS5tupleIblNS6_9null_typeES8_S8_S8_S8_S8_S8_S8_EEEEZNS1_11reduce_implILb1ES3_NS6_12zip_iteratorINS7_INS6_11hip_rocprim26transform_input_iterator_tIbNSD_35transform_pair_of_input_iterators_tIbNS6_6detail15normal_iteratorINS6_10device_ptrIKjEEEESL_NS6_8equal_toIjEEEENSG_9not_fun_tINSD_8identityEEEEENSD_19counting_iterator_tIlEES8_S8_S8_S8_S8_S8_S8_S8_EEEEPS9_S9_NSD_9__find_if7functorIS9_EEEE10hipError_tPvRmT1_T2_T3_mT4_P12ihipStream_tbEUlT_E1_NS1_11comp_targetILNS1_3genE9ELNS1_11target_archE1100ELNS1_3gpuE3ELNS1_3repE0EEENS1_30default_config_static_selectorELNS0_4arch9wavefront6targetE1EEEvS14_,"axG",@progbits,_ZN7rocprim17ROCPRIM_400000_NS6detail17trampoline_kernelINS0_14default_configENS1_22reduce_config_selectorIN6thrust23THRUST_200600_302600_NS5tupleIblNS6_9null_typeES8_S8_S8_S8_S8_S8_S8_EEEEZNS1_11reduce_implILb1ES3_NS6_12zip_iteratorINS7_INS6_11hip_rocprim26transform_input_iterator_tIbNSD_35transform_pair_of_input_iterators_tIbNS6_6detail15normal_iteratorINS6_10device_ptrIKjEEEESL_NS6_8equal_toIjEEEENSG_9not_fun_tINSD_8identityEEEEENSD_19counting_iterator_tIlEES8_S8_S8_S8_S8_S8_S8_S8_EEEEPS9_S9_NSD_9__find_if7functorIS9_EEEE10hipError_tPvRmT1_T2_T3_mT4_P12ihipStream_tbEUlT_E1_NS1_11comp_targetILNS1_3genE9ELNS1_11target_archE1100ELNS1_3gpuE3ELNS1_3repE0EEENS1_30default_config_static_selectorELNS0_4arch9wavefront6targetE1EEEvS14_,comdat
	.protected	_ZN7rocprim17ROCPRIM_400000_NS6detail17trampoline_kernelINS0_14default_configENS1_22reduce_config_selectorIN6thrust23THRUST_200600_302600_NS5tupleIblNS6_9null_typeES8_S8_S8_S8_S8_S8_S8_EEEEZNS1_11reduce_implILb1ES3_NS6_12zip_iteratorINS7_INS6_11hip_rocprim26transform_input_iterator_tIbNSD_35transform_pair_of_input_iterators_tIbNS6_6detail15normal_iteratorINS6_10device_ptrIKjEEEESL_NS6_8equal_toIjEEEENSG_9not_fun_tINSD_8identityEEEEENSD_19counting_iterator_tIlEES8_S8_S8_S8_S8_S8_S8_S8_EEEEPS9_S9_NSD_9__find_if7functorIS9_EEEE10hipError_tPvRmT1_T2_T3_mT4_P12ihipStream_tbEUlT_E1_NS1_11comp_targetILNS1_3genE9ELNS1_11target_archE1100ELNS1_3gpuE3ELNS1_3repE0EEENS1_30default_config_static_selectorELNS0_4arch9wavefront6targetE1EEEvS14_ ; -- Begin function _ZN7rocprim17ROCPRIM_400000_NS6detail17trampoline_kernelINS0_14default_configENS1_22reduce_config_selectorIN6thrust23THRUST_200600_302600_NS5tupleIblNS6_9null_typeES8_S8_S8_S8_S8_S8_S8_EEEEZNS1_11reduce_implILb1ES3_NS6_12zip_iteratorINS7_INS6_11hip_rocprim26transform_input_iterator_tIbNSD_35transform_pair_of_input_iterators_tIbNS6_6detail15normal_iteratorINS6_10device_ptrIKjEEEESL_NS6_8equal_toIjEEEENSG_9not_fun_tINSD_8identityEEEEENSD_19counting_iterator_tIlEES8_S8_S8_S8_S8_S8_S8_S8_EEEEPS9_S9_NSD_9__find_if7functorIS9_EEEE10hipError_tPvRmT1_T2_T3_mT4_P12ihipStream_tbEUlT_E1_NS1_11comp_targetILNS1_3genE9ELNS1_11target_archE1100ELNS1_3gpuE3ELNS1_3repE0EEENS1_30default_config_static_selectorELNS0_4arch9wavefront6targetE1EEEvS14_
	.globl	_ZN7rocprim17ROCPRIM_400000_NS6detail17trampoline_kernelINS0_14default_configENS1_22reduce_config_selectorIN6thrust23THRUST_200600_302600_NS5tupleIblNS6_9null_typeES8_S8_S8_S8_S8_S8_S8_EEEEZNS1_11reduce_implILb1ES3_NS6_12zip_iteratorINS7_INS6_11hip_rocprim26transform_input_iterator_tIbNSD_35transform_pair_of_input_iterators_tIbNS6_6detail15normal_iteratorINS6_10device_ptrIKjEEEESL_NS6_8equal_toIjEEEENSG_9not_fun_tINSD_8identityEEEEENSD_19counting_iterator_tIlEES8_S8_S8_S8_S8_S8_S8_S8_EEEEPS9_S9_NSD_9__find_if7functorIS9_EEEE10hipError_tPvRmT1_T2_T3_mT4_P12ihipStream_tbEUlT_E1_NS1_11comp_targetILNS1_3genE9ELNS1_11target_archE1100ELNS1_3gpuE3ELNS1_3repE0EEENS1_30default_config_static_selectorELNS0_4arch9wavefront6targetE1EEEvS14_
	.p2align	8
	.type	_ZN7rocprim17ROCPRIM_400000_NS6detail17trampoline_kernelINS0_14default_configENS1_22reduce_config_selectorIN6thrust23THRUST_200600_302600_NS5tupleIblNS6_9null_typeES8_S8_S8_S8_S8_S8_S8_EEEEZNS1_11reduce_implILb1ES3_NS6_12zip_iteratorINS7_INS6_11hip_rocprim26transform_input_iterator_tIbNSD_35transform_pair_of_input_iterators_tIbNS6_6detail15normal_iteratorINS6_10device_ptrIKjEEEESL_NS6_8equal_toIjEEEENSG_9not_fun_tINSD_8identityEEEEENSD_19counting_iterator_tIlEES8_S8_S8_S8_S8_S8_S8_S8_EEEEPS9_S9_NSD_9__find_if7functorIS9_EEEE10hipError_tPvRmT1_T2_T3_mT4_P12ihipStream_tbEUlT_E1_NS1_11comp_targetILNS1_3genE9ELNS1_11target_archE1100ELNS1_3gpuE3ELNS1_3repE0EEENS1_30default_config_static_selectorELNS0_4arch9wavefront6targetE1EEEvS14_,@function
_ZN7rocprim17ROCPRIM_400000_NS6detail17trampoline_kernelINS0_14default_configENS1_22reduce_config_selectorIN6thrust23THRUST_200600_302600_NS5tupleIblNS6_9null_typeES8_S8_S8_S8_S8_S8_S8_EEEEZNS1_11reduce_implILb1ES3_NS6_12zip_iteratorINS7_INS6_11hip_rocprim26transform_input_iterator_tIbNSD_35transform_pair_of_input_iterators_tIbNS6_6detail15normal_iteratorINS6_10device_ptrIKjEEEESL_NS6_8equal_toIjEEEENSG_9not_fun_tINSD_8identityEEEEENSD_19counting_iterator_tIlEES8_S8_S8_S8_S8_S8_S8_S8_EEEEPS9_S9_NSD_9__find_if7functorIS9_EEEE10hipError_tPvRmT1_T2_T3_mT4_P12ihipStream_tbEUlT_E1_NS1_11comp_targetILNS1_3genE9ELNS1_11target_archE1100ELNS1_3gpuE3ELNS1_3repE0EEENS1_30default_config_static_selectorELNS0_4arch9wavefront6targetE1EEEvS14_: ; @_ZN7rocprim17ROCPRIM_400000_NS6detail17trampoline_kernelINS0_14default_configENS1_22reduce_config_selectorIN6thrust23THRUST_200600_302600_NS5tupleIblNS6_9null_typeES8_S8_S8_S8_S8_S8_S8_EEEEZNS1_11reduce_implILb1ES3_NS6_12zip_iteratorINS7_INS6_11hip_rocprim26transform_input_iterator_tIbNSD_35transform_pair_of_input_iterators_tIbNS6_6detail15normal_iteratorINS6_10device_ptrIKjEEEESL_NS6_8equal_toIjEEEENSG_9not_fun_tINSD_8identityEEEEENSD_19counting_iterator_tIlEES8_S8_S8_S8_S8_S8_S8_S8_EEEEPS9_S9_NSD_9__find_if7functorIS9_EEEE10hipError_tPvRmT1_T2_T3_mT4_P12ihipStream_tbEUlT_E1_NS1_11comp_targetILNS1_3genE9ELNS1_11target_archE1100ELNS1_3gpuE3ELNS1_3repE0EEENS1_30default_config_static_selectorELNS0_4arch9wavefront6targetE1EEEvS14_
; %bb.0:
	.section	.rodata,"a",@progbits
	.p2align	6, 0x0
	.amdhsa_kernel _ZN7rocprim17ROCPRIM_400000_NS6detail17trampoline_kernelINS0_14default_configENS1_22reduce_config_selectorIN6thrust23THRUST_200600_302600_NS5tupleIblNS6_9null_typeES8_S8_S8_S8_S8_S8_S8_EEEEZNS1_11reduce_implILb1ES3_NS6_12zip_iteratorINS7_INS6_11hip_rocprim26transform_input_iterator_tIbNSD_35transform_pair_of_input_iterators_tIbNS6_6detail15normal_iteratorINS6_10device_ptrIKjEEEESL_NS6_8equal_toIjEEEENSG_9not_fun_tINSD_8identityEEEEENSD_19counting_iterator_tIlEES8_S8_S8_S8_S8_S8_S8_S8_EEEEPS9_S9_NSD_9__find_if7functorIS9_EEEE10hipError_tPvRmT1_T2_T3_mT4_P12ihipStream_tbEUlT_E1_NS1_11comp_targetILNS1_3genE9ELNS1_11target_archE1100ELNS1_3gpuE3ELNS1_3repE0EEENS1_30default_config_static_selectorELNS0_4arch9wavefront6targetE1EEEvS14_
		.amdhsa_group_segment_fixed_size 0
		.amdhsa_private_segment_fixed_size 0
		.amdhsa_kernarg_size 88
		.amdhsa_user_sgpr_count 6
		.amdhsa_user_sgpr_private_segment_buffer 1
		.amdhsa_user_sgpr_dispatch_ptr 0
		.amdhsa_user_sgpr_queue_ptr 0
		.amdhsa_user_sgpr_kernarg_segment_ptr 1
		.amdhsa_user_sgpr_dispatch_id 0
		.amdhsa_user_sgpr_flat_scratch_init 0
		.amdhsa_user_sgpr_kernarg_preload_length 0
		.amdhsa_user_sgpr_kernarg_preload_offset 0
		.amdhsa_user_sgpr_private_segment_size 0
		.amdhsa_uses_dynamic_stack 0
		.amdhsa_system_sgpr_private_segment_wavefront_offset 0
		.amdhsa_system_sgpr_workgroup_id_x 1
		.amdhsa_system_sgpr_workgroup_id_y 0
		.amdhsa_system_sgpr_workgroup_id_z 0
		.amdhsa_system_sgpr_workgroup_info 0
		.amdhsa_system_vgpr_workitem_id 0
		.amdhsa_next_free_vgpr 1
		.amdhsa_next_free_sgpr 0
		.amdhsa_accum_offset 4
		.amdhsa_reserve_vcc 0
		.amdhsa_reserve_flat_scratch 0
		.amdhsa_float_round_mode_32 0
		.amdhsa_float_round_mode_16_64 0
		.amdhsa_float_denorm_mode_32 3
		.amdhsa_float_denorm_mode_16_64 3
		.amdhsa_dx10_clamp 1
		.amdhsa_ieee_mode 1
		.amdhsa_fp16_overflow 0
		.amdhsa_tg_split 0
		.amdhsa_exception_fp_ieee_invalid_op 0
		.amdhsa_exception_fp_denorm_src 0
		.amdhsa_exception_fp_ieee_div_zero 0
		.amdhsa_exception_fp_ieee_overflow 0
		.amdhsa_exception_fp_ieee_underflow 0
		.amdhsa_exception_fp_ieee_inexact 0
		.amdhsa_exception_int_div_zero 0
	.end_amdhsa_kernel
	.section	.text._ZN7rocprim17ROCPRIM_400000_NS6detail17trampoline_kernelINS0_14default_configENS1_22reduce_config_selectorIN6thrust23THRUST_200600_302600_NS5tupleIblNS6_9null_typeES8_S8_S8_S8_S8_S8_S8_EEEEZNS1_11reduce_implILb1ES3_NS6_12zip_iteratorINS7_INS6_11hip_rocprim26transform_input_iterator_tIbNSD_35transform_pair_of_input_iterators_tIbNS6_6detail15normal_iteratorINS6_10device_ptrIKjEEEESL_NS6_8equal_toIjEEEENSG_9not_fun_tINSD_8identityEEEEENSD_19counting_iterator_tIlEES8_S8_S8_S8_S8_S8_S8_S8_EEEEPS9_S9_NSD_9__find_if7functorIS9_EEEE10hipError_tPvRmT1_T2_T3_mT4_P12ihipStream_tbEUlT_E1_NS1_11comp_targetILNS1_3genE9ELNS1_11target_archE1100ELNS1_3gpuE3ELNS1_3repE0EEENS1_30default_config_static_selectorELNS0_4arch9wavefront6targetE1EEEvS14_,"axG",@progbits,_ZN7rocprim17ROCPRIM_400000_NS6detail17trampoline_kernelINS0_14default_configENS1_22reduce_config_selectorIN6thrust23THRUST_200600_302600_NS5tupleIblNS6_9null_typeES8_S8_S8_S8_S8_S8_S8_EEEEZNS1_11reduce_implILb1ES3_NS6_12zip_iteratorINS7_INS6_11hip_rocprim26transform_input_iterator_tIbNSD_35transform_pair_of_input_iterators_tIbNS6_6detail15normal_iteratorINS6_10device_ptrIKjEEEESL_NS6_8equal_toIjEEEENSG_9not_fun_tINSD_8identityEEEEENSD_19counting_iterator_tIlEES8_S8_S8_S8_S8_S8_S8_S8_EEEEPS9_S9_NSD_9__find_if7functorIS9_EEEE10hipError_tPvRmT1_T2_T3_mT4_P12ihipStream_tbEUlT_E1_NS1_11comp_targetILNS1_3genE9ELNS1_11target_archE1100ELNS1_3gpuE3ELNS1_3repE0EEENS1_30default_config_static_selectorELNS0_4arch9wavefront6targetE1EEEvS14_,comdat
.Lfunc_end167:
	.size	_ZN7rocprim17ROCPRIM_400000_NS6detail17trampoline_kernelINS0_14default_configENS1_22reduce_config_selectorIN6thrust23THRUST_200600_302600_NS5tupleIblNS6_9null_typeES8_S8_S8_S8_S8_S8_S8_EEEEZNS1_11reduce_implILb1ES3_NS6_12zip_iteratorINS7_INS6_11hip_rocprim26transform_input_iterator_tIbNSD_35transform_pair_of_input_iterators_tIbNS6_6detail15normal_iteratorINS6_10device_ptrIKjEEEESL_NS6_8equal_toIjEEEENSG_9not_fun_tINSD_8identityEEEEENSD_19counting_iterator_tIlEES8_S8_S8_S8_S8_S8_S8_S8_EEEEPS9_S9_NSD_9__find_if7functorIS9_EEEE10hipError_tPvRmT1_T2_T3_mT4_P12ihipStream_tbEUlT_E1_NS1_11comp_targetILNS1_3genE9ELNS1_11target_archE1100ELNS1_3gpuE3ELNS1_3repE0EEENS1_30default_config_static_selectorELNS0_4arch9wavefront6targetE1EEEvS14_, .Lfunc_end167-_ZN7rocprim17ROCPRIM_400000_NS6detail17trampoline_kernelINS0_14default_configENS1_22reduce_config_selectorIN6thrust23THRUST_200600_302600_NS5tupleIblNS6_9null_typeES8_S8_S8_S8_S8_S8_S8_EEEEZNS1_11reduce_implILb1ES3_NS6_12zip_iteratorINS7_INS6_11hip_rocprim26transform_input_iterator_tIbNSD_35transform_pair_of_input_iterators_tIbNS6_6detail15normal_iteratorINS6_10device_ptrIKjEEEESL_NS6_8equal_toIjEEEENSG_9not_fun_tINSD_8identityEEEEENSD_19counting_iterator_tIlEES8_S8_S8_S8_S8_S8_S8_S8_EEEEPS9_S9_NSD_9__find_if7functorIS9_EEEE10hipError_tPvRmT1_T2_T3_mT4_P12ihipStream_tbEUlT_E1_NS1_11comp_targetILNS1_3genE9ELNS1_11target_archE1100ELNS1_3gpuE3ELNS1_3repE0EEENS1_30default_config_static_selectorELNS0_4arch9wavefront6targetE1EEEvS14_
                                        ; -- End function
	.section	.AMDGPU.csdata,"",@progbits
; Kernel info:
; codeLenInByte = 0
; NumSgprs: 4
; NumVgprs: 0
; NumAgprs: 0
; TotalNumVgprs: 0
; ScratchSize: 0
; MemoryBound: 0
; FloatMode: 240
; IeeeMode: 1
; LDSByteSize: 0 bytes/workgroup (compile time only)
; SGPRBlocks: 0
; VGPRBlocks: 0
; NumSGPRsForWavesPerEU: 4
; NumVGPRsForWavesPerEU: 1
; AccumOffset: 4
; Occupancy: 8
; WaveLimiterHint : 0
; COMPUTE_PGM_RSRC2:SCRATCH_EN: 0
; COMPUTE_PGM_RSRC2:USER_SGPR: 6
; COMPUTE_PGM_RSRC2:TRAP_HANDLER: 0
; COMPUTE_PGM_RSRC2:TGID_X_EN: 1
; COMPUTE_PGM_RSRC2:TGID_Y_EN: 0
; COMPUTE_PGM_RSRC2:TGID_Z_EN: 0
; COMPUTE_PGM_RSRC2:TIDIG_COMP_CNT: 0
; COMPUTE_PGM_RSRC3_GFX90A:ACCUM_OFFSET: 0
; COMPUTE_PGM_RSRC3_GFX90A:TG_SPLIT: 0
	.section	.text._ZN7rocprim17ROCPRIM_400000_NS6detail17trampoline_kernelINS0_14default_configENS1_22reduce_config_selectorIN6thrust23THRUST_200600_302600_NS5tupleIblNS6_9null_typeES8_S8_S8_S8_S8_S8_S8_EEEEZNS1_11reduce_implILb1ES3_NS6_12zip_iteratorINS7_INS6_11hip_rocprim26transform_input_iterator_tIbNSD_35transform_pair_of_input_iterators_tIbNS6_6detail15normal_iteratorINS6_10device_ptrIKjEEEESL_NS6_8equal_toIjEEEENSG_9not_fun_tINSD_8identityEEEEENSD_19counting_iterator_tIlEES8_S8_S8_S8_S8_S8_S8_S8_EEEEPS9_S9_NSD_9__find_if7functorIS9_EEEE10hipError_tPvRmT1_T2_T3_mT4_P12ihipStream_tbEUlT_E1_NS1_11comp_targetILNS1_3genE8ELNS1_11target_archE1030ELNS1_3gpuE2ELNS1_3repE0EEENS1_30default_config_static_selectorELNS0_4arch9wavefront6targetE1EEEvS14_,"axG",@progbits,_ZN7rocprim17ROCPRIM_400000_NS6detail17trampoline_kernelINS0_14default_configENS1_22reduce_config_selectorIN6thrust23THRUST_200600_302600_NS5tupleIblNS6_9null_typeES8_S8_S8_S8_S8_S8_S8_EEEEZNS1_11reduce_implILb1ES3_NS6_12zip_iteratorINS7_INS6_11hip_rocprim26transform_input_iterator_tIbNSD_35transform_pair_of_input_iterators_tIbNS6_6detail15normal_iteratorINS6_10device_ptrIKjEEEESL_NS6_8equal_toIjEEEENSG_9not_fun_tINSD_8identityEEEEENSD_19counting_iterator_tIlEES8_S8_S8_S8_S8_S8_S8_S8_EEEEPS9_S9_NSD_9__find_if7functorIS9_EEEE10hipError_tPvRmT1_T2_T3_mT4_P12ihipStream_tbEUlT_E1_NS1_11comp_targetILNS1_3genE8ELNS1_11target_archE1030ELNS1_3gpuE2ELNS1_3repE0EEENS1_30default_config_static_selectorELNS0_4arch9wavefront6targetE1EEEvS14_,comdat
	.protected	_ZN7rocprim17ROCPRIM_400000_NS6detail17trampoline_kernelINS0_14default_configENS1_22reduce_config_selectorIN6thrust23THRUST_200600_302600_NS5tupleIblNS6_9null_typeES8_S8_S8_S8_S8_S8_S8_EEEEZNS1_11reduce_implILb1ES3_NS6_12zip_iteratorINS7_INS6_11hip_rocprim26transform_input_iterator_tIbNSD_35transform_pair_of_input_iterators_tIbNS6_6detail15normal_iteratorINS6_10device_ptrIKjEEEESL_NS6_8equal_toIjEEEENSG_9not_fun_tINSD_8identityEEEEENSD_19counting_iterator_tIlEES8_S8_S8_S8_S8_S8_S8_S8_EEEEPS9_S9_NSD_9__find_if7functorIS9_EEEE10hipError_tPvRmT1_T2_T3_mT4_P12ihipStream_tbEUlT_E1_NS1_11comp_targetILNS1_3genE8ELNS1_11target_archE1030ELNS1_3gpuE2ELNS1_3repE0EEENS1_30default_config_static_selectorELNS0_4arch9wavefront6targetE1EEEvS14_ ; -- Begin function _ZN7rocprim17ROCPRIM_400000_NS6detail17trampoline_kernelINS0_14default_configENS1_22reduce_config_selectorIN6thrust23THRUST_200600_302600_NS5tupleIblNS6_9null_typeES8_S8_S8_S8_S8_S8_S8_EEEEZNS1_11reduce_implILb1ES3_NS6_12zip_iteratorINS7_INS6_11hip_rocprim26transform_input_iterator_tIbNSD_35transform_pair_of_input_iterators_tIbNS6_6detail15normal_iteratorINS6_10device_ptrIKjEEEESL_NS6_8equal_toIjEEEENSG_9not_fun_tINSD_8identityEEEEENSD_19counting_iterator_tIlEES8_S8_S8_S8_S8_S8_S8_S8_EEEEPS9_S9_NSD_9__find_if7functorIS9_EEEE10hipError_tPvRmT1_T2_T3_mT4_P12ihipStream_tbEUlT_E1_NS1_11comp_targetILNS1_3genE8ELNS1_11target_archE1030ELNS1_3gpuE2ELNS1_3repE0EEENS1_30default_config_static_selectorELNS0_4arch9wavefront6targetE1EEEvS14_
	.globl	_ZN7rocprim17ROCPRIM_400000_NS6detail17trampoline_kernelINS0_14default_configENS1_22reduce_config_selectorIN6thrust23THRUST_200600_302600_NS5tupleIblNS6_9null_typeES8_S8_S8_S8_S8_S8_S8_EEEEZNS1_11reduce_implILb1ES3_NS6_12zip_iteratorINS7_INS6_11hip_rocprim26transform_input_iterator_tIbNSD_35transform_pair_of_input_iterators_tIbNS6_6detail15normal_iteratorINS6_10device_ptrIKjEEEESL_NS6_8equal_toIjEEEENSG_9not_fun_tINSD_8identityEEEEENSD_19counting_iterator_tIlEES8_S8_S8_S8_S8_S8_S8_S8_EEEEPS9_S9_NSD_9__find_if7functorIS9_EEEE10hipError_tPvRmT1_T2_T3_mT4_P12ihipStream_tbEUlT_E1_NS1_11comp_targetILNS1_3genE8ELNS1_11target_archE1030ELNS1_3gpuE2ELNS1_3repE0EEENS1_30default_config_static_selectorELNS0_4arch9wavefront6targetE1EEEvS14_
	.p2align	8
	.type	_ZN7rocprim17ROCPRIM_400000_NS6detail17trampoline_kernelINS0_14default_configENS1_22reduce_config_selectorIN6thrust23THRUST_200600_302600_NS5tupleIblNS6_9null_typeES8_S8_S8_S8_S8_S8_S8_EEEEZNS1_11reduce_implILb1ES3_NS6_12zip_iteratorINS7_INS6_11hip_rocprim26transform_input_iterator_tIbNSD_35transform_pair_of_input_iterators_tIbNS6_6detail15normal_iteratorINS6_10device_ptrIKjEEEESL_NS6_8equal_toIjEEEENSG_9not_fun_tINSD_8identityEEEEENSD_19counting_iterator_tIlEES8_S8_S8_S8_S8_S8_S8_S8_EEEEPS9_S9_NSD_9__find_if7functorIS9_EEEE10hipError_tPvRmT1_T2_T3_mT4_P12ihipStream_tbEUlT_E1_NS1_11comp_targetILNS1_3genE8ELNS1_11target_archE1030ELNS1_3gpuE2ELNS1_3repE0EEENS1_30default_config_static_selectorELNS0_4arch9wavefront6targetE1EEEvS14_,@function
_ZN7rocprim17ROCPRIM_400000_NS6detail17trampoline_kernelINS0_14default_configENS1_22reduce_config_selectorIN6thrust23THRUST_200600_302600_NS5tupleIblNS6_9null_typeES8_S8_S8_S8_S8_S8_S8_EEEEZNS1_11reduce_implILb1ES3_NS6_12zip_iteratorINS7_INS6_11hip_rocprim26transform_input_iterator_tIbNSD_35transform_pair_of_input_iterators_tIbNS6_6detail15normal_iteratorINS6_10device_ptrIKjEEEESL_NS6_8equal_toIjEEEENSG_9not_fun_tINSD_8identityEEEEENSD_19counting_iterator_tIlEES8_S8_S8_S8_S8_S8_S8_S8_EEEEPS9_S9_NSD_9__find_if7functorIS9_EEEE10hipError_tPvRmT1_T2_T3_mT4_P12ihipStream_tbEUlT_E1_NS1_11comp_targetILNS1_3genE8ELNS1_11target_archE1030ELNS1_3gpuE2ELNS1_3repE0EEENS1_30default_config_static_selectorELNS0_4arch9wavefront6targetE1EEEvS14_: ; @_ZN7rocprim17ROCPRIM_400000_NS6detail17trampoline_kernelINS0_14default_configENS1_22reduce_config_selectorIN6thrust23THRUST_200600_302600_NS5tupleIblNS6_9null_typeES8_S8_S8_S8_S8_S8_S8_EEEEZNS1_11reduce_implILb1ES3_NS6_12zip_iteratorINS7_INS6_11hip_rocprim26transform_input_iterator_tIbNSD_35transform_pair_of_input_iterators_tIbNS6_6detail15normal_iteratorINS6_10device_ptrIKjEEEESL_NS6_8equal_toIjEEEENSG_9not_fun_tINSD_8identityEEEEENSD_19counting_iterator_tIlEES8_S8_S8_S8_S8_S8_S8_S8_EEEEPS9_S9_NSD_9__find_if7functorIS9_EEEE10hipError_tPvRmT1_T2_T3_mT4_P12ihipStream_tbEUlT_E1_NS1_11comp_targetILNS1_3genE8ELNS1_11target_archE1030ELNS1_3gpuE2ELNS1_3repE0EEENS1_30default_config_static_selectorELNS0_4arch9wavefront6targetE1EEEvS14_
; %bb.0:
	.section	.rodata,"a",@progbits
	.p2align	6, 0x0
	.amdhsa_kernel _ZN7rocprim17ROCPRIM_400000_NS6detail17trampoline_kernelINS0_14default_configENS1_22reduce_config_selectorIN6thrust23THRUST_200600_302600_NS5tupleIblNS6_9null_typeES8_S8_S8_S8_S8_S8_S8_EEEEZNS1_11reduce_implILb1ES3_NS6_12zip_iteratorINS7_INS6_11hip_rocprim26transform_input_iterator_tIbNSD_35transform_pair_of_input_iterators_tIbNS6_6detail15normal_iteratorINS6_10device_ptrIKjEEEESL_NS6_8equal_toIjEEEENSG_9not_fun_tINSD_8identityEEEEENSD_19counting_iterator_tIlEES8_S8_S8_S8_S8_S8_S8_S8_EEEEPS9_S9_NSD_9__find_if7functorIS9_EEEE10hipError_tPvRmT1_T2_T3_mT4_P12ihipStream_tbEUlT_E1_NS1_11comp_targetILNS1_3genE8ELNS1_11target_archE1030ELNS1_3gpuE2ELNS1_3repE0EEENS1_30default_config_static_selectorELNS0_4arch9wavefront6targetE1EEEvS14_
		.amdhsa_group_segment_fixed_size 0
		.amdhsa_private_segment_fixed_size 0
		.amdhsa_kernarg_size 88
		.amdhsa_user_sgpr_count 6
		.amdhsa_user_sgpr_private_segment_buffer 1
		.amdhsa_user_sgpr_dispatch_ptr 0
		.amdhsa_user_sgpr_queue_ptr 0
		.amdhsa_user_sgpr_kernarg_segment_ptr 1
		.amdhsa_user_sgpr_dispatch_id 0
		.amdhsa_user_sgpr_flat_scratch_init 0
		.amdhsa_user_sgpr_kernarg_preload_length 0
		.amdhsa_user_sgpr_kernarg_preload_offset 0
		.amdhsa_user_sgpr_private_segment_size 0
		.amdhsa_uses_dynamic_stack 0
		.amdhsa_system_sgpr_private_segment_wavefront_offset 0
		.amdhsa_system_sgpr_workgroup_id_x 1
		.amdhsa_system_sgpr_workgroup_id_y 0
		.amdhsa_system_sgpr_workgroup_id_z 0
		.amdhsa_system_sgpr_workgroup_info 0
		.amdhsa_system_vgpr_workitem_id 0
		.amdhsa_next_free_vgpr 1
		.amdhsa_next_free_sgpr 0
		.amdhsa_accum_offset 4
		.amdhsa_reserve_vcc 0
		.amdhsa_reserve_flat_scratch 0
		.amdhsa_float_round_mode_32 0
		.amdhsa_float_round_mode_16_64 0
		.amdhsa_float_denorm_mode_32 3
		.amdhsa_float_denorm_mode_16_64 3
		.amdhsa_dx10_clamp 1
		.amdhsa_ieee_mode 1
		.amdhsa_fp16_overflow 0
		.amdhsa_tg_split 0
		.amdhsa_exception_fp_ieee_invalid_op 0
		.amdhsa_exception_fp_denorm_src 0
		.amdhsa_exception_fp_ieee_div_zero 0
		.amdhsa_exception_fp_ieee_overflow 0
		.amdhsa_exception_fp_ieee_underflow 0
		.amdhsa_exception_fp_ieee_inexact 0
		.amdhsa_exception_int_div_zero 0
	.end_amdhsa_kernel
	.section	.text._ZN7rocprim17ROCPRIM_400000_NS6detail17trampoline_kernelINS0_14default_configENS1_22reduce_config_selectorIN6thrust23THRUST_200600_302600_NS5tupleIblNS6_9null_typeES8_S8_S8_S8_S8_S8_S8_EEEEZNS1_11reduce_implILb1ES3_NS6_12zip_iteratorINS7_INS6_11hip_rocprim26transform_input_iterator_tIbNSD_35transform_pair_of_input_iterators_tIbNS6_6detail15normal_iteratorINS6_10device_ptrIKjEEEESL_NS6_8equal_toIjEEEENSG_9not_fun_tINSD_8identityEEEEENSD_19counting_iterator_tIlEES8_S8_S8_S8_S8_S8_S8_S8_EEEEPS9_S9_NSD_9__find_if7functorIS9_EEEE10hipError_tPvRmT1_T2_T3_mT4_P12ihipStream_tbEUlT_E1_NS1_11comp_targetILNS1_3genE8ELNS1_11target_archE1030ELNS1_3gpuE2ELNS1_3repE0EEENS1_30default_config_static_selectorELNS0_4arch9wavefront6targetE1EEEvS14_,"axG",@progbits,_ZN7rocprim17ROCPRIM_400000_NS6detail17trampoline_kernelINS0_14default_configENS1_22reduce_config_selectorIN6thrust23THRUST_200600_302600_NS5tupleIblNS6_9null_typeES8_S8_S8_S8_S8_S8_S8_EEEEZNS1_11reduce_implILb1ES3_NS6_12zip_iteratorINS7_INS6_11hip_rocprim26transform_input_iterator_tIbNSD_35transform_pair_of_input_iterators_tIbNS6_6detail15normal_iteratorINS6_10device_ptrIKjEEEESL_NS6_8equal_toIjEEEENSG_9not_fun_tINSD_8identityEEEEENSD_19counting_iterator_tIlEES8_S8_S8_S8_S8_S8_S8_S8_EEEEPS9_S9_NSD_9__find_if7functorIS9_EEEE10hipError_tPvRmT1_T2_T3_mT4_P12ihipStream_tbEUlT_E1_NS1_11comp_targetILNS1_3genE8ELNS1_11target_archE1030ELNS1_3gpuE2ELNS1_3repE0EEENS1_30default_config_static_selectorELNS0_4arch9wavefront6targetE1EEEvS14_,comdat
.Lfunc_end168:
	.size	_ZN7rocprim17ROCPRIM_400000_NS6detail17trampoline_kernelINS0_14default_configENS1_22reduce_config_selectorIN6thrust23THRUST_200600_302600_NS5tupleIblNS6_9null_typeES8_S8_S8_S8_S8_S8_S8_EEEEZNS1_11reduce_implILb1ES3_NS6_12zip_iteratorINS7_INS6_11hip_rocprim26transform_input_iterator_tIbNSD_35transform_pair_of_input_iterators_tIbNS6_6detail15normal_iteratorINS6_10device_ptrIKjEEEESL_NS6_8equal_toIjEEEENSG_9not_fun_tINSD_8identityEEEEENSD_19counting_iterator_tIlEES8_S8_S8_S8_S8_S8_S8_S8_EEEEPS9_S9_NSD_9__find_if7functorIS9_EEEE10hipError_tPvRmT1_T2_T3_mT4_P12ihipStream_tbEUlT_E1_NS1_11comp_targetILNS1_3genE8ELNS1_11target_archE1030ELNS1_3gpuE2ELNS1_3repE0EEENS1_30default_config_static_selectorELNS0_4arch9wavefront6targetE1EEEvS14_, .Lfunc_end168-_ZN7rocprim17ROCPRIM_400000_NS6detail17trampoline_kernelINS0_14default_configENS1_22reduce_config_selectorIN6thrust23THRUST_200600_302600_NS5tupleIblNS6_9null_typeES8_S8_S8_S8_S8_S8_S8_EEEEZNS1_11reduce_implILb1ES3_NS6_12zip_iteratorINS7_INS6_11hip_rocprim26transform_input_iterator_tIbNSD_35transform_pair_of_input_iterators_tIbNS6_6detail15normal_iteratorINS6_10device_ptrIKjEEEESL_NS6_8equal_toIjEEEENSG_9not_fun_tINSD_8identityEEEEENSD_19counting_iterator_tIlEES8_S8_S8_S8_S8_S8_S8_S8_EEEEPS9_S9_NSD_9__find_if7functorIS9_EEEE10hipError_tPvRmT1_T2_T3_mT4_P12ihipStream_tbEUlT_E1_NS1_11comp_targetILNS1_3genE8ELNS1_11target_archE1030ELNS1_3gpuE2ELNS1_3repE0EEENS1_30default_config_static_selectorELNS0_4arch9wavefront6targetE1EEEvS14_
                                        ; -- End function
	.section	.AMDGPU.csdata,"",@progbits
; Kernel info:
; codeLenInByte = 0
; NumSgprs: 4
; NumVgprs: 0
; NumAgprs: 0
; TotalNumVgprs: 0
; ScratchSize: 0
; MemoryBound: 0
; FloatMode: 240
; IeeeMode: 1
; LDSByteSize: 0 bytes/workgroup (compile time only)
; SGPRBlocks: 0
; VGPRBlocks: 0
; NumSGPRsForWavesPerEU: 4
; NumVGPRsForWavesPerEU: 1
; AccumOffset: 4
; Occupancy: 8
; WaveLimiterHint : 0
; COMPUTE_PGM_RSRC2:SCRATCH_EN: 0
; COMPUTE_PGM_RSRC2:USER_SGPR: 6
; COMPUTE_PGM_RSRC2:TRAP_HANDLER: 0
; COMPUTE_PGM_RSRC2:TGID_X_EN: 1
; COMPUTE_PGM_RSRC2:TGID_Y_EN: 0
; COMPUTE_PGM_RSRC2:TGID_Z_EN: 0
; COMPUTE_PGM_RSRC2:TIDIG_COMP_CNT: 0
; COMPUTE_PGM_RSRC3_GFX90A:ACCUM_OFFSET: 0
; COMPUTE_PGM_RSRC3_GFX90A:TG_SPLIT: 0
	.section	.text._ZN6thrust23THRUST_200600_302600_NS11hip_rocprim14__parallel_for6kernelILj256ENS1_20__uninitialized_fill7functorINS0_10device_ptrItEEtEEmLj1EEEvT0_T1_SA_,"axG",@progbits,_ZN6thrust23THRUST_200600_302600_NS11hip_rocprim14__parallel_for6kernelILj256ENS1_20__uninitialized_fill7functorINS0_10device_ptrItEEtEEmLj1EEEvT0_T1_SA_,comdat
	.protected	_ZN6thrust23THRUST_200600_302600_NS11hip_rocprim14__parallel_for6kernelILj256ENS1_20__uninitialized_fill7functorINS0_10device_ptrItEEtEEmLj1EEEvT0_T1_SA_ ; -- Begin function _ZN6thrust23THRUST_200600_302600_NS11hip_rocprim14__parallel_for6kernelILj256ENS1_20__uninitialized_fill7functorINS0_10device_ptrItEEtEEmLj1EEEvT0_T1_SA_
	.globl	_ZN6thrust23THRUST_200600_302600_NS11hip_rocprim14__parallel_for6kernelILj256ENS1_20__uninitialized_fill7functorINS0_10device_ptrItEEtEEmLj1EEEvT0_T1_SA_
	.p2align	8
	.type	_ZN6thrust23THRUST_200600_302600_NS11hip_rocprim14__parallel_for6kernelILj256ENS1_20__uninitialized_fill7functorINS0_10device_ptrItEEtEEmLj1EEEvT0_T1_SA_,@function
_ZN6thrust23THRUST_200600_302600_NS11hip_rocprim14__parallel_for6kernelILj256ENS1_20__uninitialized_fill7functorINS0_10device_ptrItEEtEEmLj1EEEvT0_T1_SA_: ; @_ZN6thrust23THRUST_200600_302600_NS11hip_rocprim14__parallel_for6kernelILj256ENS1_20__uninitialized_fill7functorINS0_10device_ptrItEEtEEmLj1EEEvT0_T1_SA_
; %bb.0:
	s_load_dwordx4 s[8:11], s[4:5], 0x10
	s_lshl_b32 s0, s6, 8
	v_mov_b32_e32 v2, 0x100
	v_mov_b32_e32 v3, 0
	s_waitcnt lgkmcnt(0)
	s_add_u32 s0, s0, s10
	s_addc_u32 s1, 0, s11
	s_sub_u32 s2, s8, s0
	s_subb_u32 s3, s9, s1
	v_cmp_lt_u64_e32 vcc, s[2:3], v[2:3]
	s_cbranch_vccz .LBB169_2
; %bb.1:
	v_cmp_gt_u32_e32 vcc, s2, v0
	s_and_b64 s[2:3], vcc, exec
	s_cbranch_execz .LBB169_3
	s_branch .LBB169_4
.LBB169_2:
	s_mov_b64 s[2:3], 0
.LBB169_3:
	s_or_b64 s[2:3], s[2:3], exec
.LBB169_4:
	s_and_saveexec_b64 s[6:7], s[2:3]
	s_cbranch_execnz .LBB169_6
; %bb.5:
	s_endpgm
.LBB169_6:
	s_load_dwordx2 s[2:3], s[4:5], 0x0
	s_load_dword s6, s[4:5], 0x8
	s_lshl_b64 s[0:1], s[0:1], 1
	v_mov_b32_e32 v1, 0
	v_lshlrev_b64 v[0:1], 1, v[0:1]
	s_waitcnt lgkmcnt(0)
	s_add_u32 s0, s2, s0
	s_addc_u32 s1, s3, s1
	v_mov_b32_e32 v2, s1
	v_add_co_u32_e32 v0, vcc, s0, v0
	v_addc_co_u32_e32 v1, vcc, v2, v1, vcc
	v_mov_b32_e32 v2, s6
	flat_store_short v[0:1], v2
	s_endpgm
	.section	.rodata,"a",@progbits
	.p2align	6, 0x0
	.amdhsa_kernel _ZN6thrust23THRUST_200600_302600_NS11hip_rocprim14__parallel_for6kernelILj256ENS1_20__uninitialized_fill7functorINS0_10device_ptrItEEtEEmLj1EEEvT0_T1_SA_
		.amdhsa_group_segment_fixed_size 0
		.amdhsa_private_segment_fixed_size 0
		.amdhsa_kernarg_size 32
		.amdhsa_user_sgpr_count 6
		.amdhsa_user_sgpr_private_segment_buffer 1
		.amdhsa_user_sgpr_dispatch_ptr 0
		.amdhsa_user_sgpr_queue_ptr 0
		.amdhsa_user_sgpr_kernarg_segment_ptr 1
		.amdhsa_user_sgpr_dispatch_id 0
		.amdhsa_user_sgpr_flat_scratch_init 0
		.amdhsa_user_sgpr_kernarg_preload_length 0
		.amdhsa_user_sgpr_kernarg_preload_offset 0
		.amdhsa_user_sgpr_private_segment_size 0
		.amdhsa_uses_dynamic_stack 0
		.amdhsa_system_sgpr_private_segment_wavefront_offset 0
		.amdhsa_system_sgpr_workgroup_id_x 1
		.amdhsa_system_sgpr_workgroup_id_y 0
		.amdhsa_system_sgpr_workgroup_id_z 0
		.amdhsa_system_sgpr_workgroup_info 0
		.amdhsa_system_vgpr_workitem_id 0
		.amdhsa_next_free_vgpr 4
		.amdhsa_next_free_sgpr 12
		.amdhsa_accum_offset 4
		.amdhsa_reserve_vcc 1
		.amdhsa_reserve_flat_scratch 0
		.amdhsa_float_round_mode_32 0
		.amdhsa_float_round_mode_16_64 0
		.amdhsa_float_denorm_mode_32 3
		.amdhsa_float_denorm_mode_16_64 3
		.amdhsa_dx10_clamp 1
		.amdhsa_ieee_mode 1
		.amdhsa_fp16_overflow 0
		.amdhsa_tg_split 0
		.amdhsa_exception_fp_ieee_invalid_op 0
		.amdhsa_exception_fp_denorm_src 0
		.amdhsa_exception_fp_ieee_div_zero 0
		.amdhsa_exception_fp_ieee_overflow 0
		.amdhsa_exception_fp_ieee_underflow 0
		.amdhsa_exception_fp_ieee_inexact 0
		.amdhsa_exception_int_div_zero 0
	.end_amdhsa_kernel
	.section	.text._ZN6thrust23THRUST_200600_302600_NS11hip_rocprim14__parallel_for6kernelILj256ENS1_20__uninitialized_fill7functorINS0_10device_ptrItEEtEEmLj1EEEvT0_T1_SA_,"axG",@progbits,_ZN6thrust23THRUST_200600_302600_NS11hip_rocprim14__parallel_for6kernelILj256ENS1_20__uninitialized_fill7functorINS0_10device_ptrItEEtEEmLj1EEEvT0_T1_SA_,comdat
.Lfunc_end169:
	.size	_ZN6thrust23THRUST_200600_302600_NS11hip_rocprim14__parallel_for6kernelILj256ENS1_20__uninitialized_fill7functorINS0_10device_ptrItEEtEEmLj1EEEvT0_T1_SA_, .Lfunc_end169-_ZN6thrust23THRUST_200600_302600_NS11hip_rocprim14__parallel_for6kernelILj256ENS1_20__uninitialized_fill7functorINS0_10device_ptrItEEtEEmLj1EEEvT0_T1_SA_
                                        ; -- End function
	.section	.AMDGPU.csdata,"",@progbits
; Kernel info:
; codeLenInByte = 160
; NumSgprs: 16
; NumVgprs: 4
; NumAgprs: 0
; TotalNumVgprs: 4
; ScratchSize: 0
; MemoryBound: 0
; FloatMode: 240
; IeeeMode: 1
; LDSByteSize: 0 bytes/workgroup (compile time only)
; SGPRBlocks: 1
; VGPRBlocks: 0
; NumSGPRsForWavesPerEU: 16
; NumVGPRsForWavesPerEU: 4
; AccumOffset: 4
; Occupancy: 8
; WaveLimiterHint : 0
; COMPUTE_PGM_RSRC2:SCRATCH_EN: 0
; COMPUTE_PGM_RSRC2:USER_SGPR: 6
; COMPUTE_PGM_RSRC2:TRAP_HANDLER: 0
; COMPUTE_PGM_RSRC2:TGID_X_EN: 1
; COMPUTE_PGM_RSRC2:TGID_Y_EN: 0
; COMPUTE_PGM_RSRC2:TGID_Z_EN: 0
; COMPUTE_PGM_RSRC2:TIDIG_COMP_CNT: 0
; COMPUTE_PGM_RSRC3_GFX90A:ACCUM_OFFSET: 0
; COMPUTE_PGM_RSRC3_GFX90A:TG_SPLIT: 0
	.section	.text._ZN7rocprim17ROCPRIM_400000_NS6detail17trampoline_kernelINS0_14default_configENS1_21merge_config_selectorItNS0_10empty_typeEEEZNS1_10merge_implIS3_N6thrust23THRUST_200600_302600_NS6detail15normal_iteratorINS9_10device_ptrIKtEEEESF_NSB_INSC_ItEEEEPS5_SI_SI_NS9_4lessItEEEE10hipError_tPvRmT0_T1_T2_T3_T4_T5_mmT6_P12ihipStream_tbEUlT_E_NS1_11comp_targetILNS1_3genE0ELNS1_11target_archE4294967295ELNS1_3gpuE0ELNS1_3repE0EEENS1_30default_config_static_selectorELNS0_4arch9wavefront6targetE1EEEvSP_,"axG",@progbits,_ZN7rocprim17ROCPRIM_400000_NS6detail17trampoline_kernelINS0_14default_configENS1_21merge_config_selectorItNS0_10empty_typeEEEZNS1_10merge_implIS3_N6thrust23THRUST_200600_302600_NS6detail15normal_iteratorINS9_10device_ptrIKtEEEESF_NSB_INSC_ItEEEEPS5_SI_SI_NS9_4lessItEEEE10hipError_tPvRmT0_T1_T2_T3_T4_T5_mmT6_P12ihipStream_tbEUlT_E_NS1_11comp_targetILNS1_3genE0ELNS1_11target_archE4294967295ELNS1_3gpuE0ELNS1_3repE0EEENS1_30default_config_static_selectorELNS0_4arch9wavefront6targetE1EEEvSP_,comdat
	.protected	_ZN7rocprim17ROCPRIM_400000_NS6detail17trampoline_kernelINS0_14default_configENS1_21merge_config_selectorItNS0_10empty_typeEEEZNS1_10merge_implIS3_N6thrust23THRUST_200600_302600_NS6detail15normal_iteratorINS9_10device_ptrIKtEEEESF_NSB_INSC_ItEEEEPS5_SI_SI_NS9_4lessItEEEE10hipError_tPvRmT0_T1_T2_T3_T4_T5_mmT6_P12ihipStream_tbEUlT_E_NS1_11comp_targetILNS1_3genE0ELNS1_11target_archE4294967295ELNS1_3gpuE0ELNS1_3repE0EEENS1_30default_config_static_selectorELNS0_4arch9wavefront6targetE1EEEvSP_ ; -- Begin function _ZN7rocprim17ROCPRIM_400000_NS6detail17trampoline_kernelINS0_14default_configENS1_21merge_config_selectorItNS0_10empty_typeEEEZNS1_10merge_implIS3_N6thrust23THRUST_200600_302600_NS6detail15normal_iteratorINS9_10device_ptrIKtEEEESF_NSB_INSC_ItEEEEPS5_SI_SI_NS9_4lessItEEEE10hipError_tPvRmT0_T1_T2_T3_T4_T5_mmT6_P12ihipStream_tbEUlT_E_NS1_11comp_targetILNS1_3genE0ELNS1_11target_archE4294967295ELNS1_3gpuE0ELNS1_3repE0EEENS1_30default_config_static_selectorELNS0_4arch9wavefront6targetE1EEEvSP_
	.globl	_ZN7rocprim17ROCPRIM_400000_NS6detail17trampoline_kernelINS0_14default_configENS1_21merge_config_selectorItNS0_10empty_typeEEEZNS1_10merge_implIS3_N6thrust23THRUST_200600_302600_NS6detail15normal_iteratorINS9_10device_ptrIKtEEEESF_NSB_INSC_ItEEEEPS5_SI_SI_NS9_4lessItEEEE10hipError_tPvRmT0_T1_T2_T3_T4_T5_mmT6_P12ihipStream_tbEUlT_E_NS1_11comp_targetILNS1_3genE0ELNS1_11target_archE4294967295ELNS1_3gpuE0ELNS1_3repE0EEENS1_30default_config_static_selectorELNS0_4arch9wavefront6targetE1EEEvSP_
	.p2align	8
	.type	_ZN7rocprim17ROCPRIM_400000_NS6detail17trampoline_kernelINS0_14default_configENS1_21merge_config_selectorItNS0_10empty_typeEEEZNS1_10merge_implIS3_N6thrust23THRUST_200600_302600_NS6detail15normal_iteratorINS9_10device_ptrIKtEEEESF_NSB_INSC_ItEEEEPS5_SI_SI_NS9_4lessItEEEE10hipError_tPvRmT0_T1_T2_T3_T4_T5_mmT6_P12ihipStream_tbEUlT_E_NS1_11comp_targetILNS1_3genE0ELNS1_11target_archE4294967295ELNS1_3gpuE0ELNS1_3repE0EEENS1_30default_config_static_selectorELNS0_4arch9wavefront6targetE1EEEvSP_,@function
_ZN7rocprim17ROCPRIM_400000_NS6detail17trampoline_kernelINS0_14default_configENS1_21merge_config_selectorItNS0_10empty_typeEEEZNS1_10merge_implIS3_N6thrust23THRUST_200600_302600_NS6detail15normal_iteratorINS9_10device_ptrIKtEEEESF_NSB_INSC_ItEEEEPS5_SI_SI_NS9_4lessItEEEE10hipError_tPvRmT0_T1_T2_T3_T4_T5_mmT6_P12ihipStream_tbEUlT_E_NS1_11comp_targetILNS1_3genE0ELNS1_11target_archE4294967295ELNS1_3gpuE0ELNS1_3repE0EEENS1_30default_config_static_selectorELNS0_4arch9wavefront6targetE1EEEvSP_: ; @_ZN7rocprim17ROCPRIM_400000_NS6detail17trampoline_kernelINS0_14default_configENS1_21merge_config_selectorItNS0_10empty_typeEEEZNS1_10merge_implIS3_N6thrust23THRUST_200600_302600_NS6detail15normal_iteratorINS9_10device_ptrIKtEEEESF_NSB_INSC_ItEEEEPS5_SI_SI_NS9_4lessItEEEE10hipError_tPvRmT0_T1_T2_T3_T4_T5_mmT6_P12ihipStream_tbEUlT_E_NS1_11comp_targetILNS1_3genE0ELNS1_11target_archE4294967295ELNS1_3gpuE0ELNS1_3repE0EEENS1_30default_config_static_selectorELNS0_4arch9wavefront6targetE1EEEvSP_
; %bb.0:
	.section	.rodata,"a",@progbits
	.p2align	6, 0x0
	.amdhsa_kernel _ZN7rocprim17ROCPRIM_400000_NS6detail17trampoline_kernelINS0_14default_configENS1_21merge_config_selectorItNS0_10empty_typeEEEZNS1_10merge_implIS3_N6thrust23THRUST_200600_302600_NS6detail15normal_iteratorINS9_10device_ptrIKtEEEESF_NSB_INSC_ItEEEEPS5_SI_SI_NS9_4lessItEEEE10hipError_tPvRmT0_T1_T2_T3_T4_T5_mmT6_P12ihipStream_tbEUlT_E_NS1_11comp_targetILNS1_3genE0ELNS1_11target_archE4294967295ELNS1_3gpuE0ELNS1_3repE0EEENS1_30default_config_static_selectorELNS0_4arch9wavefront6targetE1EEEvSP_
		.amdhsa_group_segment_fixed_size 0
		.amdhsa_private_segment_fixed_size 0
		.amdhsa_kernarg_size 48
		.amdhsa_user_sgpr_count 6
		.amdhsa_user_sgpr_private_segment_buffer 1
		.amdhsa_user_sgpr_dispatch_ptr 0
		.amdhsa_user_sgpr_queue_ptr 0
		.amdhsa_user_sgpr_kernarg_segment_ptr 1
		.amdhsa_user_sgpr_dispatch_id 0
		.amdhsa_user_sgpr_flat_scratch_init 0
		.amdhsa_user_sgpr_kernarg_preload_length 0
		.amdhsa_user_sgpr_kernarg_preload_offset 0
		.amdhsa_user_sgpr_private_segment_size 0
		.amdhsa_uses_dynamic_stack 0
		.amdhsa_system_sgpr_private_segment_wavefront_offset 0
		.amdhsa_system_sgpr_workgroup_id_x 1
		.amdhsa_system_sgpr_workgroup_id_y 0
		.amdhsa_system_sgpr_workgroup_id_z 0
		.amdhsa_system_sgpr_workgroup_info 0
		.amdhsa_system_vgpr_workitem_id 0
		.amdhsa_next_free_vgpr 1
		.amdhsa_next_free_sgpr 0
		.amdhsa_accum_offset 4
		.amdhsa_reserve_vcc 0
		.amdhsa_reserve_flat_scratch 0
		.amdhsa_float_round_mode_32 0
		.amdhsa_float_round_mode_16_64 0
		.amdhsa_float_denorm_mode_32 3
		.amdhsa_float_denorm_mode_16_64 3
		.amdhsa_dx10_clamp 1
		.amdhsa_ieee_mode 1
		.amdhsa_fp16_overflow 0
		.amdhsa_tg_split 0
		.amdhsa_exception_fp_ieee_invalid_op 0
		.amdhsa_exception_fp_denorm_src 0
		.amdhsa_exception_fp_ieee_div_zero 0
		.amdhsa_exception_fp_ieee_overflow 0
		.amdhsa_exception_fp_ieee_underflow 0
		.amdhsa_exception_fp_ieee_inexact 0
		.amdhsa_exception_int_div_zero 0
	.end_amdhsa_kernel
	.section	.text._ZN7rocprim17ROCPRIM_400000_NS6detail17trampoline_kernelINS0_14default_configENS1_21merge_config_selectorItNS0_10empty_typeEEEZNS1_10merge_implIS3_N6thrust23THRUST_200600_302600_NS6detail15normal_iteratorINS9_10device_ptrIKtEEEESF_NSB_INSC_ItEEEEPS5_SI_SI_NS9_4lessItEEEE10hipError_tPvRmT0_T1_T2_T3_T4_T5_mmT6_P12ihipStream_tbEUlT_E_NS1_11comp_targetILNS1_3genE0ELNS1_11target_archE4294967295ELNS1_3gpuE0ELNS1_3repE0EEENS1_30default_config_static_selectorELNS0_4arch9wavefront6targetE1EEEvSP_,"axG",@progbits,_ZN7rocprim17ROCPRIM_400000_NS6detail17trampoline_kernelINS0_14default_configENS1_21merge_config_selectorItNS0_10empty_typeEEEZNS1_10merge_implIS3_N6thrust23THRUST_200600_302600_NS6detail15normal_iteratorINS9_10device_ptrIKtEEEESF_NSB_INSC_ItEEEEPS5_SI_SI_NS9_4lessItEEEE10hipError_tPvRmT0_T1_T2_T3_T4_T5_mmT6_P12ihipStream_tbEUlT_E_NS1_11comp_targetILNS1_3genE0ELNS1_11target_archE4294967295ELNS1_3gpuE0ELNS1_3repE0EEENS1_30default_config_static_selectorELNS0_4arch9wavefront6targetE1EEEvSP_,comdat
.Lfunc_end170:
	.size	_ZN7rocprim17ROCPRIM_400000_NS6detail17trampoline_kernelINS0_14default_configENS1_21merge_config_selectorItNS0_10empty_typeEEEZNS1_10merge_implIS3_N6thrust23THRUST_200600_302600_NS6detail15normal_iteratorINS9_10device_ptrIKtEEEESF_NSB_INSC_ItEEEEPS5_SI_SI_NS9_4lessItEEEE10hipError_tPvRmT0_T1_T2_T3_T4_T5_mmT6_P12ihipStream_tbEUlT_E_NS1_11comp_targetILNS1_3genE0ELNS1_11target_archE4294967295ELNS1_3gpuE0ELNS1_3repE0EEENS1_30default_config_static_selectorELNS0_4arch9wavefront6targetE1EEEvSP_, .Lfunc_end170-_ZN7rocprim17ROCPRIM_400000_NS6detail17trampoline_kernelINS0_14default_configENS1_21merge_config_selectorItNS0_10empty_typeEEEZNS1_10merge_implIS3_N6thrust23THRUST_200600_302600_NS6detail15normal_iteratorINS9_10device_ptrIKtEEEESF_NSB_INSC_ItEEEEPS5_SI_SI_NS9_4lessItEEEE10hipError_tPvRmT0_T1_T2_T3_T4_T5_mmT6_P12ihipStream_tbEUlT_E_NS1_11comp_targetILNS1_3genE0ELNS1_11target_archE4294967295ELNS1_3gpuE0ELNS1_3repE0EEENS1_30default_config_static_selectorELNS0_4arch9wavefront6targetE1EEEvSP_
                                        ; -- End function
	.section	.AMDGPU.csdata,"",@progbits
; Kernel info:
; codeLenInByte = 0
; NumSgprs: 4
; NumVgprs: 0
; NumAgprs: 0
; TotalNumVgprs: 0
; ScratchSize: 0
; MemoryBound: 0
; FloatMode: 240
; IeeeMode: 1
; LDSByteSize: 0 bytes/workgroup (compile time only)
; SGPRBlocks: 0
; VGPRBlocks: 0
; NumSGPRsForWavesPerEU: 4
; NumVGPRsForWavesPerEU: 1
; AccumOffset: 4
; Occupancy: 8
; WaveLimiterHint : 0
; COMPUTE_PGM_RSRC2:SCRATCH_EN: 0
; COMPUTE_PGM_RSRC2:USER_SGPR: 6
; COMPUTE_PGM_RSRC2:TRAP_HANDLER: 0
; COMPUTE_PGM_RSRC2:TGID_X_EN: 1
; COMPUTE_PGM_RSRC2:TGID_Y_EN: 0
; COMPUTE_PGM_RSRC2:TGID_Z_EN: 0
; COMPUTE_PGM_RSRC2:TIDIG_COMP_CNT: 0
; COMPUTE_PGM_RSRC3_GFX90A:ACCUM_OFFSET: 0
; COMPUTE_PGM_RSRC3_GFX90A:TG_SPLIT: 0
	.section	.text._ZN7rocprim17ROCPRIM_400000_NS6detail17trampoline_kernelINS0_14default_configENS1_21merge_config_selectorItNS0_10empty_typeEEEZNS1_10merge_implIS3_N6thrust23THRUST_200600_302600_NS6detail15normal_iteratorINS9_10device_ptrIKtEEEESF_NSB_INSC_ItEEEEPS5_SI_SI_NS9_4lessItEEEE10hipError_tPvRmT0_T1_T2_T3_T4_T5_mmT6_P12ihipStream_tbEUlT_E_NS1_11comp_targetILNS1_3genE5ELNS1_11target_archE942ELNS1_3gpuE9ELNS1_3repE0EEENS1_30default_config_static_selectorELNS0_4arch9wavefront6targetE1EEEvSP_,"axG",@progbits,_ZN7rocprim17ROCPRIM_400000_NS6detail17trampoline_kernelINS0_14default_configENS1_21merge_config_selectorItNS0_10empty_typeEEEZNS1_10merge_implIS3_N6thrust23THRUST_200600_302600_NS6detail15normal_iteratorINS9_10device_ptrIKtEEEESF_NSB_INSC_ItEEEEPS5_SI_SI_NS9_4lessItEEEE10hipError_tPvRmT0_T1_T2_T3_T4_T5_mmT6_P12ihipStream_tbEUlT_E_NS1_11comp_targetILNS1_3genE5ELNS1_11target_archE942ELNS1_3gpuE9ELNS1_3repE0EEENS1_30default_config_static_selectorELNS0_4arch9wavefront6targetE1EEEvSP_,comdat
	.protected	_ZN7rocprim17ROCPRIM_400000_NS6detail17trampoline_kernelINS0_14default_configENS1_21merge_config_selectorItNS0_10empty_typeEEEZNS1_10merge_implIS3_N6thrust23THRUST_200600_302600_NS6detail15normal_iteratorINS9_10device_ptrIKtEEEESF_NSB_INSC_ItEEEEPS5_SI_SI_NS9_4lessItEEEE10hipError_tPvRmT0_T1_T2_T3_T4_T5_mmT6_P12ihipStream_tbEUlT_E_NS1_11comp_targetILNS1_3genE5ELNS1_11target_archE942ELNS1_3gpuE9ELNS1_3repE0EEENS1_30default_config_static_selectorELNS0_4arch9wavefront6targetE1EEEvSP_ ; -- Begin function _ZN7rocprim17ROCPRIM_400000_NS6detail17trampoline_kernelINS0_14default_configENS1_21merge_config_selectorItNS0_10empty_typeEEEZNS1_10merge_implIS3_N6thrust23THRUST_200600_302600_NS6detail15normal_iteratorINS9_10device_ptrIKtEEEESF_NSB_INSC_ItEEEEPS5_SI_SI_NS9_4lessItEEEE10hipError_tPvRmT0_T1_T2_T3_T4_T5_mmT6_P12ihipStream_tbEUlT_E_NS1_11comp_targetILNS1_3genE5ELNS1_11target_archE942ELNS1_3gpuE9ELNS1_3repE0EEENS1_30default_config_static_selectorELNS0_4arch9wavefront6targetE1EEEvSP_
	.globl	_ZN7rocprim17ROCPRIM_400000_NS6detail17trampoline_kernelINS0_14default_configENS1_21merge_config_selectorItNS0_10empty_typeEEEZNS1_10merge_implIS3_N6thrust23THRUST_200600_302600_NS6detail15normal_iteratorINS9_10device_ptrIKtEEEESF_NSB_INSC_ItEEEEPS5_SI_SI_NS9_4lessItEEEE10hipError_tPvRmT0_T1_T2_T3_T4_T5_mmT6_P12ihipStream_tbEUlT_E_NS1_11comp_targetILNS1_3genE5ELNS1_11target_archE942ELNS1_3gpuE9ELNS1_3repE0EEENS1_30default_config_static_selectorELNS0_4arch9wavefront6targetE1EEEvSP_
	.p2align	8
	.type	_ZN7rocprim17ROCPRIM_400000_NS6detail17trampoline_kernelINS0_14default_configENS1_21merge_config_selectorItNS0_10empty_typeEEEZNS1_10merge_implIS3_N6thrust23THRUST_200600_302600_NS6detail15normal_iteratorINS9_10device_ptrIKtEEEESF_NSB_INSC_ItEEEEPS5_SI_SI_NS9_4lessItEEEE10hipError_tPvRmT0_T1_T2_T3_T4_T5_mmT6_P12ihipStream_tbEUlT_E_NS1_11comp_targetILNS1_3genE5ELNS1_11target_archE942ELNS1_3gpuE9ELNS1_3repE0EEENS1_30default_config_static_selectorELNS0_4arch9wavefront6targetE1EEEvSP_,@function
_ZN7rocprim17ROCPRIM_400000_NS6detail17trampoline_kernelINS0_14default_configENS1_21merge_config_selectorItNS0_10empty_typeEEEZNS1_10merge_implIS3_N6thrust23THRUST_200600_302600_NS6detail15normal_iteratorINS9_10device_ptrIKtEEEESF_NSB_INSC_ItEEEEPS5_SI_SI_NS9_4lessItEEEE10hipError_tPvRmT0_T1_T2_T3_T4_T5_mmT6_P12ihipStream_tbEUlT_E_NS1_11comp_targetILNS1_3genE5ELNS1_11target_archE942ELNS1_3gpuE9ELNS1_3repE0EEENS1_30default_config_static_selectorELNS0_4arch9wavefront6targetE1EEEvSP_: ; @_ZN7rocprim17ROCPRIM_400000_NS6detail17trampoline_kernelINS0_14default_configENS1_21merge_config_selectorItNS0_10empty_typeEEEZNS1_10merge_implIS3_N6thrust23THRUST_200600_302600_NS6detail15normal_iteratorINS9_10device_ptrIKtEEEESF_NSB_INSC_ItEEEEPS5_SI_SI_NS9_4lessItEEEE10hipError_tPvRmT0_T1_T2_T3_T4_T5_mmT6_P12ihipStream_tbEUlT_E_NS1_11comp_targetILNS1_3genE5ELNS1_11target_archE942ELNS1_3gpuE9ELNS1_3repE0EEENS1_30default_config_static_selectorELNS0_4arch9wavefront6targetE1EEEvSP_
; %bb.0:
	.section	.rodata,"a",@progbits
	.p2align	6, 0x0
	.amdhsa_kernel _ZN7rocprim17ROCPRIM_400000_NS6detail17trampoline_kernelINS0_14default_configENS1_21merge_config_selectorItNS0_10empty_typeEEEZNS1_10merge_implIS3_N6thrust23THRUST_200600_302600_NS6detail15normal_iteratorINS9_10device_ptrIKtEEEESF_NSB_INSC_ItEEEEPS5_SI_SI_NS9_4lessItEEEE10hipError_tPvRmT0_T1_T2_T3_T4_T5_mmT6_P12ihipStream_tbEUlT_E_NS1_11comp_targetILNS1_3genE5ELNS1_11target_archE942ELNS1_3gpuE9ELNS1_3repE0EEENS1_30default_config_static_selectorELNS0_4arch9wavefront6targetE1EEEvSP_
		.amdhsa_group_segment_fixed_size 0
		.amdhsa_private_segment_fixed_size 0
		.amdhsa_kernarg_size 48
		.amdhsa_user_sgpr_count 6
		.amdhsa_user_sgpr_private_segment_buffer 1
		.amdhsa_user_sgpr_dispatch_ptr 0
		.amdhsa_user_sgpr_queue_ptr 0
		.amdhsa_user_sgpr_kernarg_segment_ptr 1
		.amdhsa_user_sgpr_dispatch_id 0
		.amdhsa_user_sgpr_flat_scratch_init 0
		.amdhsa_user_sgpr_kernarg_preload_length 0
		.amdhsa_user_sgpr_kernarg_preload_offset 0
		.amdhsa_user_sgpr_private_segment_size 0
		.amdhsa_uses_dynamic_stack 0
		.amdhsa_system_sgpr_private_segment_wavefront_offset 0
		.amdhsa_system_sgpr_workgroup_id_x 1
		.amdhsa_system_sgpr_workgroup_id_y 0
		.amdhsa_system_sgpr_workgroup_id_z 0
		.amdhsa_system_sgpr_workgroup_info 0
		.amdhsa_system_vgpr_workitem_id 0
		.amdhsa_next_free_vgpr 1
		.amdhsa_next_free_sgpr 0
		.amdhsa_accum_offset 4
		.amdhsa_reserve_vcc 0
		.amdhsa_reserve_flat_scratch 0
		.amdhsa_float_round_mode_32 0
		.amdhsa_float_round_mode_16_64 0
		.amdhsa_float_denorm_mode_32 3
		.amdhsa_float_denorm_mode_16_64 3
		.amdhsa_dx10_clamp 1
		.amdhsa_ieee_mode 1
		.amdhsa_fp16_overflow 0
		.amdhsa_tg_split 0
		.amdhsa_exception_fp_ieee_invalid_op 0
		.amdhsa_exception_fp_denorm_src 0
		.amdhsa_exception_fp_ieee_div_zero 0
		.amdhsa_exception_fp_ieee_overflow 0
		.amdhsa_exception_fp_ieee_underflow 0
		.amdhsa_exception_fp_ieee_inexact 0
		.amdhsa_exception_int_div_zero 0
	.end_amdhsa_kernel
	.section	.text._ZN7rocprim17ROCPRIM_400000_NS6detail17trampoline_kernelINS0_14default_configENS1_21merge_config_selectorItNS0_10empty_typeEEEZNS1_10merge_implIS3_N6thrust23THRUST_200600_302600_NS6detail15normal_iteratorINS9_10device_ptrIKtEEEESF_NSB_INSC_ItEEEEPS5_SI_SI_NS9_4lessItEEEE10hipError_tPvRmT0_T1_T2_T3_T4_T5_mmT6_P12ihipStream_tbEUlT_E_NS1_11comp_targetILNS1_3genE5ELNS1_11target_archE942ELNS1_3gpuE9ELNS1_3repE0EEENS1_30default_config_static_selectorELNS0_4arch9wavefront6targetE1EEEvSP_,"axG",@progbits,_ZN7rocprim17ROCPRIM_400000_NS6detail17trampoline_kernelINS0_14default_configENS1_21merge_config_selectorItNS0_10empty_typeEEEZNS1_10merge_implIS3_N6thrust23THRUST_200600_302600_NS6detail15normal_iteratorINS9_10device_ptrIKtEEEESF_NSB_INSC_ItEEEEPS5_SI_SI_NS9_4lessItEEEE10hipError_tPvRmT0_T1_T2_T3_T4_T5_mmT6_P12ihipStream_tbEUlT_E_NS1_11comp_targetILNS1_3genE5ELNS1_11target_archE942ELNS1_3gpuE9ELNS1_3repE0EEENS1_30default_config_static_selectorELNS0_4arch9wavefront6targetE1EEEvSP_,comdat
.Lfunc_end171:
	.size	_ZN7rocprim17ROCPRIM_400000_NS6detail17trampoline_kernelINS0_14default_configENS1_21merge_config_selectorItNS0_10empty_typeEEEZNS1_10merge_implIS3_N6thrust23THRUST_200600_302600_NS6detail15normal_iteratorINS9_10device_ptrIKtEEEESF_NSB_INSC_ItEEEEPS5_SI_SI_NS9_4lessItEEEE10hipError_tPvRmT0_T1_T2_T3_T4_T5_mmT6_P12ihipStream_tbEUlT_E_NS1_11comp_targetILNS1_3genE5ELNS1_11target_archE942ELNS1_3gpuE9ELNS1_3repE0EEENS1_30default_config_static_selectorELNS0_4arch9wavefront6targetE1EEEvSP_, .Lfunc_end171-_ZN7rocprim17ROCPRIM_400000_NS6detail17trampoline_kernelINS0_14default_configENS1_21merge_config_selectorItNS0_10empty_typeEEEZNS1_10merge_implIS3_N6thrust23THRUST_200600_302600_NS6detail15normal_iteratorINS9_10device_ptrIKtEEEESF_NSB_INSC_ItEEEEPS5_SI_SI_NS9_4lessItEEEE10hipError_tPvRmT0_T1_T2_T3_T4_T5_mmT6_P12ihipStream_tbEUlT_E_NS1_11comp_targetILNS1_3genE5ELNS1_11target_archE942ELNS1_3gpuE9ELNS1_3repE0EEENS1_30default_config_static_selectorELNS0_4arch9wavefront6targetE1EEEvSP_
                                        ; -- End function
	.section	.AMDGPU.csdata,"",@progbits
; Kernel info:
; codeLenInByte = 0
; NumSgprs: 4
; NumVgprs: 0
; NumAgprs: 0
; TotalNumVgprs: 0
; ScratchSize: 0
; MemoryBound: 0
; FloatMode: 240
; IeeeMode: 1
; LDSByteSize: 0 bytes/workgroup (compile time only)
; SGPRBlocks: 0
; VGPRBlocks: 0
; NumSGPRsForWavesPerEU: 4
; NumVGPRsForWavesPerEU: 1
; AccumOffset: 4
; Occupancy: 8
; WaveLimiterHint : 0
; COMPUTE_PGM_RSRC2:SCRATCH_EN: 0
; COMPUTE_PGM_RSRC2:USER_SGPR: 6
; COMPUTE_PGM_RSRC2:TRAP_HANDLER: 0
; COMPUTE_PGM_RSRC2:TGID_X_EN: 1
; COMPUTE_PGM_RSRC2:TGID_Y_EN: 0
; COMPUTE_PGM_RSRC2:TGID_Z_EN: 0
; COMPUTE_PGM_RSRC2:TIDIG_COMP_CNT: 0
; COMPUTE_PGM_RSRC3_GFX90A:ACCUM_OFFSET: 0
; COMPUTE_PGM_RSRC3_GFX90A:TG_SPLIT: 0
	.section	.text._ZN7rocprim17ROCPRIM_400000_NS6detail17trampoline_kernelINS0_14default_configENS1_21merge_config_selectorItNS0_10empty_typeEEEZNS1_10merge_implIS3_N6thrust23THRUST_200600_302600_NS6detail15normal_iteratorINS9_10device_ptrIKtEEEESF_NSB_INSC_ItEEEEPS5_SI_SI_NS9_4lessItEEEE10hipError_tPvRmT0_T1_T2_T3_T4_T5_mmT6_P12ihipStream_tbEUlT_E_NS1_11comp_targetILNS1_3genE4ELNS1_11target_archE910ELNS1_3gpuE8ELNS1_3repE0EEENS1_30default_config_static_selectorELNS0_4arch9wavefront6targetE1EEEvSP_,"axG",@progbits,_ZN7rocprim17ROCPRIM_400000_NS6detail17trampoline_kernelINS0_14default_configENS1_21merge_config_selectorItNS0_10empty_typeEEEZNS1_10merge_implIS3_N6thrust23THRUST_200600_302600_NS6detail15normal_iteratorINS9_10device_ptrIKtEEEESF_NSB_INSC_ItEEEEPS5_SI_SI_NS9_4lessItEEEE10hipError_tPvRmT0_T1_T2_T3_T4_T5_mmT6_P12ihipStream_tbEUlT_E_NS1_11comp_targetILNS1_3genE4ELNS1_11target_archE910ELNS1_3gpuE8ELNS1_3repE0EEENS1_30default_config_static_selectorELNS0_4arch9wavefront6targetE1EEEvSP_,comdat
	.protected	_ZN7rocprim17ROCPRIM_400000_NS6detail17trampoline_kernelINS0_14default_configENS1_21merge_config_selectorItNS0_10empty_typeEEEZNS1_10merge_implIS3_N6thrust23THRUST_200600_302600_NS6detail15normal_iteratorINS9_10device_ptrIKtEEEESF_NSB_INSC_ItEEEEPS5_SI_SI_NS9_4lessItEEEE10hipError_tPvRmT0_T1_T2_T3_T4_T5_mmT6_P12ihipStream_tbEUlT_E_NS1_11comp_targetILNS1_3genE4ELNS1_11target_archE910ELNS1_3gpuE8ELNS1_3repE0EEENS1_30default_config_static_selectorELNS0_4arch9wavefront6targetE1EEEvSP_ ; -- Begin function _ZN7rocprim17ROCPRIM_400000_NS6detail17trampoline_kernelINS0_14default_configENS1_21merge_config_selectorItNS0_10empty_typeEEEZNS1_10merge_implIS3_N6thrust23THRUST_200600_302600_NS6detail15normal_iteratorINS9_10device_ptrIKtEEEESF_NSB_INSC_ItEEEEPS5_SI_SI_NS9_4lessItEEEE10hipError_tPvRmT0_T1_T2_T3_T4_T5_mmT6_P12ihipStream_tbEUlT_E_NS1_11comp_targetILNS1_3genE4ELNS1_11target_archE910ELNS1_3gpuE8ELNS1_3repE0EEENS1_30default_config_static_selectorELNS0_4arch9wavefront6targetE1EEEvSP_
	.globl	_ZN7rocprim17ROCPRIM_400000_NS6detail17trampoline_kernelINS0_14default_configENS1_21merge_config_selectorItNS0_10empty_typeEEEZNS1_10merge_implIS3_N6thrust23THRUST_200600_302600_NS6detail15normal_iteratorINS9_10device_ptrIKtEEEESF_NSB_INSC_ItEEEEPS5_SI_SI_NS9_4lessItEEEE10hipError_tPvRmT0_T1_T2_T3_T4_T5_mmT6_P12ihipStream_tbEUlT_E_NS1_11comp_targetILNS1_3genE4ELNS1_11target_archE910ELNS1_3gpuE8ELNS1_3repE0EEENS1_30default_config_static_selectorELNS0_4arch9wavefront6targetE1EEEvSP_
	.p2align	8
	.type	_ZN7rocprim17ROCPRIM_400000_NS6detail17trampoline_kernelINS0_14default_configENS1_21merge_config_selectorItNS0_10empty_typeEEEZNS1_10merge_implIS3_N6thrust23THRUST_200600_302600_NS6detail15normal_iteratorINS9_10device_ptrIKtEEEESF_NSB_INSC_ItEEEEPS5_SI_SI_NS9_4lessItEEEE10hipError_tPvRmT0_T1_T2_T3_T4_T5_mmT6_P12ihipStream_tbEUlT_E_NS1_11comp_targetILNS1_3genE4ELNS1_11target_archE910ELNS1_3gpuE8ELNS1_3repE0EEENS1_30default_config_static_selectorELNS0_4arch9wavefront6targetE1EEEvSP_,@function
_ZN7rocprim17ROCPRIM_400000_NS6detail17trampoline_kernelINS0_14default_configENS1_21merge_config_selectorItNS0_10empty_typeEEEZNS1_10merge_implIS3_N6thrust23THRUST_200600_302600_NS6detail15normal_iteratorINS9_10device_ptrIKtEEEESF_NSB_INSC_ItEEEEPS5_SI_SI_NS9_4lessItEEEE10hipError_tPvRmT0_T1_T2_T3_T4_T5_mmT6_P12ihipStream_tbEUlT_E_NS1_11comp_targetILNS1_3genE4ELNS1_11target_archE910ELNS1_3gpuE8ELNS1_3repE0EEENS1_30default_config_static_selectorELNS0_4arch9wavefront6targetE1EEEvSP_: ; @_ZN7rocprim17ROCPRIM_400000_NS6detail17trampoline_kernelINS0_14default_configENS1_21merge_config_selectorItNS0_10empty_typeEEEZNS1_10merge_implIS3_N6thrust23THRUST_200600_302600_NS6detail15normal_iteratorINS9_10device_ptrIKtEEEESF_NSB_INSC_ItEEEEPS5_SI_SI_NS9_4lessItEEEE10hipError_tPvRmT0_T1_T2_T3_T4_T5_mmT6_P12ihipStream_tbEUlT_E_NS1_11comp_targetILNS1_3genE4ELNS1_11target_archE910ELNS1_3gpuE8ELNS1_3repE0EEENS1_30default_config_static_selectorELNS0_4arch9wavefront6targetE1EEEvSP_
; %bb.0:
	s_load_dword s7, s[4:5], 0x28
	s_load_dword s0, s[4:5], 0x3c
	s_load_dwordx4 s[8:11], s[4:5], 0x18
	s_waitcnt lgkmcnt(0)
	v_cvt_f32_u32_e32 v1, s7
	s_and_b32 s0, s0, 0xffff
	s_add_u32 s12, s10, s8
	s_addc_u32 s13, s11, s9
	v_rcp_iflag_f32_e32 v1, v1
	s_sub_i32 s1, 0, s7
	s_mul_i32 s6, s6, s0
	s_add_i32 s0, s7, s12
	v_mul_f32_e32 v1, 0x4f7ffffe, v1
	v_cvt_u32_f32_e32 v1, v1
	s_add_i32 s0, s0, -1
	v_add_u32_e32 v0, s6, v0
	v_readfirstlane_b32 s2, v1
	s_mul_i32 s1, s1, s2
	s_mul_hi_u32 s1, s2, s1
	s_add_i32 s2, s2, s1
	s_mul_hi_u32 s1, s0, s2
	s_mul_i32 s2, s1, s7
	s_sub_i32 s0, s0, s2
	s_add_i32 s3, s1, 1
	s_sub_i32 s2, s0, s7
	s_cmp_ge_u32 s0, s7
	s_cselect_b32 s1, s3, s1
	s_cselect_b32 s0, s2, s0
	s_add_i32 s2, s1, 1
	s_cmp_ge_u32 s0, s7
	s_cselect_b32 s0, s2, s1
	v_cmp_ge_u32_e32 vcc, s0, v0
	s_and_saveexec_b64 s[0:1], vcc
	s_cbranch_execz .LBB172_6
; %bb.1:
	v_mul_lo_u32 v2, v0, s7
	v_mov_b32_e32 v3, 0
	v_mov_b32_e32 v1, s13
	v_cmp_gt_u64_e32 vcc, s[12:13], v[2:3]
	v_cndmask_b32_e64 v7, v1, 0, vcc
	v_mov_b32_e32 v1, s12
	v_cndmask_b32_e32 v6, v1, v2, vcc
	v_mov_b32_e32 v1, s11
	v_subrev_co_u32_e32 v2, vcc, s10, v6
	v_subb_co_u32_e32 v3, vcc, v7, v1, vcc
	s_load_dwordx4 s[0:3], s[4:5], 0x0
	v_cmp_gt_u64_e32 vcc, v[2:3], v[6:7]
	v_cndmask_b32_e64 v3, v3, 0, vcc
	v_cndmask_b32_e64 v2, v2, 0, vcc
	v_mov_b32_e32 v1, s9
	v_cmp_gt_u64_e32 vcc, s[8:9], v[6:7]
	v_cndmask_b32_e32 v5, v1, v7, vcc
	v_mov_b32_e32 v1, s8
	v_cndmask_b32_e32 v4, v1, v6, vcc
	v_cmp_lt_u64_e32 vcc, v[2:3], v[4:5]
	s_and_saveexec_b64 s[6:7], vcc
	s_cbranch_execz .LBB172_5
; %bb.2:
	s_load_dwordx2 s[4:5], s[4:5], 0x10
	v_lshlrev_b64 v[6:7], 1, v[6:7]
	s_waitcnt lgkmcnt(0)
	v_mov_b32_e32 v8, s5
	v_add_co_u32_e32 v1, vcc, s4, v6
	v_addc_co_u32_e32 v6, vcc, v8, v7, vcc
	s_mov_b64 s[4:5], 0
	v_mov_b32_e32 v7, s3
.LBB172_3:                              ; =>This Inner Loop Header: Depth=1
	v_add_co_u32_e32 v8, vcc, v4, v2
	v_addc_co_u32_e32 v9, vcc, v5, v3, vcc
	v_lshrrev_b64 v[10:11], 1, v[8:9]
	v_and_b32_e32 v8, -2, v8
	v_add_co_u32_e32 v8, vcc, s2, v8
	v_not_b32_e32 v13, v11
	v_not_b32_e32 v12, v10
	v_addc_co_u32_e32 v9, vcc, v7, v9, vcc
	global_load_ushort v14, v[8:9], off
	v_lshlrev_b64 v[8:9], 1, v[12:13]
	v_add_co_u32_e32 v8, vcc, v1, v8
	v_addc_co_u32_e32 v9, vcc, v6, v9, vcc
	global_load_ushort v8, v[8:9], off
	v_add_co_u32_e32 v9, vcc, 1, v10
	v_addc_co_u32_e32 v12, vcc, 0, v11, vcc
	s_waitcnt vmcnt(0)
	v_cmp_lt_u16_e32 vcc, v8, v14
	v_cndmask_b32_e32 v5, v5, v11, vcc
	v_cndmask_b32_e32 v4, v4, v10, vcc
	;; [unrolled: 1-line block ×4, first 2 shown]
	v_cmp_ge_u64_e32 vcc, v[2:3], v[4:5]
	s_or_b64 s[4:5], vcc, s[4:5]
	s_andn2_b64 exec, exec, s[4:5]
	s_cbranch_execnz .LBB172_3
; %bb.4:
	s_or_b64 exec, exec, s[4:5]
.LBB172_5:
	s_or_b64 exec, exec, s[6:7]
	v_mov_b32_e32 v1, 0
	v_lshlrev_b64 v[0:1], 2, v[0:1]
	s_waitcnt lgkmcnt(0)
	v_mov_b32_e32 v3, s1
	v_add_co_u32_e32 v0, vcc, s0, v0
	v_addc_co_u32_e32 v1, vcc, v3, v1, vcc
	global_store_dword v[0:1], v2, off
.LBB172_6:
	s_endpgm
	.section	.rodata,"a",@progbits
	.p2align	6, 0x0
	.amdhsa_kernel _ZN7rocprim17ROCPRIM_400000_NS6detail17trampoline_kernelINS0_14default_configENS1_21merge_config_selectorItNS0_10empty_typeEEEZNS1_10merge_implIS3_N6thrust23THRUST_200600_302600_NS6detail15normal_iteratorINS9_10device_ptrIKtEEEESF_NSB_INSC_ItEEEEPS5_SI_SI_NS9_4lessItEEEE10hipError_tPvRmT0_T1_T2_T3_T4_T5_mmT6_P12ihipStream_tbEUlT_E_NS1_11comp_targetILNS1_3genE4ELNS1_11target_archE910ELNS1_3gpuE8ELNS1_3repE0EEENS1_30default_config_static_selectorELNS0_4arch9wavefront6targetE1EEEvSP_
		.amdhsa_group_segment_fixed_size 0
		.amdhsa_private_segment_fixed_size 0
		.amdhsa_kernarg_size 304
		.amdhsa_user_sgpr_count 6
		.amdhsa_user_sgpr_private_segment_buffer 1
		.amdhsa_user_sgpr_dispatch_ptr 0
		.amdhsa_user_sgpr_queue_ptr 0
		.amdhsa_user_sgpr_kernarg_segment_ptr 1
		.amdhsa_user_sgpr_dispatch_id 0
		.amdhsa_user_sgpr_flat_scratch_init 0
		.amdhsa_user_sgpr_kernarg_preload_length 0
		.amdhsa_user_sgpr_kernarg_preload_offset 0
		.amdhsa_user_sgpr_private_segment_size 0
		.amdhsa_uses_dynamic_stack 0
		.amdhsa_system_sgpr_private_segment_wavefront_offset 0
		.amdhsa_system_sgpr_workgroup_id_x 1
		.amdhsa_system_sgpr_workgroup_id_y 0
		.amdhsa_system_sgpr_workgroup_id_z 0
		.amdhsa_system_sgpr_workgroup_info 0
		.amdhsa_system_vgpr_workitem_id 0
		.amdhsa_next_free_vgpr 15
		.amdhsa_next_free_sgpr 14
		.amdhsa_accum_offset 16
		.amdhsa_reserve_vcc 1
		.amdhsa_reserve_flat_scratch 0
		.amdhsa_float_round_mode_32 0
		.amdhsa_float_round_mode_16_64 0
		.amdhsa_float_denorm_mode_32 3
		.amdhsa_float_denorm_mode_16_64 3
		.amdhsa_dx10_clamp 1
		.amdhsa_ieee_mode 1
		.amdhsa_fp16_overflow 0
		.amdhsa_tg_split 0
		.amdhsa_exception_fp_ieee_invalid_op 0
		.amdhsa_exception_fp_denorm_src 0
		.amdhsa_exception_fp_ieee_div_zero 0
		.amdhsa_exception_fp_ieee_overflow 0
		.amdhsa_exception_fp_ieee_underflow 0
		.amdhsa_exception_fp_ieee_inexact 0
		.amdhsa_exception_int_div_zero 0
	.end_amdhsa_kernel
	.section	.text._ZN7rocprim17ROCPRIM_400000_NS6detail17trampoline_kernelINS0_14default_configENS1_21merge_config_selectorItNS0_10empty_typeEEEZNS1_10merge_implIS3_N6thrust23THRUST_200600_302600_NS6detail15normal_iteratorINS9_10device_ptrIKtEEEESF_NSB_INSC_ItEEEEPS5_SI_SI_NS9_4lessItEEEE10hipError_tPvRmT0_T1_T2_T3_T4_T5_mmT6_P12ihipStream_tbEUlT_E_NS1_11comp_targetILNS1_3genE4ELNS1_11target_archE910ELNS1_3gpuE8ELNS1_3repE0EEENS1_30default_config_static_selectorELNS0_4arch9wavefront6targetE1EEEvSP_,"axG",@progbits,_ZN7rocprim17ROCPRIM_400000_NS6detail17trampoline_kernelINS0_14default_configENS1_21merge_config_selectorItNS0_10empty_typeEEEZNS1_10merge_implIS3_N6thrust23THRUST_200600_302600_NS6detail15normal_iteratorINS9_10device_ptrIKtEEEESF_NSB_INSC_ItEEEEPS5_SI_SI_NS9_4lessItEEEE10hipError_tPvRmT0_T1_T2_T3_T4_T5_mmT6_P12ihipStream_tbEUlT_E_NS1_11comp_targetILNS1_3genE4ELNS1_11target_archE910ELNS1_3gpuE8ELNS1_3repE0EEENS1_30default_config_static_selectorELNS0_4arch9wavefront6targetE1EEEvSP_,comdat
.Lfunc_end172:
	.size	_ZN7rocprim17ROCPRIM_400000_NS6detail17trampoline_kernelINS0_14default_configENS1_21merge_config_selectorItNS0_10empty_typeEEEZNS1_10merge_implIS3_N6thrust23THRUST_200600_302600_NS6detail15normal_iteratorINS9_10device_ptrIKtEEEESF_NSB_INSC_ItEEEEPS5_SI_SI_NS9_4lessItEEEE10hipError_tPvRmT0_T1_T2_T3_T4_T5_mmT6_P12ihipStream_tbEUlT_E_NS1_11comp_targetILNS1_3genE4ELNS1_11target_archE910ELNS1_3gpuE8ELNS1_3repE0EEENS1_30default_config_static_selectorELNS0_4arch9wavefront6targetE1EEEvSP_, .Lfunc_end172-_ZN7rocprim17ROCPRIM_400000_NS6detail17trampoline_kernelINS0_14default_configENS1_21merge_config_selectorItNS0_10empty_typeEEEZNS1_10merge_implIS3_N6thrust23THRUST_200600_302600_NS6detail15normal_iteratorINS9_10device_ptrIKtEEEESF_NSB_INSC_ItEEEEPS5_SI_SI_NS9_4lessItEEEE10hipError_tPvRmT0_T1_T2_T3_T4_T5_mmT6_P12ihipStream_tbEUlT_E_NS1_11comp_targetILNS1_3genE4ELNS1_11target_archE910ELNS1_3gpuE8ELNS1_3repE0EEENS1_30default_config_static_selectorELNS0_4arch9wavefront6targetE1EEEvSP_
                                        ; -- End function
	.section	.AMDGPU.csdata,"",@progbits
; Kernel info:
; codeLenInByte = 468
; NumSgprs: 18
; NumVgprs: 15
; NumAgprs: 0
; TotalNumVgprs: 15
; ScratchSize: 0
; MemoryBound: 0
; FloatMode: 240
; IeeeMode: 1
; LDSByteSize: 0 bytes/workgroup (compile time only)
; SGPRBlocks: 2
; VGPRBlocks: 1
; NumSGPRsForWavesPerEU: 18
; NumVGPRsForWavesPerEU: 15
; AccumOffset: 16
; Occupancy: 8
; WaveLimiterHint : 0
; COMPUTE_PGM_RSRC2:SCRATCH_EN: 0
; COMPUTE_PGM_RSRC2:USER_SGPR: 6
; COMPUTE_PGM_RSRC2:TRAP_HANDLER: 0
; COMPUTE_PGM_RSRC2:TGID_X_EN: 1
; COMPUTE_PGM_RSRC2:TGID_Y_EN: 0
; COMPUTE_PGM_RSRC2:TGID_Z_EN: 0
; COMPUTE_PGM_RSRC2:TIDIG_COMP_CNT: 0
; COMPUTE_PGM_RSRC3_GFX90A:ACCUM_OFFSET: 3
; COMPUTE_PGM_RSRC3_GFX90A:TG_SPLIT: 0
	.section	.text._ZN7rocprim17ROCPRIM_400000_NS6detail17trampoline_kernelINS0_14default_configENS1_21merge_config_selectorItNS0_10empty_typeEEEZNS1_10merge_implIS3_N6thrust23THRUST_200600_302600_NS6detail15normal_iteratorINS9_10device_ptrIKtEEEESF_NSB_INSC_ItEEEEPS5_SI_SI_NS9_4lessItEEEE10hipError_tPvRmT0_T1_T2_T3_T4_T5_mmT6_P12ihipStream_tbEUlT_E_NS1_11comp_targetILNS1_3genE3ELNS1_11target_archE908ELNS1_3gpuE7ELNS1_3repE0EEENS1_30default_config_static_selectorELNS0_4arch9wavefront6targetE1EEEvSP_,"axG",@progbits,_ZN7rocprim17ROCPRIM_400000_NS6detail17trampoline_kernelINS0_14default_configENS1_21merge_config_selectorItNS0_10empty_typeEEEZNS1_10merge_implIS3_N6thrust23THRUST_200600_302600_NS6detail15normal_iteratorINS9_10device_ptrIKtEEEESF_NSB_INSC_ItEEEEPS5_SI_SI_NS9_4lessItEEEE10hipError_tPvRmT0_T1_T2_T3_T4_T5_mmT6_P12ihipStream_tbEUlT_E_NS1_11comp_targetILNS1_3genE3ELNS1_11target_archE908ELNS1_3gpuE7ELNS1_3repE0EEENS1_30default_config_static_selectorELNS0_4arch9wavefront6targetE1EEEvSP_,comdat
	.protected	_ZN7rocprim17ROCPRIM_400000_NS6detail17trampoline_kernelINS0_14default_configENS1_21merge_config_selectorItNS0_10empty_typeEEEZNS1_10merge_implIS3_N6thrust23THRUST_200600_302600_NS6detail15normal_iteratorINS9_10device_ptrIKtEEEESF_NSB_INSC_ItEEEEPS5_SI_SI_NS9_4lessItEEEE10hipError_tPvRmT0_T1_T2_T3_T4_T5_mmT6_P12ihipStream_tbEUlT_E_NS1_11comp_targetILNS1_3genE3ELNS1_11target_archE908ELNS1_3gpuE7ELNS1_3repE0EEENS1_30default_config_static_selectorELNS0_4arch9wavefront6targetE1EEEvSP_ ; -- Begin function _ZN7rocprim17ROCPRIM_400000_NS6detail17trampoline_kernelINS0_14default_configENS1_21merge_config_selectorItNS0_10empty_typeEEEZNS1_10merge_implIS3_N6thrust23THRUST_200600_302600_NS6detail15normal_iteratorINS9_10device_ptrIKtEEEESF_NSB_INSC_ItEEEEPS5_SI_SI_NS9_4lessItEEEE10hipError_tPvRmT0_T1_T2_T3_T4_T5_mmT6_P12ihipStream_tbEUlT_E_NS1_11comp_targetILNS1_3genE3ELNS1_11target_archE908ELNS1_3gpuE7ELNS1_3repE0EEENS1_30default_config_static_selectorELNS0_4arch9wavefront6targetE1EEEvSP_
	.globl	_ZN7rocprim17ROCPRIM_400000_NS6detail17trampoline_kernelINS0_14default_configENS1_21merge_config_selectorItNS0_10empty_typeEEEZNS1_10merge_implIS3_N6thrust23THRUST_200600_302600_NS6detail15normal_iteratorINS9_10device_ptrIKtEEEESF_NSB_INSC_ItEEEEPS5_SI_SI_NS9_4lessItEEEE10hipError_tPvRmT0_T1_T2_T3_T4_T5_mmT6_P12ihipStream_tbEUlT_E_NS1_11comp_targetILNS1_3genE3ELNS1_11target_archE908ELNS1_3gpuE7ELNS1_3repE0EEENS1_30default_config_static_selectorELNS0_4arch9wavefront6targetE1EEEvSP_
	.p2align	8
	.type	_ZN7rocprim17ROCPRIM_400000_NS6detail17trampoline_kernelINS0_14default_configENS1_21merge_config_selectorItNS0_10empty_typeEEEZNS1_10merge_implIS3_N6thrust23THRUST_200600_302600_NS6detail15normal_iteratorINS9_10device_ptrIKtEEEESF_NSB_INSC_ItEEEEPS5_SI_SI_NS9_4lessItEEEE10hipError_tPvRmT0_T1_T2_T3_T4_T5_mmT6_P12ihipStream_tbEUlT_E_NS1_11comp_targetILNS1_3genE3ELNS1_11target_archE908ELNS1_3gpuE7ELNS1_3repE0EEENS1_30default_config_static_selectorELNS0_4arch9wavefront6targetE1EEEvSP_,@function
_ZN7rocprim17ROCPRIM_400000_NS6detail17trampoline_kernelINS0_14default_configENS1_21merge_config_selectorItNS0_10empty_typeEEEZNS1_10merge_implIS3_N6thrust23THRUST_200600_302600_NS6detail15normal_iteratorINS9_10device_ptrIKtEEEESF_NSB_INSC_ItEEEEPS5_SI_SI_NS9_4lessItEEEE10hipError_tPvRmT0_T1_T2_T3_T4_T5_mmT6_P12ihipStream_tbEUlT_E_NS1_11comp_targetILNS1_3genE3ELNS1_11target_archE908ELNS1_3gpuE7ELNS1_3repE0EEENS1_30default_config_static_selectorELNS0_4arch9wavefront6targetE1EEEvSP_: ; @_ZN7rocprim17ROCPRIM_400000_NS6detail17trampoline_kernelINS0_14default_configENS1_21merge_config_selectorItNS0_10empty_typeEEEZNS1_10merge_implIS3_N6thrust23THRUST_200600_302600_NS6detail15normal_iteratorINS9_10device_ptrIKtEEEESF_NSB_INSC_ItEEEEPS5_SI_SI_NS9_4lessItEEEE10hipError_tPvRmT0_T1_T2_T3_T4_T5_mmT6_P12ihipStream_tbEUlT_E_NS1_11comp_targetILNS1_3genE3ELNS1_11target_archE908ELNS1_3gpuE7ELNS1_3repE0EEENS1_30default_config_static_selectorELNS0_4arch9wavefront6targetE1EEEvSP_
; %bb.0:
	.section	.rodata,"a",@progbits
	.p2align	6, 0x0
	.amdhsa_kernel _ZN7rocprim17ROCPRIM_400000_NS6detail17trampoline_kernelINS0_14default_configENS1_21merge_config_selectorItNS0_10empty_typeEEEZNS1_10merge_implIS3_N6thrust23THRUST_200600_302600_NS6detail15normal_iteratorINS9_10device_ptrIKtEEEESF_NSB_INSC_ItEEEEPS5_SI_SI_NS9_4lessItEEEE10hipError_tPvRmT0_T1_T2_T3_T4_T5_mmT6_P12ihipStream_tbEUlT_E_NS1_11comp_targetILNS1_3genE3ELNS1_11target_archE908ELNS1_3gpuE7ELNS1_3repE0EEENS1_30default_config_static_selectorELNS0_4arch9wavefront6targetE1EEEvSP_
		.amdhsa_group_segment_fixed_size 0
		.amdhsa_private_segment_fixed_size 0
		.amdhsa_kernarg_size 48
		.amdhsa_user_sgpr_count 6
		.amdhsa_user_sgpr_private_segment_buffer 1
		.amdhsa_user_sgpr_dispatch_ptr 0
		.amdhsa_user_sgpr_queue_ptr 0
		.amdhsa_user_sgpr_kernarg_segment_ptr 1
		.amdhsa_user_sgpr_dispatch_id 0
		.amdhsa_user_sgpr_flat_scratch_init 0
		.amdhsa_user_sgpr_kernarg_preload_length 0
		.amdhsa_user_sgpr_kernarg_preload_offset 0
		.amdhsa_user_sgpr_private_segment_size 0
		.amdhsa_uses_dynamic_stack 0
		.amdhsa_system_sgpr_private_segment_wavefront_offset 0
		.amdhsa_system_sgpr_workgroup_id_x 1
		.amdhsa_system_sgpr_workgroup_id_y 0
		.amdhsa_system_sgpr_workgroup_id_z 0
		.amdhsa_system_sgpr_workgroup_info 0
		.amdhsa_system_vgpr_workitem_id 0
		.amdhsa_next_free_vgpr 1
		.amdhsa_next_free_sgpr 0
		.amdhsa_accum_offset 4
		.amdhsa_reserve_vcc 0
		.amdhsa_reserve_flat_scratch 0
		.amdhsa_float_round_mode_32 0
		.amdhsa_float_round_mode_16_64 0
		.amdhsa_float_denorm_mode_32 3
		.amdhsa_float_denorm_mode_16_64 3
		.amdhsa_dx10_clamp 1
		.amdhsa_ieee_mode 1
		.amdhsa_fp16_overflow 0
		.amdhsa_tg_split 0
		.amdhsa_exception_fp_ieee_invalid_op 0
		.amdhsa_exception_fp_denorm_src 0
		.amdhsa_exception_fp_ieee_div_zero 0
		.amdhsa_exception_fp_ieee_overflow 0
		.amdhsa_exception_fp_ieee_underflow 0
		.amdhsa_exception_fp_ieee_inexact 0
		.amdhsa_exception_int_div_zero 0
	.end_amdhsa_kernel
	.section	.text._ZN7rocprim17ROCPRIM_400000_NS6detail17trampoline_kernelINS0_14default_configENS1_21merge_config_selectorItNS0_10empty_typeEEEZNS1_10merge_implIS3_N6thrust23THRUST_200600_302600_NS6detail15normal_iteratorINS9_10device_ptrIKtEEEESF_NSB_INSC_ItEEEEPS5_SI_SI_NS9_4lessItEEEE10hipError_tPvRmT0_T1_T2_T3_T4_T5_mmT6_P12ihipStream_tbEUlT_E_NS1_11comp_targetILNS1_3genE3ELNS1_11target_archE908ELNS1_3gpuE7ELNS1_3repE0EEENS1_30default_config_static_selectorELNS0_4arch9wavefront6targetE1EEEvSP_,"axG",@progbits,_ZN7rocprim17ROCPRIM_400000_NS6detail17trampoline_kernelINS0_14default_configENS1_21merge_config_selectorItNS0_10empty_typeEEEZNS1_10merge_implIS3_N6thrust23THRUST_200600_302600_NS6detail15normal_iteratorINS9_10device_ptrIKtEEEESF_NSB_INSC_ItEEEEPS5_SI_SI_NS9_4lessItEEEE10hipError_tPvRmT0_T1_T2_T3_T4_T5_mmT6_P12ihipStream_tbEUlT_E_NS1_11comp_targetILNS1_3genE3ELNS1_11target_archE908ELNS1_3gpuE7ELNS1_3repE0EEENS1_30default_config_static_selectorELNS0_4arch9wavefront6targetE1EEEvSP_,comdat
.Lfunc_end173:
	.size	_ZN7rocprim17ROCPRIM_400000_NS6detail17trampoline_kernelINS0_14default_configENS1_21merge_config_selectorItNS0_10empty_typeEEEZNS1_10merge_implIS3_N6thrust23THRUST_200600_302600_NS6detail15normal_iteratorINS9_10device_ptrIKtEEEESF_NSB_INSC_ItEEEEPS5_SI_SI_NS9_4lessItEEEE10hipError_tPvRmT0_T1_T2_T3_T4_T5_mmT6_P12ihipStream_tbEUlT_E_NS1_11comp_targetILNS1_3genE3ELNS1_11target_archE908ELNS1_3gpuE7ELNS1_3repE0EEENS1_30default_config_static_selectorELNS0_4arch9wavefront6targetE1EEEvSP_, .Lfunc_end173-_ZN7rocprim17ROCPRIM_400000_NS6detail17trampoline_kernelINS0_14default_configENS1_21merge_config_selectorItNS0_10empty_typeEEEZNS1_10merge_implIS3_N6thrust23THRUST_200600_302600_NS6detail15normal_iteratorINS9_10device_ptrIKtEEEESF_NSB_INSC_ItEEEEPS5_SI_SI_NS9_4lessItEEEE10hipError_tPvRmT0_T1_T2_T3_T4_T5_mmT6_P12ihipStream_tbEUlT_E_NS1_11comp_targetILNS1_3genE3ELNS1_11target_archE908ELNS1_3gpuE7ELNS1_3repE0EEENS1_30default_config_static_selectorELNS0_4arch9wavefront6targetE1EEEvSP_
                                        ; -- End function
	.section	.AMDGPU.csdata,"",@progbits
; Kernel info:
; codeLenInByte = 0
; NumSgprs: 4
; NumVgprs: 0
; NumAgprs: 0
; TotalNumVgprs: 0
; ScratchSize: 0
; MemoryBound: 0
; FloatMode: 240
; IeeeMode: 1
; LDSByteSize: 0 bytes/workgroup (compile time only)
; SGPRBlocks: 0
; VGPRBlocks: 0
; NumSGPRsForWavesPerEU: 4
; NumVGPRsForWavesPerEU: 1
; AccumOffset: 4
; Occupancy: 8
; WaveLimiterHint : 0
; COMPUTE_PGM_RSRC2:SCRATCH_EN: 0
; COMPUTE_PGM_RSRC2:USER_SGPR: 6
; COMPUTE_PGM_RSRC2:TRAP_HANDLER: 0
; COMPUTE_PGM_RSRC2:TGID_X_EN: 1
; COMPUTE_PGM_RSRC2:TGID_Y_EN: 0
; COMPUTE_PGM_RSRC2:TGID_Z_EN: 0
; COMPUTE_PGM_RSRC2:TIDIG_COMP_CNT: 0
; COMPUTE_PGM_RSRC3_GFX90A:ACCUM_OFFSET: 0
; COMPUTE_PGM_RSRC3_GFX90A:TG_SPLIT: 0
	.section	.text._ZN7rocprim17ROCPRIM_400000_NS6detail17trampoline_kernelINS0_14default_configENS1_21merge_config_selectorItNS0_10empty_typeEEEZNS1_10merge_implIS3_N6thrust23THRUST_200600_302600_NS6detail15normal_iteratorINS9_10device_ptrIKtEEEESF_NSB_INSC_ItEEEEPS5_SI_SI_NS9_4lessItEEEE10hipError_tPvRmT0_T1_T2_T3_T4_T5_mmT6_P12ihipStream_tbEUlT_E_NS1_11comp_targetILNS1_3genE2ELNS1_11target_archE906ELNS1_3gpuE6ELNS1_3repE0EEENS1_30default_config_static_selectorELNS0_4arch9wavefront6targetE1EEEvSP_,"axG",@progbits,_ZN7rocprim17ROCPRIM_400000_NS6detail17trampoline_kernelINS0_14default_configENS1_21merge_config_selectorItNS0_10empty_typeEEEZNS1_10merge_implIS3_N6thrust23THRUST_200600_302600_NS6detail15normal_iteratorINS9_10device_ptrIKtEEEESF_NSB_INSC_ItEEEEPS5_SI_SI_NS9_4lessItEEEE10hipError_tPvRmT0_T1_T2_T3_T4_T5_mmT6_P12ihipStream_tbEUlT_E_NS1_11comp_targetILNS1_3genE2ELNS1_11target_archE906ELNS1_3gpuE6ELNS1_3repE0EEENS1_30default_config_static_selectorELNS0_4arch9wavefront6targetE1EEEvSP_,comdat
	.protected	_ZN7rocprim17ROCPRIM_400000_NS6detail17trampoline_kernelINS0_14default_configENS1_21merge_config_selectorItNS0_10empty_typeEEEZNS1_10merge_implIS3_N6thrust23THRUST_200600_302600_NS6detail15normal_iteratorINS9_10device_ptrIKtEEEESF_NSB_INSC_ItEEEEPS5_SI_SI_NS9_4lessItEEEE10hipError_tPvRmT0_T1_T2_T3_T4_T5_mmT6_P12ihipStream_tbEUlT_E_NS1_11comp_targetILNS1_3genE2ELNS1_11target_archE906ELNS1_3gpuE6ELNS1_3repE0EEENS1_30default_config_static_selectorELNS0_4arch9wavefront6targetE1EEEvSP_ ; -- Begin function _ZN7rocprim17ROCPRIM_400000_NS6detail17trampoline_kernelINS0_14default_configENS1_21merge_config_selectorItNS0_10empty_typeEEEZNS1_10merge_implIS3_N6thrust23THRUST_200600_302600_NS6detail15normal_iteratorINS9_10device_ptrIKtEEEESF_NSB_INSC_ItEEEEPS5_SI_SI_NS9_4lessItEEEE10hipError_tPvRmT0_T1_T2_T3_T4_T5_mmT6_P12ihipStream_tbEUlT_E_NS1_11comp_targetILNS1_3genE2ELNS1_11target_archE906ELNS1_3gpuE6ELNS1_3repE0EEENS1_30default_config_static_selectorELNS0_4arch9wavefront6targetE1EEEvSP_
	.globl	_ZN7rocprim17ROCPRIM_400000_NS6detail17trampoline_kernelINS0_14default_configENS1_21merge_config_selectorItNS0_10empty_typeEEEZNS1_10merge_implIS3_N6thrust23THRUST_200600_302600_NS6detail15normal_iteratorINS9_10device_ptrIKtEEEESF_NSB_INSC_ItEEEEPS5_SI_SI_NS9_4lessItEEEE10hipError_tPvRmT0_T1_T2_T3_T4_T5_mmT6_P12ihipStream_tbEUlT_E_NS1_11comp_targetILNS1_3genE2ELNS1_11target_archE906ELNS1_3gpuE6ELNS1_3repE0EEENS1_30default_config_static_selectorELNS0_4arch9wavefront6targetE1EEEvSP_
	.p2align	8
	.type	_ZN7rocprim17ROCPRIM_400000_NS6detail17trampoline_kernelINS0_14default_configENS1_21merge_config_selectorItNS0_10empty_typeEEEZNS1_10merge_implIS3_N6thrust23THRUST_200600_302600_NS6detail15normal_iteratorINS9_10device_ptrIKtEEEESF_NSB_INSC_ItEEEEPS5_SI_SI_NS9_4lessItEEEE10hipError_tPvRmT0_T1_T2_T3_T4_T5_mmT6_P12ihipStream_tbEUlT_E_NS1_11comp_targetILNS1_3genE2ELNS1_11target_archE906ELNS1_3gpuE6ELNS1_3repE0EEENS1_30default_config_static_selectorELNS0_4arch9wavefront6targetE1EEEvSP_,@function
_ZN7rocprim17ROCPRIM_400000_NS6detail17trampoline_kernelINS0_14default_configENS1_21merge_config_selectorItNS0_10empty_typeEEEZNS1_10merge_implIS3_N6thrust23THRUST_200600_302600_NS6detail15normal_iteratorINS9_10device_ptrIKtEEEESF_NSB_INSC_ItEEEEPS5_SI_SI_NS9_4lessItEEEE10hipError_tPvRmT0_T1_T2_T3_T4_T5_mmT6_P12ihipStream_tbEUlT_E_NS1_11comp_targetILNS1_3genE2ELNS1_11target_archE906ELNS1_3gpuE6ELNS1_3repE0EEENS1_30default_config_static_selectorELNS0_4arch9wavefront6targetE1EEEvSP_: ; @_ZN7rocprim17ROCPRIM_400000_NS6detail17trampoline_kernelINS0_14default_configENS1_21merge_config_selectorItNS0_10empty_typeEEEZNS1_10merge_implIS3_N6thrust23THRUST_200600_302600_NS6detail15normal_iteratorINS9_10device_ptrIKtEEEESF_NSB_INSC_ItEEEEPS5_SI_SI_NS9_4lessItEEEE10hipError_tPvRmT0_T1_T2_T3_T4_T5_mmT6_P12ihipStream_tbEUlT_E_NS1_11comp_targetILNS1_3genE2ELNS1_11target_archE906ELNS1_3gpuE6ELNS1_3repE0EEENS1_30default_config_static_selectorELNS0_4arch9wavefront6targetE1EEEvSP_
; %bb.0:
	.section	.rodata,"a",@progbits
	.p2align	6, 0x0
	.amdhsa_kernel _ZN7rocprim17ROCPRIM_400000_NS6detail17trampoline_kernelINS0_14default_configENS1_21merge_config_selectorItNS0_10empty_typeEEEZNS1_10merge_implIS3_N6thrust23THRUST_200600_302600_NS6detail15normal_iteratorINS9_10device_ptrIKtEEEESF_NSB_INSC_ItEEEEPS5_SI_SI_NS9_4lessItEEEE10hipError_tPvRmT0_T1_T2_T3_T4_T5_mmT6_P12ihipStream_tbEUlT_E_NS1_11comp_targetILNS1_3genE2ELNS1_11target_archE906ELNS1_3gpuE6ELNS1_3repE0EEENS1_30default_config_static_selectorELNS0_4arch9wavefront6targetE1EEEvSP_
		.amdhsa_group_segment_fixed_size 0
		.amdhsa_private_segment_fixed_size 0
		.amdhsa_kernarg_size 48
		.amdhsa_user_sgpr_count 6
		.amdhsa_user_sgpr_private_segment_buffer 1
		.amdhsa_user_sgpr_dispatch_ptr 0
		.amdhsa_user_sgpr_queue_ptr 0
		.amdhsa_user_sgpr_kernarg_segment_ptr 1
		.amdhsa_user_sgpr_dispatch_id 0
		.amdhsa_user_sgpr_flat_scratch_init 0
		.amdhsa_user_sgpr_kernarg_preload_length 0
		.amdhsa_user_sgpr_kernarg_preload_offset 0
		.amdhsa_user_sgpr_private_segment_size 0
		.amdhsa_uses_dynamic_stack 0
		.amdhsa_system_sgpr_private_segment_wavefront_offset 0
		.amdhsa_system_sgpr_workgroup_id_x 1
		.amdhsa_system_sgpr_workgroup_id_y 0
		.amdhsa_system_sgpr_workgroup_id_z 0
		.amdhsa_system_sgpr_workgroup_info 0
		.amdhsa_system_vgpr_workitem_id 0
		.amdhsa_next_free_vgpr 1
		.amdhsa_next_free_sgpr 0
		.amdhsa_accum_offset 4
		.amdhsa_reserve_vcc 0
		.amdhsa_reserve_flat_scratch 0
		.amdhsa_float_round_mode_32 0
		.amdhsa_float_round_mode_16_64 0
		.amdhsa_float_denorm_mode_32 3
		.amdhsa_float_denorm_mode_16_64 3
		.amdhsa_dx10_clamp 1
		.amdhsa_ieee_mode 1
		.amdhsa_fp16_overflow 0
		.amdhsa_tg_split 0
		.amdhsa_exception_fp_ieee_invalid_op 0
		.amdhsa_exception_fp_denorm_src 0
		.amdhsa_exception_fp_ieee_div_zero 0
		.amdhsa_exception_fp_ieee_overflow 0
		.amdhsa_exception_fp_ieee_underflow 0
		.amdhsa_exception_fp_ieee_inexact 0
		.amdhsa_exception_int_div_zero 0
	.end_amdhsa_kernel
	.section	.text._ZN7rocprim17ROCPRIM_400000_NS6detail17trampoline_kernelINS0_14default_configENS1_21merge_config_selectorItNS0_10empty_typeEEEZNS1_10merge_implIS3_N6thrust23THRUST_200600_302600_NS6detail15normal_iteratorINS9_10device_ptrIKtEEEESF_NSB_INSC_ItEEEEPS5_SI_SI_NS9_4lessItEEEE10hipError_tPvRmT0_T1_T2_T3_T4_T5_mmT6_P12ihipStream_tbEUlT_E_NS1_11comp_targetILNS1_3genE2ELNS1_11target_archE906ELNS1_3gpuE6ELNS1_3repE0EEENS1_30default_config_static_selectorELNS0_4arch9wavefront6targetE1EEEvSP_,"axG",@progbits,_ZN7rocprim17ROCPRIM_400000_NS6detail17trampoline_kernelINS0_14default_configENS1_21merge_config_selectorItNS0_10empty_typeEEEZNS1_10merge_implIS3_N6thrust23THRUST_200600_302600_NS6detail15normal_iteratorINS9_10device_ptrIKtEEEESF_NSB_INSC_ItEEEEPS5_SI_SI_NS9_4lessItEEEE10hipError_tPvRmT0_T1_T2_T3_T4_T5_mmT6_P12ihipStream_tbEUlT_E_NS1_11comp_targetILNS1_3genE2ELNS1_11target_archE906ELNS1_3gpuE6ELNS1_3repE0EEENS1_30default_config_static_selectorELNS0_4arch9wavefront6targetE1EEEvSP_,comdat
.Lfunc_end174:
	.size	_ZN7rocprim17ROCPRIM_400000_NS6detail17trampoline_kernelINS0_14default_configENS1_21merge_config_selectorItNS0_10empty_typeEEEZNS1_10merge_implIS3_N6thrust23THRUST_200600_302600_NS6detail15normal_iteratorINS9_10device_ptrIKtEEEESF_NSB_INSC_ItEEEEPS5_SI_SI_NS9_4lessItEEEE10hipError_tPvRmT0_T1_T2_T3_T4_T5_mmT6_P12ihipStream_tbEUlT_E_NS1_11comp_targetILNS1_3genE2ELNS1_11target_archE906ELNS1_3gpuE6ELNS1_3repE0EEENS1_30default_config_static_selectorELNS0_4arch9wavefront6targetE1EEEvSP_, .Lfunc_end174-_ZN7rocprim17ROCPRIM_400000_NS6detail17trampoline_kernelINS0_14default_configENS1_21merge_config_selectorItNS0_10empty_typeEEEZNS1_10merge_implIS3_N6thrust23THRUST_200600_302600_NS6detail15normal_iteratorINS9_10device_ptrIKtEEEESF_NSB_INSC_ItEEEEPS5_SI_SI_NS9_4lessItEEEE10hipError_tPvRmT0_T1_T2_T3_T4_T5_mmT6_P12ihipStream_tbEUlT_E_NS1_11comp_targetILNS1_3genE2ELNS1_11target_archE906ELNS1_3gpuE6ELNS1_3repE0EEENS1_30default_config_static_selectorELNS0_4arch9wavefront6targetE1EEEvSP_
                                        ; -- End function
	.section	.AMDGPU.csdata,"",@progbits
; Kernel info:
; codeLenInByte = 0
; NumSgprs: 4
; NumVgprs: 0
; NumAgprs: 0
; TotalNumVgprs: 0
; ScratchSize: 0
; MemoryBound: 0
; FloatMode: 240
; IeeeMode: 1
; LDSByteSize: 0 bytes/workgroup (compile time only)
; SGPRBlocks: 0
; VGPRBlocks: 0
; NumSGPRsForWavesPerEU: 4
; NumVGPRsForWavesPerEU: 1
; AccumOffset: 4
; Occupancy: 8
; WaveLimiterHint : 0
; COMPUTE_PGM_RSRC2:SCRATCH_EN: 0
; COMPUTE_PGM_RSRC2:USER_SGPR: 6
; COMPUTE_PGM_RSRC2:TRAP_HANDLER: 0
; COMPUTE_PGM_RSRC2:TGID_X_EN: 1
; COMPUTE_PGM_RSRC2:TGID_Y_EN: 0
; COMPUTE_PGM_RSRC2:TGID_Z_EN: 0
; COMPUTE_PGM_RSRC2:TIDIG_COMP_CNT: 0
; COMPUTE_PGM_RSRC3_GFX90A:ACCUM_OFFSET: 0
; COMPUTE_PGM_RSRC3_GFX90A:TG_SPLIT: 0
	.section	.text._ZN7rocprim17ROCPRIM_400000_NS6detail17trampoline_kernelINS0_14default_configENS1_21merge_config_selectorItNS0_10empty_typeEEEZNS1_10merge_implIS3_N6thrust23THRUST_200600_302600_NS6detail15normal_iteratorINS9_10device_ptrIKtEEEESF_NSB_INSC_ItEEEEPS5_SI_SI_NS9_4lessItEEEE10hipError_tPvRmT0_T1_T2_T3_T4_T5_mmT6_P12ihipStream_tbEUlT_E_NS1_11comp_targetILNS1_3genE10ELNS1_11target_archE1201ELNS1_3gpuE5ELNS1_3repE0EEENS1_30default_config_static_selectorELNS0_4arch9wavefront6targetE1EEEvSP_,"axG",@progbits,_ZN7rocprim17ROCPRIM_400000_NS6detail17trampoline_kernelINS0_14default_configENS1_21merge_config_selectorItNS0_10empty_typeEEEZNS1_10merge_implIS3_N6thrust23THRUST_200600_302600_NS6detail15normal_iteratorINS9_10device_ptrIKtEEEESF_NSB_INSC_ItEEEEPS5_SI_SI_NS9_4lessItEEEE10hipError_tPvRmT0_T1_T2_T3_T4_T5_mmT6_P12ihipStream_tbEUlT_E_NS1_11comp_targetILNS1_3genE10ELNS1_11target_archE1201ELNS1_3gpuE5ELNS1_3repE0EEENS1_30default_config_static_selectorELNS0_4arch9wavefront6targetE1EEEvSP_,comdat
	.protected	_ZN7rocprim17ROCPRIM_400000_NS6detail17trampoline_kernelINS0_14default_configENS1_21merge_config_selectorItNS0_10empty_typeEEEZNS1_10merge_implIS3_N6thrust23THRUST_200600_302600_NS6detail15normal_iteratorINS9_10device_ptrIKtEEEESF_NSB_INSC_ItEEEEPS5_SI_SI_NS9_4lessItEEEE10hipError_tPvRmT0_T1_T2_T3_T4_T5_mmT6_P12ihipStream_tbEUlT_E_NS1_11comp_targetILNS1_3genE10ELNS1_11target_archE1201ELNS1_3gpuE5ELNS1_3repE0EEENS1_30default_config_static_selectorELNS0_4arch9wavefront6targetE1EEEvSP_ ; -- Begin function _ZN7rocprim17ROCPRIM_400000_NS6detail17trampoline_kernelINS0_14default_configENS1_21merge_config_selectorItNS0_10empty_typeEEEZNS1_10merge_implIS3_N6thrust23THRUST_200600_302600_NS6detail15normal_iteratorINS9_10device_ptrIKtEEEESF_NSB_INSC_ItEEEEPS5_SI_SI_NS9_4lessItEEEE10hipError_tPvRmT0_T1_T2_T3_T4_T5_mmT6_P12ihipStream_tbEUlT_E_NS1_11comp_targetILNS1_3genE10ELNS1_11target_archE1201ELNS1_3gpuE5ELNS1_3repE0EEENS1_30default_config_static_selectorELNS0_4arch9wavefront6targetE1EEEvSP_
	.globl	_ZN7rocprim17ROCPRIM_400000_NS6detail17trampoline_kernelINS0_14default_configENS1_21merge_config_selectorItNS0_10empty_typeEEEZNS1_10merge_implIS3_N6thrust23THRUST_200600_302600_NS6detail15normal_iteratorINS9_10device_ptrIKtEEEESF_NSB_INSC_ItEEEEPS5_SI_SI_NS9_4lessItEEEE10hipError_tPvRmT0_T1_T2_T3_T4_T5_mmT6_P12ihipStream_tbEUlT_E_NS1_11comp_targetILNS1_3genE10ELNS1_11target_archE1201ELNS1_3gpuE5ELNS1_3repE0EEENS1_30default_config_static_selectorELNS0_4arch9wavefront6targetE1EEEvSP_
	.p2align	8
	.type	_ZN7rocprim17ROCPRIM_400000_NS6detail17trampoline_kernelINS0_14default_configENS1_21merge_config_selectorItNS0_10empty_typeEEEZNS1_10merge_implIS3_N6thrust23THRUST_200600_302600_NS6detail15normal_iteratorINS9_10device_ptrIKtEEEESF_NSB_INSC_ItEEEEPS5_SI_SI_NS9_4lessItEEEE10hipError_tPvRmT0_T1_T2_T3_T4_T5_mmT6_P12ihipStream_tbEUlT_E_NS1_11comp_targetILNS1_3genE10ELNS1_11target_archE1201ELNS1_3gpuE5ELNS1_3repE0EEENS1_30default_config_static_selectorELNS0_4arch9wavefront6targetE1EEEvSP_,@function
_ZN7rocprim17ROCPRIM_400000_NS6detail17trampoline_kernelINS0_14default_configENS1_21merge_config_selectorItNS0_10empty_typeEEEZNS1_10merge_implIS3_N6thrust23THRUST_200600_302600_NS6detail15normal_iteratorINS9_10device_ptrIKtEEEESF_NSB_INSC_ItEEEEPS5_SI_SI_NS9_4lessItEEEE10hipError_tPvRmT0_T1_T2_T3_T4_T5_mmT6_P12ihipStream_tbEUlT_E_NS1_11comp_targetILNS1_3genE10ELNS1_11target_archE1201ELNS1_3gpuE5ELNS1_3repE0EEENS1_30default_config_static_selectorELNS0_4arch9wavefront6targetE1EEEvSP_: ; @_ZN7rocprim17ROCPRIM_400000_NS6detail17trampoline_kernelINS0_14default_configENS1_21merge_config_selectorItNS0_10empty_typeEEEZNS1_10merge_implIS3_N6thrust23THRUST_200600_302600_NS6detail15normal_iteratorINS9_10device_ptrIKtEEEESF_NSB_INSC_ItEEEEPS5_SI_SI_NS9_4lessItEEEE10hipError_tPvRmT0_T1_T2_T3_T4_T5_mmT6_P12ihipStream_tbEUlT_E_NS1_11comp_targetILNS1_3genE10ELNS1_11target_archE1201ELNS1_3gpuE5ELNS1_3repE0EEENS1_30default_config_static_selectorELNS0_4arch9wavefront6targetE1EEEvSP_
; %bb.0:
	.section	.rodata,"a",@progbits
	.p2align	6, 0x0
	.amdhsa_kernel _ZN7rocprim17ROCPRIM_400000_NS6detail17trampoline_kernelINS0_14default_configENS1_21merge_config_selectorItNS0_10empty_typeEEEZNS1_10merge_implIS3_N6thrust23THRUST_200600_302600_NS6detail15normal_iteratorINS9_10device_ptrIKtEEEESF_NSB_INSC_ItEEEEPS5_SI_SI_NS9_4lessItEEEE10hipError_tPvRmT0_T1_T2_T3_T4_T5_mmT6_P12ihipStream_tbEUlT_E_NS1_11comp_targetILNS1_3genE10ELNS1_11target_archE1201ELNS1_3gpuE5ELNS1_3repE0EEENS1_30default_config_static_selectorELNS0_4arch9wavefront6targetE1EEEvSP_
		.amdhsa_group_segment_fixed_size 0
		.amdhsa_private_segment_fixed_size 0
		.amdhsa_kernarg_size 48
		.amdhsa_user_sgpr_count 6
		.amdhsa_user_sgpr_private_segment_buffer 1
		.amdhsa_user_sgpr_dispatch_ptr 0
		.amdhsa_user_sgpr_queue_ptr 0
		.amdhsa_user_sgpr_kernarg_segment_ptr 1
		.amdhsa_user_sgpr_dispatch_id 0
		.amdhsa_user_sgpr_flat_scratch_init 0
		.amdhsa_user_sgpr_kernarg_preload_length 0
		.amdhsa_user_sgpr_kernarg_preload_offset 0
		.amdhsa_user_sgpr_private_segment_size 0
		.amdhsa_uses_dynamic_stack 0
		.amdhsa_system_sgpr_private_segment_wavefront_offset 0
		.amdhsa_system_sgpr_workgroup_id_x 1
		.amdhsa_system_sgpr_workgroup_id_y 0
		.amdhsa_system_sgpr_workgroup_id_z 0
		.amdhsa_system_sgpr_workgroup_info 0
		.amdhsa_system_vgpr_workitem_id 0
		.amdhsa_next_free_vgpr 1
		.amdhsa_next_free_sgpr 0
		.amdhsa_accum_offset 4
		.amdhsa_reserve_vcc 0
		.amdhsa_reserve_flat_scratch 0
		.amdhsa_float_round_mode_32 0
		.amdhsa_float_round_mode_16_64 0
		.amdhsa_float_denorm_mode_32 3
		.amdhsa_float_denorm_mode_16_64 3
		.amdhsa_dx10_clamp 1
		.amdhsa_ieee_mode 1
		.amdhsa_fp16_overflow 0
		.amdhsa_tg_split 0
		.amdhsa_exception_fp_ieee_invalid_op 0
		.amdhsa_exception_fp_denorm_src 0
		.amdhsa_exception_fp_ieee_div_zero 0
		.amdhsa_exception_fp_ieee_overflow 0
		.amdhsa_exception_fp_ieee_underflow 0
		.amdhsa_exception_fp_ieee_inexact 0
		.amdhsa_exception_int_div_zero 0
	.end_amdhsa_kernel
	.section	.text._ZN7rocprim17ROCPRIM_400000_NS6detail17trampoline_kernelINS0_14default_configENS1_21merge_config_selectorItNS0_10empty_typeEEEZNS1_10merge_implIS3_N6thrust23THRUST_200600_302600_NS6detail15normal_iteratorINS9_10device_ptrIKtEEEESF_NSB_INSC_ItEEEEPS5_SI_SI_NS9_4lessItEEEE10hipError_tPvRmT0_T1_T2_T3_T4_T5_mmT6_P12ihipStream_tbEUlT_E_NS1_11comp_targetILNS1_3genE10ELNS1_11target_archE1201ELNS1_3gpuE5ELNS1_3repE0EEENS1_30default_config_static_selectorELNS0_4arch9wavefront6targetE1EEEvSP_,"axG",@progbits,_ZN7rocprim17ROCPRIM_400000_NS6detail17trampoline_kernelINS0_14default_configENS1_21merge_config_selectorItNS0_10empty_typeEEEZNS1_10merge_implIS3_N6thrust23THRUST_200600_302600_NS6detail15normal_iteratorINS9_10device_ptrIKtEEEESF_NSB_INSC_ItEEEEPS5_SI_SI_NS9_4lessItEEEE10hipError_tPvRmT0_T1_T2_T3_T4_T5_mmT6_P12ihipStream_tbEUlT_E_NS1_11comp_targetILNS1_3genE10ELNS1_11target_archE1201ELNS1_3gpuE5ELNS1_3repE0EEENS1_30default_config_static_selectorELNS0_4arch9wavefront6targetE1EEEvSP_,comdat
.Lfunc_end175:
	.size	_ZN7rocprim17ROCPRIM_400000_NS6detail17trampoline_kernelINS0_14default_configENS1_21merge_config_selectorItNS0_10empty_typeEEEZNS1_10merge_implIS3_N6thrust23THRUST_200600_302600_NS6detail15normal_iteratorINS9_10device_ptrIKtEEEESF_NSB_INSC_ItEEEEPS5_SI_SI_NS9_4lessItEEEE10hipError_tPvRmT0_T1_T2_T3_T4_T5_mmT6_P12ihipStream_tbEUlT_E_NS1_11comp_targetILNS1_3genE10ELNS1_11target_archE1201ELNS1_3gpuE5ELNS1_3repE0EEENS1_30default_config_static_selectorELNS0_4arch9wavefront6targetE1EEEvSP_, .Lfunc_end175-_ZN7rocprim17ROCPRIM_400000_NS6detail17trampoline_kernelINS0_14default_configENS1_21merge_config_selectorItNS0_10empty_typeEEEZNS1_10merge_implIS3_N6thrust23THRUST_200600_302600_NS6detail15normal_iteratorINS9_10device_ptrIKtEEEESF_NSB_INSC_ItEEEEPS5_SI_SI_NS9_4lessItEEEE10hipError_tPvRmT0_T1_T2_T3_T4_T5_mmT6_P12ihipStream_tbEUlT_E_NS1_11comp_targetILNS1_3genE10ELNS1_11target_archE1201ELNS1_3gpuE5ELNS1_3repE0EEENS1_30default_config_static_selectorELNS0_4arch9wavefront6targetE1EEEvSP_
                                        ; -- End function
	.section	.AMDGPU.csdata,"",@progbits
; Kernel info:
; codeLenInByte = 0
; NumSgprs: 4
; NumVgprs: 0
; NumAgprs: 0
; TotalNumVgprs: 0
; ScratchSize: 0
; MemoryBound: 0
; FloatMode: 240
; IeeeMode: 1
; LDSByteSize: 0 bytes/workgroup (compile time only)
; SGPRBlocks: 0
; VGPRBlocks: 0
; NumSGPRsForWavesPerEU: 4
; NumVGPRsForWavesPerEU: 1
; AccumOffset: 4
; Occupancy: 8
; WaveLimiterHint : 0
; COMPUTE_PGM_RSRC2:SCRATCH_EN: 0
; COMPUTE_PGM_RSRC2:USER_SGPR: 6
; COMPUTE_PGM_RSRC2:TRAP_HANDLER: 0
; COMPUTE_PGM_RSRC2:TGID_X_EN: 1
; COMPUTE_PGM_RSRC2:TGID_Y_EN: 0
; COMPUTE_PGM_RSRC2:TGID_Z_EN: 0
; COMPUTE_PGM_RSRC2:TIDIG_COMP_CNT: 0
; COMPUTE_PGM_RSRC3_GFX90A:ACCUM_OFFSET: 0
; COMPUTE_PGM_RSRC3_GFX90A:TG_SPLIT: 0
	.section	.text._ZN7rocprim17ROCPRIM_400000_NS6detail17trampoline_kernelINS0_14default_configENS1_21merge_config_selectorItNS0_10empty_typeEEEZNS1_10merge_implIS3_N6thrust23THRUST_200600_302600_NS6detail15normal_iteratorINS9_10device_ptrIKtEEEESF_NSB_INSC_ItEEEEPS5_SI_SI_NS9_4lessItEEEE10hipError_tPvRmT0_T1_T2_T3_T4_T5_mmT6_P12ihipStream_tbEUlT_E_NS1_11comp_targetILNS1_3genE10ELNS1_11target_archE1200ELNS1_3gpuE4ELNS1_3repE0EEENS1_30default_config_static_selectorELNS0_4arch9wavefront6targetE1EEEvSP_,"axG",@progbits,_ZN7rocprim17ROCPRIM_400000_NS6detail17trampoline_kernelINS0_14default_configENS1_21merge_config_selectorItNS0_10empty_typeEEEZNS1_10merge_implIS3_N6thrust23THRUST_200600_302600_NS6detail15normal_iteratorINS9_10device_ptrIKtEEEESF_NSB_INSC_ItEEEEPS5_SI_SI_NS9_4lessItEEEE10hipError_tPvRmT0_T1_T2_T3_T4_T5_mmT6_P12ihipStream_tbEUlT_E_NS1_11comp_targetILNS1_3genE10ELNS1_11target_archE1200ELNS1_3gpuE4ELNS1_3repE0EEENS1_30default_config_static_selectorELNS0_4arch9wavefront6targetE1EEEvSP_,comdat
	.protected	_ZN7rocprim17ROCPRIM_400000_NS6detail17trampoline_kernelINS0_14default_configENS1_21merge_config_selectorItNS0_10empty_typeEEEZNS1_10merge_implIS3_N6thrust23THRUST_200600_302600_NS6detail15normal_iteratorINS9_10device_ptrIKtEEEESF_NSB_INSC_ItEEEEPS5_SI_SI_NS9_4lessItEEEE10hipError_tPvRmT0_T1_T2_T3_T4_T5_mmT6_P12ihipStream_tbEUlT_E_NS1_11comp_targetILNS1_3genE10ELNS1_11target_archE1200ELNS1_3gpuE4ELNS1_3repE0EEENS1_30default_config_static_selectorELNS0_4arch9wavefront6targetE1EEEvSP_ ; -- Begin function _ZN7rocprim17ROCPRIM_400000_NS6detail17trampoline_kernelINS0_14default_configENS1_21merge_config_selectorItNS0_10empty_typeEEEZNS1_10merge_implIS3_N6thrust23THRUST_200600_302600_NS6detail15normal_iteratorINS9_10device_ptrIKtEEEESF_NSB_INSC_ItEEEEPS5_SI_SI_NS9_4lessItEEEE10hipError_tPvRmT0_T1_T2_T3_T4_T5_mmT6_P12ihipStream_tbEUlT_E_NS1_11comp_targetILNS1_3genE10ELNS1_11target_archE1200ELNS1_3gpuE4ELNS1_3repE0EEENS1_30default_config_static_selectorELNS0_4arch9wavefront6targetE1EEEvSP_
	.globl	_ZN7rocprim17ROCPRIM_400000_NS6detail17trampoline_kernelINS0_14default_configENS1_21merge_config_selectorItNS0_10empty_typeEEEZNS1_10merge_implIS3_N6thrust23THRUST_200600_302600_NS6detail15normal_iteratorINS9_10device_ptrIKtEEEESF_NSB_INSC_ItEEEEPS5_SI_SI_NS9_4lessItEEEE10hipError_tPvRmT0_T1_T2_T3_T4_T5_mmT6_P12ihipStream_tbEUlT_E_NS1_11comp_targetILNS1_3genE10ELNS1_11target_archE1200ELNS1_3gpuE4ELNS1_3repE0EEENS1_30default_config_static_selectorELNS0_4arch9wavefront6targetE1EEEvSP_
	.p2align	8
	.type	_ZN7rocprim17ROCPRIM_400000_NS6detail17trampoline_kernelINS0_14default_configENS1_21merge_config_selectorItNS0_10empty_typeEEEZNS1_10merge_implIS3_N6thrust23THRUST_200600_302600_NS6detail15normal_iteratorINS9_10device_ptrIKtEEEESF_NSB_INSC_ItEEEEPS5_SI_SI_NS9_4lessItEEEE10hipError_tPvRmT0_T1_T2_T3_T4_T5_mmT6_P12ihipStream_tbEUlT_E_NS1_11comp_targetILNS1_3genE10ELNS1_11target_archE1200ELNS1_3gpuE4ELNS1_3repE0EEENS1_30default_config_static_selectorELNS0_4arch9wavefront6targetE1EEEvSP_,@function
_ZN7rocprim17ROCPRIM_400000_NS6detail17trampoline_kernelINS0_14default_configENS1_21merge_config_selectorItNS0_10empty_typeEEEZNS1_10merge_implIS3_N6thrust23THRUST_200600_302600_NS6detail15normal_iteratorINS9_10device_ptrIKtEEEESF_NSB_INSC_ItEEEEPS5_SI_SI_NS9_4lessItEEEE10hipError_tPvRmT0_T1_T2_T3_T4_T5_mmT6_P12ihipStream_tbEUlT_E_NS1_11comp_targetILNS1_3genE10ELNS1_11target_archE1200ELNS1_3gpuE4ELNS1_3repE0EEENS1_30default_config_static_selectorELNS0_4arch9wavefront6targetE1EEEvSP_: ; @_ZN7rocprim17ROCPRIM_400000_NS6detail17trampoline_kernelINS0_14default_configENS1_21merge_config_selectorItNS0_10empty_typeEEEZNS1_10merge_implIS3_N6thrust23THRUST_200600_302600_NS6detail15normal_iteratorINS9_10device_ptrIKtEEEESF_NSB_INSC_ItEEEEPS5_SI_SI_NS9_4lessItEEEE10hipError_tPvRmT0_T1_T2_T3_T4_T5_mmT6_P12ihipStream_tbEUlT_E_NS1_11comp_targetILNS1_3genE10ELNS1_11target_archE1200ELNS1_3gpuE4ELNS1_3repE0EEENS1_30default_config_static_selectorELNS0_4arch9wavefront6targetE1EEEvSP_
; %bb.0:
	.section	.rodata,"a",@progbits
	.p2align	6, 0x0
	.amdhsa_kernel _ZN7rocprim17ROCPRIM_400000_NS6detail17trampoline_kernelINS0_14default_configENS1_21merge_config_selectorItNS0_10empty_typeEEEZNS1_10merge_implIS3_N6thrust23THRUST_200600_302600_NS6detail15normal_iteratorINS9_10device_ptrIKtEEEESF_NSB_INSC_ItEEEEPS5_SI_SI_NS9_4lessItEEEE10hipError_tPvRmT0_T1_T2_T3_T4_T5_mmT6_P12ihipStream_tbEUlT_E_NS1_11comp_targetILNS1_3genE10ELNS1_11target_archE1200ELNS1_3gpuE4ELNS1_3repE0EEENS1_30default_config_static_selectorELNS0_4arch9wavefront6targetE1EEEvSP_
		.amdhsa_group_segment_fixed_size 0
		.amdhsa_private_segment_fixed_size 0
		.amdhsa_kernarg_size 48
		.amdhsa_user_sgpr_count 6
		.amdhsa_user_sgpr_private_segment_buffer 1
		.amdhsa_user_sgpr_dispatch_ptr 0
		.amdhsa_user_sgpr_queue_ptr 0
		.amdhsa_user_sgpr_kernarg_segment_ptr 1
		.amdhsa_user_sgpr_dispatch_id 0
		.amdhsa_user_sgpr_flat_scratch_init 0
		.amdhsa_user_sgpr_kernarg_preload_length 0
		.amdhsa_user_sgpr_kernarg_preload_offset 0
		.amdhsa_user_sgpr_private_segment_size 0
		.amdhsa_uses_dynamic_stack 0
		.amdhsa_system_sgpr_private_segment_wavefront_offset 0
		.amdhsa_system_sgpr_workgroup_id_x 1
		.amdhsa_system_sgpr_workgroup_id_y 0
		.amdhsa_system_sgpr_workgroup_id_z 0
		.amdhsa_system_sgpr_workgroup_info 0
		.amdhsa_system_vgpr_workitem_id 0
		.amdhsa_next_free_vgpr 1
		.amdhsa_next_free_sgpr 0
		.amdhsa_accum_offset 4
		.amdhsa_reserve_vcc 0
		.amdhsa_reserve_flat_scratch 0
		.amdhsa_float_round_mode_32 0
		.amdhsa_float_round_mode_16_64 0
		.amdhsa_float_denorm_mode_32 3
		.amdhsa_float_denorm_mode_16_64 3
		.amdhsa_dx10_clamp 1
		.amdhsa_ieee_mode 1
		.amdhsa_fp16_overflow 0
		.amdhsa_tg_split 0
		.amdhsa_exception_fp_ieee_invalid_op 0
		.amdhsa_exception_fp_denorm_src 0
		.amdhsa_exception_fp_ieee_div_zero 0
		.amdhsa_exception_fp_ieee_overflow 0
		.amdhsa_exception_fp_ieee_underflow 0
		.amdhsa_exception_fp_ieee_inexact 0
		.amdhsa_exception_int_div_zero 0
	.end_amdhsa_kernel
	.section	.text._ZN7rocprim17ROCPRIM_400000_NS6detail17trampoline_kernelINS0_14default_configENS1_21merge_config_selectorItNS0_10empty_typeEEEZNS1_10merge_implIS3_N6thrust23THRUST_200600_302600_NS6detail15normal_iteratorINS9_10device_ptrIKtEEEESF_NSB_INSC_ItEEEEPS5_SI_SI_NS9_4lessItEEEE10hipError_tPvRmT0_T1_T2_T3_T4_T5_mmT6_P12ihipStream_tbEUlT_E_NS1_11comp_targetILNS1_3genE10ELNS1_11target_archE1200ELNS1_3gpuE4ELNS1_3repE0EEENS1_30default_config_static_selectorELNS0_4arch9wavefront6targetE1EEEvSP_,"axG",@progbits,_ZN7rocprim17ROCPRIM_400000_NS6detail17trampoline_kernelINS0_14default_configENS1_21merge_config_selectorItNS0_10empty_typeEEEZNS1_10merge_implIS3_N6thrust23THRUST_200600_302600_NS6detail15normal_iteratorINS9_10device_ptrIKtEEEESF_NSB_INSC_ItEEEEPS5_SI_SI_NS9_4lessItEEEE10hipError_tPvRmT0_T1_T2_T3_T4_T5_mmT6_P12ihipStream_tbEUlT_E_NS1_11comp_targetILNS1_3genE10ELNS1_11target_archE1200ELNS1_3gpuE4ELNS1_3repE0EEENS1_30default_config_static_selectorELNS0_4arch9wavefront6targetE1EEEvSP_,comdat
.Lfunc_end176:
	.size	_ZN7rocprim17ROCPRIM_400000_NS6detail17trampoline_kernelINS0_14default_configENS1_21merge_config_selectorItNS0_10empty_typeEEEZNS1_10merge_implIS3_N6thrust23THRUST_200600_302600_NS6detail15normal_iteratorINS9_10device_ptrIKtEEEESF_NSB_INSC_ItEEEEPS5_SI_SI_NS9_4lessItEEEE10hipError_tPvRmT0_T1_T2_T3_T4_T5_mmT6_P12ihipStream_tbEUlT_E_NS1_11comp_targetILNS1_3genE10ELNS1_11target_archE1200ELNS1_3gpuE4ELNS1_3repE0EEENS1_30default_config_static_selectorELNS0_4arch9wavefront6targetE1EEEvSP_, .Lfunc_end176-_ZN7rocprim17ROCPRIM_400000_NS6detail17trampoline_kernelINS0_14default_configENS1_21merge_config_selectorItNS0_10empty_typeEEEZNS1_10merge_implIS3_N6thrust23THRUST_200600_302600_NS6detail15normal_iteratorINS9_10device_ptrIKtEEEESF_NSB_INSC_ItEEEEPS5_SI_SI_NS9_4lessItEEEE10hipError_tPvRmT0_T1_T2_T3_T4_T5_mmT6_P12ihipStream_tbEUlT_E_NS1_11comp_targetILNS1_3genE10ELNS1_11target_archE1200ELNS1_3gpuE4ELNS1_3repE0EEENS1_30default_config_static_selectorELNS0_4arch9wavefront6targetE1EEEvSP_
                                        ; -- End function
	.section	.AMDGPU.csdata,"",@progbits
; Kernel info:
; codeLenInByte = 0
; NumSgprs: 4
; NumVgprs: 0
; NumAgprs: 0
; TotalNumVgprs: 0
; ScratchSize: 0
; MemoryBound: 0
; FloatMode: 240
; IeeeMode: 1
; LDSByteSize: 0 bytes/workgroup (compile time only)
; SGPRBlocks: 0
; VGPRBlocks: 0
; NumSGPRsForWavesPerEU: 4
; NumVGPRsForWavesPerEU: 1
; AccumOffset: 4
; Occupancy: 8
; WaveLimiterHint : 0
; COMPUTE_PGM_RSRC2:SCRATCH_EN: 0
; COMPUTE_PGM_RSRC2:USER_SGPR: 6
; COMPUTE_PGM_RSRC2:TRAP_HANDLER: 0
; COMPUTE_PGM_RSRC2:TGID_X_EN: 1
; COMPUTE_PGM_RSRC2:TGID_Y_EN: 0
; COMPUTE_PGM_RSRC2:TGID_Z_EN: 0
; COMPUTE_PGM_RSRC2:TIDIG_COMP_CNT: 0
; COMPUTE_PGM_RSRC3_GFX90A:ACCUM_OFFSET: 0
; COMPUTE_PGM_RSRC3_GFX90A:TG_SPLIT: 0
	.section	.text._ZN7rocprim17ROCPRIM_400000_NS6detail17trampoline_kernelINS0_14default_configENS1_21merge_config_selectorItNS0_10empty_typeEEEZNS1_10merge_implIS3_N6thrust23THRUST_200600_302600_NS6detail15normal_iteratorINS9_10device_ptrIKtEEEESF_NSB_INSC_ItEEEEPS5_SI_SI_NS9_4lessItEEEE10hipError_tPvRmT0_T1_T2_T3_T4_T5_mmT6_P12ihipStream_tbEUlT_E_NS1_11comp_targetILNS1_3genE9ELNS1_11target_archE1100ELNS1_3gpuE3ELNS1_3repE0EEENS1_30default_config_static_selectorELNS0_4arch9wavefront6targetE1EEEvSP_,"axG",@progbits,_ZN7rocprim17ROCPRIM_400000_NS6detail17trampoline_kernelINS0_14default_configENS1_21merge_config_selectorItNS0_10empty_typeEEEZNS1_10merge_implIS3_N6thrust23THRUST_200600_302600_NS6detail15normal_iteratorINS9_10device_ptrIKtEEEESF_NSB_INSC_ItEEEEPS5_SI_SI_NS9_4lessItEEEE10hipError_tPvRmT0_T1_T2_T3_T4_T5_mmT6_P12ihipStream_tbEUlT_E_NS1_11comp_targetILNS1_3genE9ELNS1_11target_archE1100ELNS1_3gpuE3ELNS1_3repE0EEENS1_30default_config_static_selectorELNS0_4arch9wavefront6targetE1EEEvSP_,comdat
	.protected	_ZN7rocprim17ROCPRIM_400000_NS6detail17trampoline_kernelINS0_14default_configENS1_21merge_config_selectorItNS0_10empty_typeEEEZNS1_10merge_implIS3_N6thrust23THRUST_200600_302600_NS6detail15normal_iteratorINS9_10device_ptrIKtEEEESF_NSB_INSC_ItEEEEPS5_SI_SI_NS9_4lessItEEEE10hipError_tPvRmT0_T1_T2_T3_T4_T5_mmT6_P12ihipStream_tbEUlT_E_NS1_11comp_targetILNS1_3genE9ELNS1_11target_archE1100ELNS1_3gpuE3ELNS1_3repE0EEENS1_30default_config_static_selectorELNS0_4arch9wavefront6targetE1EEEvSP_ ; -- Begin function _ZN7rocprim17ROCPRIM_400000_NS6detail17trampoline_kernelINS0_14default_configENS1_21merge_config_selectorItNS0_10empty_typeEEEZNS1_10merge_implIS3_N6thrust23THRUST_200600_302600_NS6detail15normal_iteratorINS9_10device_ptrIKtEEEESF_NSB_INSC_ItEEEEPS5_SI_SI_NS9_4lessItEEEE10hipError_tPvRmT0_T1_T2_T3_T4_T5_mmT6_P12ihipStream_tbEUlT_E_NS1_11comp_targetILNS1_3genE9ELNS1_11target_archE1100ELNS1_3gpuE3ELNS1_3repE0EEENS1_30default_config_static_selectorELNS0_4arch9wavefront6targetE1EEEvSP_
	.globl	_ZN7rocprim17ROCPRIM_400000_NS6detail17trampoline_kernelINS0_14default_configENS1_21merge_config_selectorItNS0_10empty_typeEEEZNS1_10merge_implIS3_N6thrust23THRUST_200600_302600_NS6detail15normal_iteratorINS9_10device_ptrIKtEEEESF_NSB_INSC_ItEEEEPS5_SI_SI_NS9_4lessItEEEE10hipError_tPvRmT0_T1_T2_T3_T4_T5_mmT6_P12ihipStream_tbEUlT_E_NS1_11comp_targetILNS1_3genE9ELNS1_11target_archE1100ELNS1_3gpuE3ELNS1_3repE0EEENS1_30default_config_static_selectorELNS0_4arch9wavefront6targetE1EEEvSP_
	.p2align	8
	.type	_ZN7rocprim17ROCPRIM_400000_NS6detail17trampoline_kernelINS0_14default_configENS1_21merge_config_selectorItNS0_10empty_typeEEEZNS1_10merge_implIS3_N6thrust23THRUST_200600_302600_NS6detail15normal_iteratorINS9_10device_ptrIKtEEEESF_NSB_INSC_ItEEEEPS5_SI_SI_NS9_4lessItEEEE10hipError_tPvRmT0_T1_T2_T3_T4_T5_mmT6_P12ihipStream_tbEUlT_E_NS1_11comp_targetILNS1_3genE9ELNS1_11target_archE1100ELNS1_3gpuE3ELNS1_3repE0EEENS1_30default_config_static_selectorELNS0_4arch9wavefront6targetE1EEEvSP_,@function
_ZN7rocprim17ROCPRIM_400000_NS6detail17trampoline_kernelINS0_14default_configENS1_21merge_config_selectorItNS0_10empty_typeEEEZNS1_10merge_implIS3_N6thrust23THRUST_200600_302600_NS6detail15normal_iteratorINS9_10device_ptrIKtEEEESF_NSB_INSC_ItEEEEPS5_SI_SI_NS9_4lessItEEEE10hipError_tPvRmT0_T1_T2_T3_T4_T5_mmT6_P12ihipStream_tbEUlT_E_NS1_11comp_targetILNS1_3genE9ELNS1_11target_archE1100ELNS1_3gpuE3ELNS1_3repE0EEENS1_30default_config_static_selectorELNS0_4arch9wavefront6targetE1EEEvSP_: ; @_ZN7rocprim17ROCPRIM_400000_NS6detail17trampoline_kernelINS0_14default_configENS1_21merge_config_selectorItNS0_10empty_typeEEEZNS1_10merge_implIS3_N6thrust23THRUST_200600_302600_NS6detail15normal_iteratorINS9_10device_ptrIKtEEEESF_NSB_INSC_ItEEEEPS5_SI_SI_NS9_4lessItEEEE10hipError_tPvRmT0_T1_T2_T3_T4_T5_mmT6_P12ihipStream_tbEUlT_E_NS1_11comp_targetILNS1_3genE9ELNS1_11target_archE1100ELNS1_3gpuE3ELNS1_3repE0EEENS1_30default_config_static_selectorELNS0_4arch9wavefront6targetE1EEEvSP_
; %bb.0:
	.section	.rodata,"a",@progbits
	.p2align	6, 0x0
	.amdhsa_kernel _ZN7rocprim17ROCPRIM_400000_NS6detail17trampoline_kernelINS0_14default_configENS1_21merge_config_selectorItNS0_10empty_typeEEEZNS1_10merge_implIS3_N6thrust23THRUST_200600_302600_NS6detail15normal_iteratorINS9_10device_ptrIKtEEEESF_NSB_INSC_ItEEEEPS5_SI_SI_NS9_4lessItEEEE10hipError_tPvRmT0_T1_T2_T3_T4_T5_mmT6_P12ihipStream_tbEUlT_E_NS1_11comp_targetILNS1_3genE9ELNS1_11target_archE1100ELNS1_3gpuE3ELNS1_3repE0EEENS1_30default_config_static_selectorELNS0_4arch9wavefront6targetE1EEEvSP_
		.amdhsa_group_segment_fixed_size 0
		.amdhsa_private_segment_fixed_size 0
		.amdhsa_kernarg_size 48
		.amdhsa_user_sgpr_count 6
		.amdhsa_user_sgpr_private_segment_buffer 1
		.amdhsa_user_sgpr_dispatch_ptr 0
		.amdhsa_user_sgpr_queue_ptr 0
		.amdhsa_user_sgpr_kernarg_segment_ptr 1
		.amdhsa_user_sgpr_dispatch_id 0
		.amdhsa_user_sgpr_flat_scratch_init 0
		.amdhsa_user_sgpr_kernarg_preload_length 0
		.amdhsa_user_sgpr_kernarg_preload_offset 0
		.amdhsa_user_sgpr_private_segment_size 0
		.amdhsa_uses_dynamic_stack 0
		.amdhsa_system_sgpr_private_segment_wavefront_offset 0
		.amdhsa_system_sgpr_workgroup_id_x 1
		.amdhsa_system_sgpr_workgroup_id_y 0
		.amdhsa_system_sgpr_workgroup_id_z 0
		.amdhsa_system_sgpr_workgroup_info 0
		.amdhsa_system_vgpr_workitem_id 0
		.amdhsa_next_free_vgpr 1
		.amdhsa_next_free_sgpr 0
		.amdhsa_accum_offset 4
		.amdhsa_reserve_vcc 0
		.amdhsa_reserve_flat_scratch 0
		.amdhsa_float_round_mode_32 0
		.amdhsa_float_round_mode_16_64 0
		.amdhsa_float_denorm_mode_32 3
		.amdhsa_float_denorm_mode_16_64 3
		.amdhsa_dx10_clamp 1
		.amdhsa_ieee_mode 1
		.amdhsa_fp16_overflow 0
		.amdhsa_tg_split 0
		.amdhsa_exception_fp_ieee_invalid_op 0
		.amdhsa_exception_fp_denorm_src 0
		.amdhsa_exception_fp_ieee_div_zero 0
		.amdhsa_exception_fp_ieee_overflow 0
		.amdhsa_exception_fp_ieee_underflow 0
		.amdhsa_exception_fp_ieee_inexact 0
		.amdhsa_exception_int_div_zero 0
	.end_amdhsa_kernel
	.section	.text._ZN7rocprim17ROCPRIM_400000_NS6detail17trampoline_kernelINS0_14default_configENS1_21merge_config_selectorItNS0_10empty_typeEEEZNS1_10merge_implIS3_N6thrust23THRUST_200600_302600_NS6detail15normal_iteratorINS9_10device_ptrIKtEEEESF_NSB_INSC_ItEEEEPS5_SI_SI_NS9_4lessItEEEE10hipError_tPvRmT0_T1_T2_T3_T4_T5_mmT6_P12ihipStream_tbEUlT_E_NS1_11comp_targetILNS1_3genE9ELNS1_11target_archE1100ELNS1_3gpuE3ELNS1_3repE0EEENS1_30default_config_static_selectorELNS0_4arch9wavefront6targetE1EEEvSP_,"axG",@progbits,_ZN7rocprim17ROCPRIM_400000_NS6detail17trampoline_kernelINS0_14default_configENS1_21merge_config_selectorItNS0_10empty_typeEEEZNS1_10merge_implIS3_N6thrust23THRUST_200600_302600_NS6detail15normal_iteratorINS9_10device_ptrIKtEEEESF_NSB_INSC_ItEEEEPS5_SI_SI_NS9_4lessItEEEE10hipError_tPvRmT0_T1_T2_T3_T4_T5_mmT6_P12ihipStream_tbEUlT_E_NS1_11comp_targetILNS1_3genE9ELNS1_11target_archE1100ELNS1_3gpuE3ELNS1_3repE0EEENS1_30default_config_static_selectorELNS0_4arch9wavefront6targetE1EEEvSP_,comdat
.Lfunc_end177:
	.size	_ZN7rocprim17ROCPRIM_400000_NS6detail17trampoline_kernelINS0_14default_configENS1_21merge_config_selectorItNS0_10empty_typeEEEZNS1_10merge_implIS3_N6thrust23THRUST_200600_302600_NS6detail15normal_iteratorINS9_10device_ptrIKtEEEESF_NSB_INSC_ItEEEEPS5_SI_SI_NS9_4lessItEEEE10hipError_tPvRmT0_T1_T2_T3_T4_T5_mmT6_P12ihipStream_tbEUlT_E_NS1_11comp_targetILNS1_3genE9ELNS1_11target_archE1100ELNS1_3gpuE3ELNS1_3repE0EEENS1_30default_config_static_selectorELNS0_4arch9wavefront6targetE1EEEvSP_, .Lfunc_end177-_ZN7rocprim17ROCPRIM_400000_NS6detail17trampoline_kernelINS0_14default_configENS1_21merge_config_selectorItNS0_10empty_typeEEEZNS1_10merge_implIS3_N6thrust23THRUST_200600_302600_NS6detail15normal_iteratorINS9_10device_ptrIKtEEEESF_NSB_INSC_ItEEEEPS5_SI_SI_NS9_4lessItEEEE10hipError_tPvRmT0_T1_T2_T3_T4_T5_mmT6_P12ihipStream_tbEUlT_E_NS1_11comp_targetILNS1_3genE9ELNS1_11target_archE1100ELNS1_3gpuE3ELNS1_3repE0EEENS1_30default_config_static_selectorELNS0_4arch9wavefront6targetE1EEEvSP_
                                        ; -- End function
	.section	.AMDGPU.csdata,"",@progbits
; Kernel info:
; codeLenInByte = 0
; NumSgprs: 4
; NumVgprs: 0
; NumAgprs: 0
; TotalNumVgprs: 0
; ScratchSize: 0
; MemoryBound: 0
; FloatMode: 240
; IeeeMode: 1
; LDSByteSize: 0 bytes/workgroup (compile time only)
; SGPRBlocks: 0
; VGPRBlocks: 0
; NumSGPRsForWavesPerEU: 4
; NumVGPRsForWavesPerEU: 1
; AccumOffset: 4
; Occupancy: 8
; WaveLimiterHint : 0
; COMPUTE_PGM_RSRC2:SCRATCH_EN: 0
; COMPUTE_PGM_RSRC2:USER_SGPR: 6
; COMPUTE_PGM_RSRC2:TRAP_HANDLER: 0
; COMPUTE_PGM_RSRC2:TGID_X_EN: 1
; COMPUTE_PGM_RSRC2:TGID_Y_EN: 0
; COMPUTE_PGM_RSRC2:TGID_Z_EN: 0
; COMPUTE_PGM_RSRC2:TIDIG_COMP_CNT: 0
; COMPUTE_PGM_RSRC3_GFX90A:ACCUM_OFFSET: 0
; COMPUTE_PGM_RSRC3_GFX90A:TG_SPLIT: 0
	.section	.text._ZN7rocprim17ROCPRIM_400000_NS6detail17trampoline_kernelINS0_14default_configENS1_21merge_config_selectorItNS0_10empty_typeEEEZNS1_10merge_implIS3_N6thrust23THRUST_200600_302600_NS6detail15normal_iteratorINS9_10device_ptrIKtEEEESF_NSB_INSC_ItEEEEPS5_SI_SI_NS9_4lessItEEEE10hipError_tPvRmT0_T1_T2_T3_T4_T5_mmT6_P12ihipStream_tbEUlT_E_NS1_11comp_targetILNS1_3genE8ELNS1_11target_archE1030ELNS1_3gpuE2ELNS1_3repE0EEENS1_30default_config_static_selectorELNS0_4arch9wavefront6targetE1EEEvSP_,"axG",@progbits,_ZN7rocprim17ROCPRIM_400000_NS6detail17trampoline_kernelINS0_14default_configENS1_21merge_config_selectorItNS0_10empty_typeEEEZNS1_10merge_implIS3_N6thrust23THRUST_200600_302600_NS6detail15normal_iteratorINS9_10device_ptrIKtEEEESF_NSB_INSC_ItEEEEPS5_SI_SI_NS9_4lessItEEEE10hipError_tPvRmT0_T1_T2_T3_T4_T5_mmT6_P12ihipStream_tbEUlT_E_NS1_11comp_targetILNS1_3genE8ELNS1_11target_archE1030ELNS1_3gpuE2ELNS1_3repE0EEENS1_30default_config_static_selectorELNS0_4arch9wavefront6targetE1EEEvSP_,comdat
	.protected	_ZN7rocprim17ROCPRIM_400000_NS6detail17trampoline_kernelINS0_14default_configENS1_21merge_config_selectorItNS0_10empty_typeEEEZNS1_10merge_implIS3_N6thrust23THRUST_200600_302600_NS6detail15normal_iteratorINS9_10device_ptrIKtEEEESF_NSB_INSC_ItEEEEPS5_SI_SI_NS9_4lessItEEEE10hipError_tPvRmT0_T1_T2_T3_T4_T5_mmT6_P12ihipStream_tbEUlT_E_NS1_11comp_targetILNS1_3genE8ELNS1_11target_archE1030ELNS1_3gpuE2ELNS1_3repE0EEENS1_30default_config_static_selectorELNS0_4arch9wavefront6targetE1EEEvSP_ ; -- Begin function _ZN7rocprim17ROCPRIM_400000_NS6detail17trampoline_kernelINS0_14default_configENS1_21merge_config_selectorItNS0_10empty_typeEEEZNS1_10merge_implIS3_N6thrust23THRUST_200600_302600_NS6detail15normal_iteratorINS9_10device_ptrIKtEEEESF_NSB_INSC_ItEEEEPS5_SI_SI_NS9_4lessItEEEE10hipError_tPvRmT0_T1_T2_T3_T4_T5_mmT6_P12ihipStream_tbEUlT_E_NS1_11comp_targetILNS1_3genE8ELNS1_11target_archE1030ELNS1_3gpuE2ELNS1_3repE0EEENS1_30default_config_static_selectorELNS0_4arch9wavefront6targetE1EEEvSP_
	.globl	_ZN7rocprim17ROCPRIM_400000_NS6detail17trampoline_kernelINS0_14default_configENS1_21merge_config_selectorItNS0_10empty_typeEEEZNS1_10merge_implIS3_N6thrust23THRUST_200600_302600_NS6detail15normal_iteratorINS9_10device_ptrIKtEEEESF_NSB_INSC_ItEEEEPS5_SI_SI_NS9_4lessItEEEE10hipError_tPvRmT0_T1_T2_T3_T4_T5_mmT6_P12ihipStream_tbEUlT_E_NS1_11comp_targetILNS1_3genE8ELNS1_11target_archE1030ELNS1_3gpuE2ELNS1_3repE0EEENS1_30default_config_static_selectorELNS0_4arch9wavefront6targetE1EEEvSP_
	.p2align	8
	.type	_ZN7rocprim17ROCPRIM_400000_NS6detail17trampoline_kernelINS0_14default_configENS1_21merge_config_selectorItNS0_10empty_typeEEEZNS1_10merge_implIS3_N6thrust23THRUST_200600_302600_NS6detail15normal_iteratorINS9_10device_ptrIKtEEEESF_NSB_INSC_ItEEEEPS5_SI_SI_NS9_4lessItEEEE10hipError_tPvRmT0_T1_T2_T3_T4_T5_mmT6_P12ihipStream_tbEUlT_E_NS1_11comp_targetILNS1_3genE8ELNS1_11target_archE1030ELNS1_3gpuE2ELNS1_3repE0EEENS1_30default_config_static_selectorELNS0_4arch9wavefront6targetE1EEEvSP_,@function
_ZN7rocprim17ROCPRIM_400000_NS6detail17trampoline_kernelINS0_14default_configENS1_21merge_config_selectorItNS0_10empty_typeEEEZNS1_10merge_implIS3_N6thrust23THRUST_200600_302600_NS6detail15normal_iteratorINS9_10device_ptrIKtEEEESF_NSB_INSC_ItEEEEPS5_SI_SI_NS9_4lessItEEEE10hipError_tPvRmT0_T1_T2_T3_T4_T5_mmT6_P12ihipStream_tbEUlT_E_NS1_11comp_targetILNS1_3genE8ELNS1_11target_archE1030ELNS1_3gpuE2ELNS1_3repE0EEENS1_30default_config_static_selectorELNS0_4arch9wavefront6targetE1EEEvSP_: ; @_ZN7rocprim17ROCPRIM_400000_NS6detail17trampoline_kernelINS0_14default_configENS1_21merge_config_selectorItNS0_10empty_typeEEEZNS1_10merge_implIS3_N6thrust23THRUST_200600_302600_NS6detail15normal_iteratorINS9_10device_ptrIKtEEEESF_NSB_INSC_ItEEEEPS5_SI_SI_NS9_4lessItEEEE10hipError_tPvRmT0_T1_T2_T3_T4_T5_mmT6_P12ihipStream_tbEUlT_E_NS1_11comp_targetILNS1_3genE8ELNS1_11target_archE1030ELNS1_3gpuE2ELNS1_3repE0EEENS1_30default_config_static_selectorELNS0_4arch9wavefront6targetE1EEEvSP_
; %bb.0:
	.section	.rodata,"a",@progbits
	.p2align	6, 0x0
	.amdhsa_kernel _ZN7rocprim17ROCPRIM_400000_NS6detail17trampoline_kernelINS0_14default_configENS1_21merge_config_selectorItNS0_10empty_typeEEEZNS1_10merge_implIS3_N6thrust23THRUST_200600_302600_NS6detail15normal_iteratorINS9_10device_ptrIKtEEEESF_NSB_INSC_ItEEEEPS5_SI_SI_NS9_4lessItEEEE10hipError_tPvRmT0_T1_T2_T3_T4_T5_mmT6_P12ihipStream_tbEUlT_E_NS1_11comp_targetILNS1_3genE8ELNS1_11target_archE1030ELNS1_3gpuE2ELNS1_3repE0EEENS1_30default_config_static_selectorELNS0_4arch9wavefront6targetE1EEEvSP_
		.amdhsa_group_segment_fixed_size 0
		.amdhsa_private_segment_fixed_size 0
		.amdhsa_kernarg_size 48
		.amdhsa_user_sgpr_count 6
		.amdhsa_user_sgpr_private_segment_buffer 1
		.amdhsa_user_sgpr_dispatch_ptr 0
		.amdhsa_user_sgpr_queue_ptr 0
		.amdhsa_user_sgpr_kernarg_segment_ptr 1
		.amdhsa_user_sgpr_dispatch_id 0
		.amdhsa_user_sgpr_flat_scratch_init 0
		.amdhsa_user_sgpr_kernarg_preload_length 0
		.amdhsa_user_sgpr_kernarg_preload_offset 0
		.amdhsa_user_sgpr_private_segment_size 0
		.amdhsa_uses_dynamic_stack 0
		.amdhsa_system_sgpr_private_segment_wavefront_offset 0
		.amdhsa_system_sgpr_workgroup_id_x 1
		.amdhsa_system_sgpr_workgroup_id_y 0
		.amdhsa_system_sgpr_workgroup_id_z 0
		.amdhsa_system_sgpr_workgroup_info 0
		.amdhsa_system_vgpr_workitem_id 0
		.amdhsa_next_free_vgpr 1
		.amdhsa_next_free_sgpr 0
		.amdhsa_accum_offset 4
		.amdhsa_reserve_vcc 0
		.amdhsa_reserve_flat_scratch 0
		.amdhsa_float_round_mode_32 0
		.amdhsa_float_round_mode_16_64 0
		.amdhsa_float_denorm_mode_32 3
		.amdhsa_float_denorm_mode_16_64 3
		.amdhsa_dx10_clamp 1
		.amdhsa_ieee_mode 1
		.amdhsa_fp16_overflow 0
		.amdhsa_tg_split 0
		.amdhsa_exception_fp_ieee_invalid_op 0
		.amdhsa_exception_fp_denorm_src 0
		.amdhsa_exception_fp_ieee_div_zero 0
		.amdhsa_exception_fp_ieee_overflow 0
		.amdhsa_exception_fp_ieee_underflow 0
		.amdhsa_exception_fp_ieee_inexact 0
		.amdhsa_exception_int_div_zero 0
	.end_amdhsa_kernel
	.section	.text._ZN7rocprim17ROCPRIM_400000_NS6detail17trampoline_kernelINS0_14default_configENS1_21merge_config_selectorItNS0_10empty_typeEEEZNS1_10merge_implIS3_N6thrust23THRUST_200600_302600_NS6detail15normal_iteratorINS9_10device_ptrIKtEEEESF_NSB_INSC_ItEEEEPS5_SI_SI_NS9_4lessItEEEE10hipError_tPvRmT0_T1_T2_T3_T4_T5_mmT6_P12ihipStream_tbEUlT_E_NS1_11comp_targetILNS1_3genE8ELNS1_11target_archE1030ELNS1_3gpuE2ELNS1_3repE0EEENS1_30default_config_static_selectorELNS0_4arch9wavefront6targetE1EEEvSP_,"axG",@progbits,_ZN7rocprim17ROCPRIM_400000_NS6detail17trampoline_kernelINS0_14default_configENS1_21merge_config_selectorItNS0_10empty_typeEEEZNS1_10merge_implIS3_N6thrust23THRUST_200600_302600_NS6detail15normal_iteratorINS9_10device_ptrIKtEEEESF_NSB_INSC_ItEEEEPS5_SI_SI_NS9_4lessItEEEE10hipError_tPvRmT0_T1_T2_T3_T4_T5_mmT6_P12ihipStream_tbEUlT_E_NS1_11comp_targetILNS1_3genE8ELNS1_11target_archE1030ELNS1_3gpuE2ELNS1_3repE0EEENS1_30default_config_static_selectorELNS0_4arch9wavefront6targetE1EEEvSP_,comdat
.Lfunc_end178:
	.size	_ZN7rocprim17ROCPRIM_400000_NS6detail17trampoline_kernelINS0_14default_configENS1_21merge_config_selectorItNS0_10empty_typeEEEZNS1_10merge_implIS3_N6thrust23THRUST_200600_302600_NS6detail15normal_iteratorINS9_10device_ptrIKtEEEESF_NSB_INSC_ItEEEEPS5_SI_SI_NS9_4lessItEEEE10hipError_tPvRmT0_T1_T2_T3_T4_T5_mmT6_P12ihipStream_tbEUlT_E_NS1_11comp_targetILNS1_3genE8ELNS1_11target_archE1030ELNS1_3gpuE2ELNS1_3repE0EEENS1_30default_config_static_selectorELNS0_4arch9wavefront6targetE1EEEvSP_, .Lfunc_end178-_ZN7rocprim17ROCPRIM_400000_NS6detail17trampoline_kernelINS0_14default_configENS1_21merge_config_selectorItNS0_10empty_typeEEEZNS1_10merge_implIS3_N6thrust23THRUST_200600_302600_NS6detail15normal_iteratorINS9_10device_ptrIKtEEEESF_NSB_INSC_ItEEEEPS5_SI_SI_NS9_4lessItEEEE10hipError_tPvRmT0_T1_T2_T3_T4_T5_mmT6_P12ihipStream_tbEUlT_E_NS1_11comp_targetILNS1_3genE8ELNS1_11target_archE1030ELNS1_3gpuE2ELNS1_3repE0EEENS1_30default_config_static_selectorELNS0_4arch9wavefront6targetE1EEEvSP_
                                        ; -- End function
	.section	.AMDGPU.csdata,"",@progbits
; Kernel info:
; codeLenInByte = 0
; NumSgprs: 4
; NumVgprs: 0
; NumAgprs: 0
; TotalNumVgprs: 0
; ScratchSize: 0
; MemoryBound: 0
; FloatMode: 240
; IeeeMode: 1
; LDSByteSize: 0 bytes/workgroup (compile time only)
; SGPRBlocks: 0
; VGPRBlocks: 0
; NumSGPRsForWavesPerEU: 4
; NumVGPRsForWavesPerEU: 1
; AccumOffset: 4
; Occupancy: 8
; WaveLimiterHint : 0
; COMPUTE_PGM_RSRC2:SCRATCH_EN: 0
; COMPUTE_PGM_RSRC2:USER_SGPR: 6
; COMPUTE_PGM_RSRC2:TRAP_HANDLER: 0
; COMPUTE_PGM_RSRC2:TGID_X_EN: 1
; COMPUTE_PGM_RSRC2:TGID_Y_EN: 0
; COMPUTE_PGM_RSRC2:TGID_Z_EN: 0
; COMPUTE_PGM_RSRC2:TIDIG_COMP_CNT: 0
; COMPUTE_PGM_RSRC3_GFX90A:ACCUM_OFFSET: 0
; COMPUTE_PGM_RSRC3_GFX90A:TG_SPLIT: 0
	.section	.text._ZN7rocprim17ROCPRIM_400000_NS6detail17trampoline_kernelINS0_14default_configENS1_21merge_config_selectorItNS0_10empty_typeEEEZNS1_10merge_implIS3_N6thrust23THRUST_200600_302600_NS6detail15normal_iteratorINS9_10device_ptrIKtEEEESF_NSB_INSC_ItEEEEPS5_SI_SI_NS9_4lessItEEEE10hipError_tPvRmT0_T1_T2_T3_T4_T5_mmT6_P12ihipStream_tbEUlT_E0_NS1_11comp_targetILNS1_3genE0ELNS1_11target_archE4294967295ELNS1_3gpuE0ELNS1_3repE0EEENS1_30default_config_static_selectorELNS0_4arch9wavefront6targetE1EEEvSP_,"axG",@progbits,_ZN7rocprim17ROCPRIM_400000_NS6detail17trampoline_kernelINS0_14default_configENS1_21merge_config_selectorItNS0_10empty_typeEEEZNS1_10merge_implIS3_N6thrust23THRUST_200600_302600_NS6detail15normal_iteratorINS9_10device_ptrIKtEEEESF_NSB_INSC_ItEEEEPS5_SI_SI_NS9_4lessItEEEE10hipError_tPvRmT0_T1_T2_T3_T4_T5_mmT6_P12ihipStream_tbEUlT_E0_NS1_11comp_targetILNS1_3genE0ELNS1_11target_archE4294967295ELNS1_3gpuE0ELNS1_3repE0EEENS1_30default_config_static_selectorELNS0_4arch9wavefront6targetE1EEEvSP_,comdat
	.protected	_ZN7rocprim17ROCPRIM_400000_NS6detail17trampoline_kernelINS0_14default_configENS1_21merge_config_selectorItNS0_10empty_typeEEEZNS1_10merge_implIS3_N6thrust23THRUST_200600_302600_NS6detail15normal_iteratorINS9_10device_ptrIKtEEEESF_NSB_INSC_ItEEEEPS5_SI_SI_NS9_4lessItEEEE10hipError_tPvRmT0_T1_T2_T3_T4_T5_mmT6_P12ihipStream_tbEUlT_E0_NS1_11comp_targetILNS1_3genE0ELNS1_11target_archE4294967295ELNS1_3gpuE0ELNS1_3repE0EEENS1_30default_config_static_selectorELNS0_4arch9wavefront6targetE1EEEvSP_ ; -- Begin function _ZN7rocprim17ROCPRIM_400000_NS6detail17trampoline_kernelINS0_14default_configENS1_21merge_config_selectorItNS0_10empty_typeEEEZNS1_10merge_implIS3_N6thrust23THRUST_200600_302600_NS6detail15normal_iteratorINS9_10device_ptrIKtEEEESF_NSB_INSC_ItEEEEPS5_SI_SI_NS9_4lessItEEEE10hipError_tPvRmT0_T1_T2_T3_T4_T5_mmT6_P12ihipStream_tbEUlT_E0_NS1_11comp_targetILNS1_3genE0ELNS1_11target_archE4294967295ELNS1_3gpuE0ELNS1_3repE0EEENS1_30default_config_static_selectorELNS0_4arch9wavefront6targetE1EEEvSP_
	.globl	_ZN7rocprim17ROCPRIM_400000_NS6detail17trampoline_kernelINS0_14default_configENS1_21merge_config_selectorItNS0_10empty_typeEEEZNS1_10merge_implIS3_N6thrust23THRUST_200600_302600_NS6detail15normal_iteratorINS9_10device_ptrIKtEEEESF_NSB_INSC_ItEEEEPS5_SI_SI_NS9_4lessItEEEE10hipError_tPvRmT0_T1_T2_T3_T4_T5_mmT6_P12ihipStream_tbEUlT_E0_NS1_11comp_targetILNS1_3genE0ELNS1_11target_archE4294967295ELNS1_3gpuE0ELNS1_3repE0EEENS1_30default_config_static_selectorELNS0_4arch9wavefront6targetE1EEEvSP_
	.p2align	8
	.type	_ZN7rocprim17ROCPRIM_400000_NS6detail17trampoline_kernelINS0_14default_configENS1_21merge_config_selectorItNS0_10empty_typeEEEZNS1_10merge_implIS3_N6thrust23THRUST_200600_302600_NS6detail15normal_iteratorINS9_10device_ptrIKtEEEESF_NSB_INSC_ItEEEEPS5_SI_SI_NS9_4lessItEEEE10hipError_tPvRmT0_T1_T2_T3_T4_T5_mmT6_P12ihipStream_tbEUlT_E0_NS1_11comp_targetILNS1_3genE0ELNS1_11target_archE4294967295ELNS1_3gpuE0ELNS1_3repE0EEENS1_30default_config_static_selectorELNS0_4arch9wavefront6targetE1EEEvSP_,@function
_ZN7rocprim17ROCPRIM_400000_NS6detail17trampoline_kernelINS0_14default_configENS1_21merge_config_selectorItNS0_10empty_typeEEEZNS1_10merge_implIS3_N6thrust23THRUST_200600_302600_NS6detail15normal_iteratorINS9_10device_ptrIKtEEEESF_NSB_INSC_ItEEEEPS5_SI_SI_NS9_4lessItEEEE10hipError_tPvRmT0_T1_T2_T3_T4_T5_mmT6_P12ihipStream_tbEUlT_E0_NS1_11comp_targetILNS1_3genE0ELNS1_11target_archE4294967295ELNS1_3gpuE0ELNS1_3repE0EEENS1_30default_config_static_selectorELNS0_4arch9wavefront6targetE1EEEvSP_: ; @_ZN7rocprim17ROCPRIM_400000_NS6detail17trampoline_kernelINS0_14default_configENS1_21merge_config_selectorItNS0_10empty_typeEEEZNS1_10merge_implIS3_N6thrust23THRUST_200600_302600_NS6detail15normal_iteratorINS9_10device_ptrIKtEEEESF_NSB_INSC_ItEEEEPS5_SI_SI_NS9_4lessItEEEE10hipError_tPvRmT0_T1_T2_T3_T4_T5_mmT6_P12ihipStream_tbEUlT_E0_NS1_11comp_targetILNS1_3genE0ELNS1_11target_archE4294967295ELNS1_3gpuE0ELNS1_3repE0EEENS1_30default_config_static_selectorELNS0_4arch9wavefront6targetE1EEEvSP_
; %bb.0:
	.section	.rodata,"a",@progbits
	.p2align	6, 0x0
	.amdhsa_kernel _ZN7rocprim17ROCPRIM_400000_NS6detail17trampoline_kernelINS0_14default_configENS1_21merge_config_selectorItNS0_10empty_typeEEEZNS1_10merge_implIS3_N6thrust23THRUST_200600_302600_NS6detail15normal_iteratorINS9_10device_ptrIKtEEEESF_NSB_INSC_ItEEEEPS5_SI_SI_NS9_4lessItEEEE10hipError_tPvRmT0_T1_T2_T3_T4_T5_mmT6_P12ihipStream_tbEUlT_E0_NS1_11comp_targetILNS1_3genE0ELNS1_11target_archE4294967295ELNS1_3gpuE0ELNS1_3repE0EEENS1_30default_config_static_selectorELNS0_4arch9wavefront6targetE1EEEvSP_
		.amdhsa_group_segment_fixed_size 0
		.amdhsa_private_segment_fixed_size 0
		.amdhsa_kernarg_size 88
		.amdhsa_user_sgpr_count 6
		.amdhsa_user_sgpr_private_segment_buffer 1
		.amdhsa_user_sgpr_dispatch_ptr 0
		.amdhsa_user_sgpr_queue_ptr 0
		.amdhsa_user_sgpr_kernarg_segment_ptr 1
		.amdhsa_user_sgpr_dispatch_id 0
		.amdhsa_user_sgpr_flat_scratch_init 0
		.amdhsa_user_sgpr_kernarg_preload_length 0
		.amdhsa_user_sgpr_kernarg_preload_offset 0
		.amdhsa_user_sgpr_private_segment_size 0
		.amdhsa_uses_dynamic_stack 0
		.amdhsa_system_sgpr_private_segment_wavefront_offset 0
		.amdhsa_system_sgpr_workgroup_id_x 1
		.amdhsa_system_sgpr_workgroup_id_y 0
		.amdhsa_system_sgpr_workgroup_id_z 0
		.amdhsa_system_sgpr_workgroup_info 0
		.amdhsa_system_vgpr_workitem_id 0
		.amdhsa_next_free_vgpr 1
		.amdhsa_next_free_sgpr 0
		.amdhsa_accum_offset 4
		.amdhsa_reserve_vcc 0
		.amdhsa_reserve_flat_scratch 0
		.amdhsa_float_round_mode_32 0
		.amdhsa_float_round_mode_16_64 0
		.amdhsa_float_denorm_mode_32 3
		.amdhsa_float_denorm_mode_16_64 3
		.amdhsa_dx10_clamp 1
		.amdhsa_ieee_mode 1
		.amdhsa_fp16_overflow 0
		.amdhsa_tg_split 0
		.amdhsa_exception_fp_ieee_invalid_op 0
		.amdhsa_exception_fp_denorm_src 0
		.amdhsa_exception_fp_ieee_div_zero 0
		.amdhsa_exception_fp_ieee_overflow 0
		.amdhsa_exception_fp_ieee_underflow 0
		.amdhsa_exception_fp_ieee_inexact 0
		.amdhsa_exception_int_div_zero 0
	.end_amdhsa_kernel
	.section	.text._ZN7rocprim17ROCPRIM_400000_NS6detail17trampoline_kernelINS0_14default_configENS1_21merge_config_selectorItNS0_10empty_typeEEEZNS1_10merge_implIS3_N6thrust23THRUST_200600_302600_NS6detail15normal_iteratorINS9_10device_ptrIKtEEEESF_NSB_INSC_ItEEEEPS5_SI_SI_NS9_4lessItEEEE10hipError_tPvRmT0_T1_T2_T3_T4_T5_mmT6_P12ihipStream_tbEUlT_E0_NS1_11comp_targetILNS1_3genE0ELNS1_11target_archE4294967295ELNS1_3gpuE0ELNS1_3repE0EEENS1_30default_config_static_selectorELNS0_4arch9wavefront6targetE1EEEvSP_,"axG",@progbits,_ZN7rocprim17ROCPRIM_400000_NS6detail17trampoline_kernelINS0_14default_configENS1_21merge_config_selectorItNS0_10empty_typeEEEZNS1_10merge_implIS3_N6thrust23THRUST_200600_302600_NS6detail15normal_iteratorINS9_10device_ptrIKtEEEESF_NSB_INSC_ItEEEEPS5_SI_SI_NS9_4lessItEEEE10hipError_tPvRmT0_T1_T2_T3_T4_T5_mmT6_P12ihipStream_tbEUlT_E0_NS1_11comp_targetILNS1_3genE0ELNS1_11target_archE4294967295ELNS1_3gpuE0ELNS1_3repE0EEENS1_30default_config_static_selectorELNS0_4arch9wavefront6targetE1EEEvSP_,comdat
.Lfunc_end179:
	.size	_ZN7rocprim17ROCPRIM_400000_NS6detail17trampoline_kernelINS0_14default_configENS1_21merge_config_selectorItNS0_10empty_typeEEEZNS1_10merge_implIS3_N6thrust23THRUST_200600_302600_NS6detail15normal_iteratorINS9_10device_ptrIKtEEEESF_NSB_INSC_ItEEEEPS5_SI_SI_NS9_4lessItEEEE10hipError_tPvRmT0_T1_T2_T3_T4_T5_mmT6_P12ihipStream_tbEUlT_E0_NS1_11comp_targetILNS1_3genE0ELNS1_11target_archE4294967295ELNS1_3gpuE0ELNS1_3repE0EEENS1_30default_config_static_selectorELNS0_4arch9wavefront6targetE1EEEvSP_, .Lfunc_end179-_ZN7rocprim17ROCPRIM_400000_NS6detail17trampoline_kernelINS0_14default_configENS1_21merge_config_selectorItNS0_10empty_typeEEEZNS1_10merge_implIS3_N6thrust23THRUST_200600_302600_NS6detail15normal_iteratorINS9_10device_ptrIKtEEEESF_NSB_INSC_ItEEEEPS5_SI_SI_NS9_4lessItEEEE10hipError_tPvRmT0_T1_T2_T3_T4_T5_mmT6_P12ihipStream_tbEUlT_E0_NS1_11comp_targetILNS1_3genE0ELNS1_11target_archE4294967295ELNS1_3gpuE0ELNS1_3repE0EEENS1_30default_config_static_selectorELNS0_4arch9wavefront6targetE1EEEvSP_
                                        ; -- End function
	.section	.AMDGPU.csdata,"",@progbits
; Kernel info:
; codeLenInByte = 0
; NumSgprs: 4
; NumVgprs: 0
; NumAgprs: 0
; TotalNumVgprs: 0
; ScratchSize: 0
; MemoryBound: 0
; FloatMode: 240
; IeeeMode: 1
; LDSByteSize: 0 bytes/workgroup (compile time only)
; SGPRBlocks: 0
; VGPRBlocks: 0
; NumSGPRsForWavesPerEU: 4
; NumVGPRsForWavesPerEU: 1
; AccumOffset: 4
; Occupancy: 8
; WaveLimiterHint : 0
; COMPUTE_PGM_RSRC2:SCRATCH_EN: 0
; COMPUTE_PGM_RSRC2:USER_SGPR: 6
; COMPUTE_PGM_RSRC2:TRAP_HANDLER: 0
; COMPUTE_PGM_RSRC2:TGID_X_EN: 1
; COMPUTE_PGM_RSRC2:TGID_Y_EN: 0
; COMPUTE_PGM_RSRC2:TGID_Z_EN: 0
; COMPUTE_PGM_RSRC2:TIDIG_COMP_CNT: 0
; COMPUTE_PGM_RSRC3_GFX90A:ACCUM_OFFSET: 0
; COMPUTE_PGM_RSRC3_GFX90A:TG_SPLIT: 0
	.section	.text._ZN7rocprim17ROCPRIM_400000_NS6detail17trampoline_kernelINS0_14default_configENS1_21merge_config_selectorItNS0_10empty_typeEEEZNS1_10merge_implIS3_N6thrust23THRUST_200600_302600_NS6detail15normal_iteratorINS9_10device_ptrIKtEEEESF_NSB_INSC_ItEEEEPS5_SI_SI_NS9_4lessItEEEE10hipError_tPvRmT0_T1_T2_T3_T4_T5_mmT6_P12ihipStream_tbEUlT_E0_NS1_11comp_targetILNS1_3genE5ELNS1_11target_archE942ELNS1_3gpuE9ELNS1_3repE0EEENS1_30default_config_static_selectorELNS0_4arch9wavefront6targetE1EEEvSP_,"axG",@progbits,_ZN7rocprim17ROCPRIM_400000_NS6detail17trampoline_kernelINS0_14default_configENS1_21merge_config_selectorItNS0_10empty_typeEEEZNS1_10merge_implIS3_N6thrust23THRUST_200600_302600_NS6detail15normal_iteratorINS9_10device_ptrIKtEEEESF_NSB_INSC_ItEEEEPS5_SI_SI_NS9_4lessItEEEE10hipError_tPvRmT0_T1_T2_T3_T4_T5_mmT6_P12ihipStream_tbEUlT_E0_NS1_11comp_targetILNS1_3genE5ELNS1_11target_archE942ELNS1_3gpuE9ELNS1_3repE0EEENS1_30default_config_static_selectorELNS0_4arch9wavefront6targetE1EEEvSP_,comdat
	.protected	_ZN7rocprim17ROCPRIM_400000_NS6detail17trampoline_kernelINS0_14default_configENS1_21merge_config_selectorItNS0_10empty_typeEEEZNS1_10merge_implIS3_N6thrust23THRUST_200600_302600_NS6detail15normal_iteratorINS9_10device_ptrIKtEEEESF_NSB_INSC_ItEEEEPS5_SI_SI_NS9_4lessItEEEE10hipError_tPvRmT0_T1_T2_T3_T4_T5_mmT6_P12ihipStream_tbEUlT_E0_NS1_11comp_targetILNS1_3genE5ELNS1_11target_archE942ELNS1_3gpuE9ELNS1_3repE0EEENS1_30default_config_static_selectorELNS0_4arch9wavefront6targetE1EEEvSP_ ; -- Begin function _ZN7rocprim17ROCPRIM_400000_NS6detail17trampoline_kernelINS0_14default_configENS1_21merge_config_selectorItNS0_10empty_typeEEEZNS1_10merge_implIS3_N6thrust23THRUST_200600_302600_NS6detail15normal_iteratorINS9_10device_ptrIKtEEEESF_NSB_INSC_ItEEEEPS5_SI_SI_NS9_4lessItEEEE10hipError_tPvRmT0_T1_T2_T3_T4_T5_mmT6_P12ihipStream_tbEUlT_E0_NS1_11comp_targetILNS1_3genE5ELNS1_11target_archE942ELNS1_3gpuE9ELNS1_3repE0EEENS1_30default_config_static_selectorELNS0_4arch9wavefront6targetE1EEEvSP_
	.globl	_ZN7rocprim17ROCPRIM_400000_NS6detail17trampoline_kernelINS0_14default_configENS1_21merge_config_selectorItNS0_10empty_typeEEEZNS1_10merge_implIS3_N6thrust23THRUST_200600_302600_NS6detail15normal_iteratorINS9_10device_ptrIKtEEEESF_NSB_INSC_ItEEEEPS5_SI_SI_NS9_4lessItEEEE10hipError_tPvRmT0_T1_T2_T3_T4_T5_mmT6_P12ihipStream_tbEUlT_E0_NS1_11comp_targetILNS1_3genE5ELNS1_11target_archE942ELNS1_3gpuE9ELNS1_3repE0EEENS1_30default_config_static_selectorELNS0_4arch9wavefront6targetE1EEEvSP_
	.p2align	8
	.type	_ZN7rocprim17ROCPRIM_400000_NS6detail17trampoline_kernelINS0_14default_configENS1_21merge_config_selectorItNS0_10empty_typeEEEZNS1_10merge_implIS3_N6thrust23THRUST_200600_302600_NS6detail15normal_iteratorINS9_10device_ptrIKtEEEESF_NSB_INSC_ItEEEEPS5_SI_SI_NS9_4lessItEEEE10hipError_tPvRmT0_T1_T2_T3_T4_T5_mmT6_P12ihipStream_tbEUlT_E0_NS1_11comp_targetILNS1_3genE5ELNS1_11target_archE942ELNS1_3gpuE9ELNS1_3repE0EEENS1_30default_config_static_selectorELNS0_4arch9wavefront6targetE1EEEvSP_,@function
_ZN7rocprim17ROCPRIM_400000_NS6detail17trampoline_kernelINS0_14default_configENS1_21merge_config_selectorItNS0_10empty_typeEEEZNS1_10merge_implIS3_N6thrust23THRUST_200600_302600_NS6detail15normal_iteratorINS9_10device_ptrIKtEEEESF_NSB_INSC_ItEEEEPS5_SI_SI_NS9_4lessItEEEE10hipError_tPvRmT0_T1_T2_T3_T4_T5_mmT6_P12ihipStream_tbEUlT_E0_NS1_11comp_targetILNS1_3genE5ELNS1_11target_archE942ELNS1_3gpuE9ELNS1_3repE0EEENS1_30default_config_static_selectorELNS0_4arch9wavefront6targetE1EEEvSP_: ; @_ZN7rocprim17ROCPRIM_400000_NS6detail17trampoline_kernelINS0_14default_configENS1_21merge_config_selectorItNS0_10empty_typeEEEZNS1_10merge_implIS3_N6thrust23THRUST_200600_302600_NS6detail15normal_iteratorINS9_10device_ptrIKtEEEESF_NSB_INSC_ItEEEEPS5_SI_SI_NS9_4lessItEEEE10hipError_tPvRmT0_T1_T2_T3_T4_T5_mmT6_P12ihipStream_tbEUlT_E0_NS1_11comp_targetILNS1_3genE5ELNS1_11target_archE942ELNS1_3gpuE9ELNS1_3repE0EEENS1_30default_config_static_selectorELNS0_4arch9wavefront6targetE1EEEvSP_
; %bb.0:
	.section	.rodata,"a",@progbits
	.p2align	6, 0x0
	.amdhsa_kernel _ZN7rocprim17ROCPRIM_400000_NS6detail17trampoline_kernelINS0_14default_configENS1_21merge_config_selectorItNS0_10empty_typeEEEZNS1_10merge_implIS3_N6thrust23THRUST_200600_302600_NS6detail15normal_iteratorINS9_10device_ptrIKtEEEESF_NSB_INSC_ItEEEEPS5_SI_SI_NS9_4lessItEEEE10hipError_tPvRmT0_T1_T2_T3_T4_T5_mmT6_P12ihipStream_tbEUlT_E0_NS1_11comp_targetILNS1_3genE5ELNS1_11target_archE942ELNS1_3gpuE9ELNS1_3repE0EEENS1_30default_config_static_selectorELNS0_4arch9wavefront6targetE1EEEvSP_
		.amdhsa_group_segment_fixed_size 0
		.amdhsa_private_segment_fixed_size 0
		.amdhsa_kernarg_size 88
		.amdhsa_user_sgpr_count 6
		.amdhsa_user_sgpr_private_segment_buffer 1
		.amdhsa_user_sgpr_dispatch_ptr 0
		.amdhsa_user_sgpr_queue_ptr 0
		.amdhsa_user_sgpr_kernarg_segment_ptr 1
		.amdhsa_user_sgpr_dispatch_id 0
		.amdhsa_user_sgpr_flat_scratch_init 0
		.amdhsa_user_sgpr_kernarg_preload_length 0
		.amdhsa_user_sgpr_kernarg_preload_offset 0
		.amdhsa_user_sgpr_private_segment_size 0
		.amdhsa_uses_dynamic_stack 0
		.amdhsa_system_sgpr_private_segment_wavefront_offset 0
		.amdhsa_system_sgpr_workgroup_id_x 1
		.amdhsa_system_sgpr_workgroup_id_y 0
		.amdhsa_system_sgpr_workgroup_id_z 0
		.amdhsa_system_sgpr_workgroup_info 0
		.amdhsa_system_vgpr_workitem_id 0
		.amdhsa_next_free_vgpr 1
		.amdhsa_next_free_sgpr 0
		.amdhsa_accum_offset 4
		.amdhsa_reserve_vcc 0
		.amdhsa_reserve_flat_scratch 0
		.amdhsa_float_round_mode_32 0
		.amdhsa_float_round_mode_16_64 0
		.amdhsa_float_denorm_mode_32 3
		.amdhsa_float_denorm_mode_16_64 3
		.amdhsa_dx10_clamp 1
		.amdhsa_ieee_mode 1
		.amdhsa_fp16_overflow 0
		.amdhsa_tg_split 0
		.amdhsa_exception_fp_ieee_invalid_op 0
		.amdhsa_exception_fp_denorm_src 0
		.amdhsa_exception_fp_ieee_div_zero 0
		.amdhsa_exception_fp_ieee_overflow 0
		.amdhsa_exception_fp_ieee_underflow 0
		.amdhsa_exception_fp_ieee_inexact 0
		.amdhsa_exception_int_div_zero 0
	.end_amdhsa_kernel
	.section	.text._ZN7rocprim17ROCPRIM_400000_NS6detail17trampoline_kernelINS0_14default_configENS1_21merge_config_selectorItNS0_10empty_typeEEEZNS1_10merge_implIS3_N6thrust23THRUST_200600_302600_NS6detail15normal_iteratorINS9_10device_ptrIKtEEEESF_NSB_INSC_ItEEEEPS5_SI_SI_NS9_4lessItEEEE10hipError_tPvRmT0_T1_T2_T3_T4_T5_mmT6_P12ihipStream_tbEUlT_E0_NS1_11comp_targetILNS1_3genE5ELNS1_11target_archE942ELNS1_3gpuE9ELNS1_3repE0EEENS1_30default_config_static_selectorELNS0_4arch9wavefront6targetE1EEEvSP_,"axG",@progbits,_ZN7rocprim17ROCPRIM_400000_NS6detail17trampoline_kernelINS0_14default_configENS1_21merge_config_selectorItNS0_10empty_typeEEEZNS1_10merge_implIS3_N6thrust23THRUST_200600_302600_NS6detail15normal_iteratorINS9_10device_ptrIKtEEEESF_NSB_INSC_ItEEEEPS5_SI_SI_NS9_4lessItEEEE10hipError_tPvRmT0_T1_T2_T3_T4_T5_mmT6_P12ihipStream_tbEUlT_E0_NS1_11comp_targetILNS1_3genE5ELNS1_11target_archE942ELNS1_3gpuE9ELNS1_3repE0EEENS1_30default_config_static_selectorELNS0_4arch9wavefront6targetE1EEEvSP_,comdat
.Lfunc_end180:
	.size	_ZN7rocprim17ROCPRIM_400000_NS6detail17trampoline_kernelINS0_14default_configENS1_21merge_config_selectorItNS0_10empty_typeEEEZNS1_10merge_implIS3_N6thrust23THRUST_200600_302600_NS6detail15normal_iteratorINS9_10device_ptrIKtEEEESF_NSB_INSC_ItEEEEPS5_SI_SI_NS9_4lessItEEEE10hipError_tPvRmT0_T1_T2_T3_T4_T5_mmT6_P12ihipStream_tbEUlT_E0_NS1_11comp_targetILNS1_3genE5ELNS1_11target_archE942ELNS1_3gpuE9ELNS1_3repE0EEENS1_30default_config_static_selectorELNS0_4arch9wavefront6targetE1EEEvSP_, .Lfunc_end180-_ZN7rocprim17ROCPRIM_400000_NS6detail17trampoline_kernelINS0_14default_configENS1_21merge_config_selectorItNS0_10empty_typeEEEZNS1_10merge_implIS3_N6thrust23THRUST_200600_302600_NS6detail15normal_iteratorINS9_10device_ptrIKtEEEESF_NSB_INSC_ItEEEEPS5_SI_SI_NS9_4lessItEEEE10hipError_tPvRmT0_T1_T2_T3_T4_T5_mmT6_P12ihipStream_tbEUlT_E0_NS1_11comp_targetILNS1_3genE5ELNS1_11target_archE942ELNS1_3gpuE9ELNS1_3repE0EEENS1_30default_config_static_selectorELNS0_4arch9wavefront6targetE1EEEvSP_
                                        ; -- End function
	.section	.AMDGPU.csdata,"",@progbits
; Kernel info:
; codeLenInByte = 0
; NumSgprs: 4
; NumVgprs: 0
; NumAgprs: 0
; TotalNumVgprs: 0
; ScratchSize: 0
; MemoryBound: 0
; FloatMode: 240
; IeeeMode: 1
; LDSByteSize: 0 bytes/workgroup (compile time only)
; SGPRBlocks: 0
; VGPRBlocks: 0
; NumSGPRsForWavesPerEU: 4
; NumVGPRsForWavesPerEU: 1
; AccumOffset: 4
; Occupancy: 8
; WaveLimiterHint : 0
; COMPUTE_PGM_RSRC2:SCRATCH_EN: 0
; COMPUTE_PGM_RSRC2:USER_SGPR: 6
; COMPUTE_PGM_RSRC2:TRAP_HANDLER: 0
; COMPUTE_PGM_RSRC2:TGID_X_EN: 1
; COMPUTE_PGM_RSRC2:TGID_Y_EN: 0
; COMPUTE_PGM_RSRC2:TGID_Z_EN: 0
; COMPUTE_PGM_RSRC2:TIDIG_COMP_CNT: 0
; COMPUTE_PGM_RSRC3_GFX90A:ACCUM_OFFSET: 0
; COMPUTE_PGM_RSRC3_GFX90A:TG_SPLIT: 0
	.section	.text._ZN7rocprim17ROCPRIM_400000_NS6detail17trampoline_kernelINS0_14default_configENS1_21merge_config_selectorItNS0_10empty_typeEEEZNS1_10merge_implIS3_N6thrust23THRUST_200600_302600_NS6detail15normal_iteratorINS9_10device_ptrIKtEEEESF_NSB_INSC_ItEEEEPS5_SI_SI_NS9_4lessItEEEE10hipError_tPvRmT0_T1_T2_T3_T4_T5_mmT6_P12ihipStream_tbEUlT_E0_NS1_11comp_targetILNS1_3genE4ELNS1_11target_archE910ELNS1_3gpuE8ELNS1_3repE0EEENS1_30default_config_static_selectorELNS0_4arch9wavefront6targetE1EEEvSP_,"axG",@progbits,_ZN7rocprim17ROCPRIM_400000_NS6detail17trampoline_kernelINS0_14default_configENS1_21merge_config_selectorItNS0_10empty_typeEEEZNS1_10merge_implIS3_N6thrust23THRUST_200600_302600_NS6detail15normal_iteratorINS9_10device_ptrIKtEEEESF_NSB_INSC_ItEEEEPS5_SI_SI_NS9_4lessItEEEE10hipError_tPvRmT0_T1_T2_T3_T4_T5_mmT6_P12ihipStream_tbEUlT_E0_NS1_11comp_targetILNS1_3genE4ELNS1_11target_archE910ELNS1_3gpuE8ELNS1_3repE0EEENS1_30default_config_static_selectorELNS0_4arch9wavefront6targetE1EEEvSP_,comdat
	.protected	_ZN7rocprim17ROCPRIM_400000_NS6detail17trampoline_kernelINS0_14default_configENS1_21merge_config_selectorItNS0_10empty_typeEEEZNS1_10merge_implIS3_N6thrust23THRUST_200600_302600_NS6detail15normal_iteratorINS9_10device_ptrIKtEEEESF_NSB_INSC_ItEEEEPS5_SI_SI_NS9_4lessItEEEE10hipError_tPvRmT0_T1_T2_T3_T4_T5_mmT6_P12ihipStream_tbEUlT_E0_NS1_11comp_targetILNS1_3genE4ELNS1_11target_archE910ELNS1_3gpuE8ELNS1_3repE0EEENS1_30default_config_static_selectorELNS0_4arch9wavefront6targetE1EEEvSP_ ; -- Begin function _ZN7rocprim17ROCPRIM_400000_NS6detail17trampoline_kernelINS0_14default_configENS1_21merge_config_selectorItNS0_10empty_typeEEEZNS1_10merge_implIS3_N6thrust23THRUST_200600_302600_NS6detail15normal_iteratorINS9_10device_ptrIKtEEEESF_NSB_INSC_ItEEEEPS5_SI_SI_NS9_4lessItEEEE10hipError_tPvRmT0_T1_T2_T3_T4_T5_mmT6_P12ihipStream_tbEUlT_E0_NS1_11comp_targetILNS1_3genE4ELNS1_11target_archE910ELNS1_3gpuE8ELNS1_3repE0EEENS1_30default_config_static_selectorELNS0_4arch9wavefront6targetE1EEEvSP_
	.globl	_ZN7rocprim17ROCPRIM_400000_NS6detail17trampoline_kernelINS0_14default_configENS1_21merge_config_selectorItNS0_10empty_typeEEEZNS1_10merge_implIS3_N6thrust23THRUST_200600_302600_NS6detail15normal_iteratorINS9_10device_ptrIKtEEEESF_NSB_INSC_ItEEEEPS5_SI_SI_NS9_4lessItEEEE10hipError_tPvRmT0_T1_T2_T3_T4_T5_mmT6_P12ihipStream_tbEUlT_E0_NS1_11comp_targetILNS1_3genE4ELNS1_11target_archE910ELNS1_3gpuE8ELNS1_3repE0EEENS1_30default_config_static_selectorELNS0_4arch9wavefront6targetE1EEEvSP_
	.p2align	8
	.type	_ZN7rocprim17ROCPRIM_400000_NS6detail17trampoline_kernelINS0_14default_configENS1_21merge_config_selectorItNS0_10empty_typeEEEZNS1_10merge_implIS3_N6thrust23THRUST_200600_302600_NS6detail15normal_iteratorINS9_10device_ptrIKtEEEESF_NSB_INSC_ItEEEEPS5_SI_SI_NS9_4lessItEEEE10hipError_tPvRmT0_T1_T2_T3_T4_T5_mmT6_P12ihipStream_tbEUlT_E0_NS1_11comp_targetILNS1_3genE4ELNS1_11target_archE910ELNS1_3gpuE8ELNS1_3repE0EEENS1_30default_config_static_selectorELNS0_4arch9wavefront6targetE1EEEvSP_,@function
_ZN7rocprim17ROCPRIM_400000_NS6detail17trampoline_kernelINS0_14default_configENS1_21merge_config_selectorItNS0_10empty_typeEEEZNS1_10merge_implIS3_N6thrust23THRUST_200600_302600_NS6detail15normal_iteratorINS9_10device_ptrIKtEEEESF_NSB_INSC_ItEEEEPS5_SI_SI_NS9_4lessItEEEE10hipError_tPvRmT0_T1_T2_T3_T4_T5_mmT6_P12ihipStream_tbEUlT_E0_NS1_11comp_targetILNS1_3genE4ELNS1_11target_archE910ELNS1_3gpuE8ELNS1_3repE0EEENS1_30default_config_static_selectorELNS0_4arch9wavefront6targetE1EEEvSP_: ; @_ZN7rocprim17ROCPRIM_400000_NS6detail17trampoline_kernelINS0_14default_configENS1_21merge_config_selectorItNS0_10empty_typeEEEZNS1_10merge_implIS3_N6thrust23THRUST_200600_302600_NS6detail15normal_iteratorINS9_10device_ptrIKtEEEESF_NSB_INSC_ItEEEEPS5_SI_SI_NS9_4lessItEEEE10hipError_tPvRmT0_T1_T2_T3_T4_T5_mmT6_P12ihipStream_tbEUlT_E0_NS1_11comp_targetILNS1_3genE4ELNS1_11target_archE910ELNS1_3gpuE8ELNS1_3repE0EEENS1_30default_config_static_selectorELNS0_4arch9wavefront6targetE1EEEvSP_
; %bb.0:
	s_load_dwordx4 s[0:3], s[4:5], 0x40
	s_load_dwordx8 s[20:27], s[4:5], 0x8
	s_lshl_b32 s28, s6, 12
	s_mov_b32 s31, 0
	s_waitcnt lgkmcnt(0)
	s_mov_b32 s3, s31
	s_add_i32 s29, s2, s0
	s_add_i32 s0, s29, 0xfff
	s_lshr_b32 s0, s0, 12
	s_min_u32 s1, s6, s0
	s_lshl_b32 s1, s1, 2
	s_load_dword s30, s[20:21], s1 offset:0x0
	s_add_i32 s6, s6, 1
	s_min_u32 s0, s6, s0
	s_lshl_b32 s0, s0, 2
	s_load_dword s6, s[20:21], s0 offset:0x0
	s_add_i32 s0, s28, 0x1000
	s_min_u32 s7, s29, s0
	s_waitcnt lgkmcnt(0)
	s_sub_i32 s2, s28, s30
	s_lshl_b64 s[0:1], s[30:31], 1
	s_add_u32 s0, s22, s0
	s_addc_u32 s1, s23, s1
	s_lshl_b64 s[4:5], s[2:3], 1
	s_add_u32 s9, s24, s4
	s_addc_u32 s10, s25, s5
	s_add_i32 s2, s2, s6
	s_sub_i32 s30, s6, s30
	s_sub_i32 s8, s7, s2
	s_add_u32 s2, s8, s30
	s_addc_u32 s3, 0, 0
	v_mov_b32_e32 v1, 0
	v_cmp_le_u32_e32 vcc, s30, v0
	s_and_saveexec_b64 s[4:5], vcc
	s_xor_b64 s[4:5], exec, s[4:5]
	s_cbranch_execz .LBB181_4
; %bb.1:
	v_cmp_gt_u64_e32 vcc, s[2:3], v[0:1]
	s_and_saveexec_b64 s[6:7], vcc
	s_cbranch_execz .LBB181_3
; %bb.2:
	v_mov_b32_e32 v1, s31
	v_subrev_co_u32_e32 v2, vcc, s30, v0
	v_subb_co_u32_e32 v3, vcc, 0, v1, vcc
	v_lshlrev_b64 v[2:3], 1, v[2:3]
	v_mov_b32_e32 v1, s10
	v_add_co_u32_e32 v2, vcc, s9, v2
	v_addc_co_u32_e32 v3, vcc, v1, v3, vcc
	global_load_ushort v1, v[2:3], off
	v_lshlrev_b32_e32 v2, 1, v0
	s_waitcnt vmcnt(0)
	ds_write_b16 v2, v1
.LBB181_3:
	s_or_b64 exec, exec, s[6:7]
.LBB181_4:
	s_or_saveexec_b64 s[4:5], s[4:5]
	v_lshlrev_b32_e32 v1, 1, v0
	s_xor_b64 exec, exec, s[4:5]
	s_cbranch_execz .LBB181_6
; %bb.5:
	global_load_ushort v2, v1, s[0:1]
	s_waitcnt vmcnt(0)
	ds_write_b16 v1, v2
.LBB181_6:
	s_or_b64 exec, exec, s[4:5]
	v_or_b32_e32 v2, 0x100, v0
	v_mov_b32_e32 v3, 0
	v_cmp_le_u32_e32 vcc, s30, v2
	s_and_saveexec_b64 s[4:5], vcc
	s_xor_b64 s[4:5], exec, s[4:5]
	s_cbranch_execz .LBB181_10
; %bb.7:
	v_cmp_gt_u64_e32 vcc, s[2:3], v[2:3]
	s_and_saveexec_b64 s[6:7], vcc
	s_cbranch_execz .LBB181_9
; %bb.8:
	v_mov_b32_e32 v3, s31
	v_subrev_co_u32_e32 v4, vcc, s30, v0
	v_subb_co_u32_e32 v5, vcc, 0, v3, vcc
	v_lshlrev_b64 v[4:5], 1, v[4:5]
	v_mov_b32_e32 v3, s10
	v_add_co_u32_e32 v4, vcc, s9, v4
	v_addc_co_u32_e32 v5, vcc, v3, v5, vcc
	global_load_ushort v3, v[4:5], off offset:512
	s_waitcnt vmcnt(0)
	ds_write_b16 v1, v3 offset:512
.LBB181_9:
	s_or_b64 exec, exec, s[6:7]
.LBB181_10:
	s_andn2_saveexec_b64 s[4:5], s[4:5]
	s_cbranch_execz .LBB181_12
; %bb.11:
	global_load_ushort v3, v1, s[0:1] offset:512
	s_waitcnt vmcnt(0)
	ds_write_b16 v1, v3 offset:512
.LBB181_12:
	s_or_b64 exec, exec, s[4:5]
	v_or_b32_e32 v4, 0x200, v0
	v_mov_b32_e32 v5, 0
	v_cmp_le_u32_e32 vcc, s30, v4
	s_and_saveexec_b64 s[4:5], vcc
	s_xor_b64 s[4:5], exec, s[4:5]
	s_cbranch_execz .LBB181_16
; %bb.13:
	v_cmp_gt_u64_e32 vcc, s[2:3], v[4:5]
	s_and_saveexec_b64 s[6:7], vcc
	s_cbranch_execz .LBB181_15
; %bb.14:
	v_mov_b32_e32 v3, s31
	v_subrev_co_u32_e32 v6, vcc, s30, v0
	v_subb_co_u32_e32 v7, vcc, 0, v3, vcc
	v_lshlrev_b64 v[6:7], 1, v[6:7]
	v_mov_b32_e32 v3, s10
	v_add_co_u32_e32 v6, vcc, s9, v6
	v_addc_co_u32_e32 v7, vcc, v3, v7, vcc
	global_load_ushort v3, v[6:7], off offset:1024
	s_waitcnt vmcnt(0)
	ds_write_b16 v1, v3 offset:1024
.LBB181_15:
	s_or_b64 exec, exec, s[6:7]
.LBB181_16:
	s_andn2_saveexec_b64 s[4:5], s[4:5]
	s_cbranch_execz .LBB181_18
; %bb.17:
	global_load_ushort v3, v1, s[0:1] offset:1024
	s_waitcnt vmcnt(0)
	ds_write_b16 v1, v3 offset:1024
.LBB181_18:
	;; [unrolled: 32-line block ×7, first 2 shown]
	s_or_b64 exec, exec, s[4:5]
	v_or_b32_e32 v16, 0x800, v0
	v_mov_b32_e32 v17, 0
	v_cmp_le_u32_e32 vcc, s30, v16
	s_and_saveexec_b64 s[4:5], vcc
	s_xor_b64 s[4:5], exec, s[4:5]
	s_cbranch_execz .LBB181_52
; %bb.49:
	v_cmp_gt_u64_e32 vcc, s[2:3], v[16:17]
	s_and_saveexec_b64 s[6:7], vcc
	s_cbranch_execz .LBB181_51
; %bb.50:
	v_mov_b32_e32 v3, s31
	v_subrev_co_u32_e32 v18, vcc, s30, v16
	v_subb_co_u32_e32 v19, vcc, 0, v3, vcc
	v_lshlrev_b64 v[18:19], 1, v[18:19]
	v_mov_b32_e32 v3, s10
	v_add_co_u32_e32 v18, vcc, s9, v18
	v_addc_co_u32_e32 v19, vcc, v3, v19, vcc
	global_load_ushort v3, v[18:19], off
	s_waitcnt vmcnt(0)
	ds_write_b16 v1, v3 offset:4096
.LBB181_51:
	s_or_b64 exec, exec, s[6:7]
.LBB181_52:
	s_andn2_saveexec_b64 s[4:5], s[4:5]
	s_cbranch_execz .LBB181_54
; %bb.53:
	v_lshlrev_b32_e32 v3, 1, v16
	global_load_ushort v3, v3, s[0:1]
	s_waitcnt vmcnt(0)
	ds_write_b16 v1, v3 offset:4096
.LBB181_54:
	s_or_b64 exec, exec, s[4:5]
	v_or_b32_e32 v18, 0x900, v0
	v_mov_b32_e32 v19, 0
	v_cmp_le_u32_e32 vcc, s30, v18
	s_and_saveexec_b64 s[4:5], vcc
	s_xor_b64 s[4:5], exec, s[4:5]
	s_cbranch_execz .LBB181_58
; %bb.55:
	v_cmp_gt_u64_e32 vcc, s[2:3], v[18:19]
	s_and_saveexec_b64 s[6:7], vcc
	s_cbranch_execz .LBB181_57
; %bb.56:
	v_mov_b32_e32 v3, s31
	v_subrev_co_u32_e32 v20, vcc, s30, v18
	v_subb_co_u32_e32 v21, vcc, 0, v3, vcc
	v_lshlrev_b64 v[20:21], 1, v[20:21]
	v_mov_b32_e32 v3, s10
	v_add_co_u32_e32 v20, vcc, s9, v20
	v_addc_co_u32_e32 v21, vcc, v3, v21, vcc
	global_load_ushort v3, v[20:21], off
	s_waitcnt vmcnt(0)
	ds_write_b16 v1, v3 offset:4608
.LBB181_57:
	s_or_b64 exec, exec, s[6:7]
.LBB181_58:
	s_andn2_saveexec_b64 s[4:5], s[4:5]
	s_cbranch_execz .LBB181_60
; %bb.59:
	v_lshlrev_b32_e32 v3, 1, v18
	global_load_ushort v3, v3, s[0:1]
	s_waitcnt vmcnt(0)
	ds_write_b16 v1, v3 offset:4608
.LBB181_60:
	;; [unrolled: 33-line block ×8, first 2 shown]
	s_or_b64 exec, exec, s[2:3]
	v_lshlrev_b32_e32 v3, 4, v0
	v_sub_u32_e64 v9, v3, s8 clamp
	v_min_u32_e32 v5, s30, v3
	v_cmp_lt_u32_e32 vcc, v9, v5
	s_waitcnt lgkmcnt(0)
	s_barrier
	s_and_saveexec_b64 s[0:1], vcc
	s_cbranch_execz .LBB181_100
; %bb.97:
	v_lshlrev_b32_e32 v7, 1, v3
	v_lshl_add_u32 v7, s30, 1, v7
	s_mov_b64 s[2:3], 0
.LBB181_98:                             ; =>This Inner Loop Header: Depth=1
	v_add_u32_e32 v11, v5, v9
	v_lshrrev_b32_e32 v13, 1, v11
	v_not_b32_e32 v15, v13
	v_and_b32_e32 v11, -2, v11
	v_lshl_add_u32 v15, v15, 1, v7
	ds_read_u16 v11, v11
	ds_read_u16 v15, v15
	v_add_u32_e32 v17, 1, v13
	s_waitcnt lgkmcnt(0)
	v_cmp_lt_u16_e32 vcc, v15, v11
	v_cndmask_b32_e32 v5, v5, v13, vcc
	v_cndmask_b32_e32 v9, v17, v9, vcc
	v_cmp_ge_u32_e32 vcc, v9, v5
	s_or_b64 s[2:3], vcc, s[2:3]
	s_andn2_b64 exec, exec, s[2:3]
	s_cbranch_execnz .LBB181_98
; %bb.99:
	s_or_b64 exec, exec, s[2:3]
.LBB181_100:
	s_or_b64 exec, exec, s[0:1]
	v_add_u32_e32 v5, s30, v3
	s_add_i32 s31, s8, s30
	v_sub_u32_e32 v11, v5, v9
	v_cmp_ge_u32_e32 vcc, s30, v9
	v_cmp_ge_u32_e64 s[0:1], s31, v11
	s_or_b64 s[0:1], vcc, s[0:1]
                                        ; implicit-def: $vgpr5
                                        ; implicit-def: $vgpr7
                                        ; implicit-def: $vgpr13
                                        ; implicit-def: $vgpr15
                                        ; implicit-def: $vgpr17
                                        ; implicit-def: $vgpr19
                                        ; implicit-def: $vgpr21
                                        ; implicit-def: $vgpr23
	s_and_saveexec_b64 s[34:35], s[0:1]
	s_cbranch_execz .LBB181_106
; %bb.101:
	v_cmp_gt_u32_e32 vcc, s30, v9
                                        ; implicit-def: $vgpr5
	s_and_saveexec_b64 s[0:1], vcc
	s_cbranch_execz .LBB181_103
; %bb.102:
	v_lshlrev_b32_e32 v5, 1, v9
	ds_read_u16 v5, v5
.LBB181_103:
	s_or_b64 exec, exec, s[0:1]
	v_cmp_le_u32_e64 s[0:1], s31, v11
	v_cmp_gt_u32_e64 s[2:3], s31, v11
                                        ; implicit-def: $vgpr7
	s_and_saveexec_b64 s[4:5], s[2:3]
	s_cbranch_execz .LBB181_105
; %bb.104:
	v_lshlrev_b32_e32 v7, 1, v11
	ds_read_u16 v7, v7
.LBB181_105:
	s_or_b64 exec, exec, s[4:5]
	s_waitcnt lgkmcnt(0)
	v_cmp_ge_u16_e64 s[2:3], v7, v5
	s_and_b64 s[2:3], vcc, s[2:3]
	s_or_b64 vcc, s[0:1], s[2:3]
	v_mov_b32_e32 v15, s31
	v_mov_b32_e32 v17, s30
	v_cndmask_b32_e32 v13, v11, v9, vcc
	v_cndmask_b32_e32 v19, v15, v17, vcc
	v_add_u32_e32 v13, 1, v13
	v_add_u32_e32 v19, -1, v19
	v_min_u32_e32 v19, v13, v19
	v_lshlrev_b32_e32 v19, 1, v19
	ds_read_u16 v19, v19
	v_cndmask_b32_e32 v9, v9, v13, vcc
	v_cndmask_b32_e32 v11, v13, v11, vcc
	v_cmp_gt_u32_e64 s[2:3], s30, v9
	v_cmp_le_u32_e64 s[0:1], s31, v11
	s_waitcnt lgkmcnt(0)
	v_cndmask_b32_e32 v21, v19, v7, vcc
	v_cndmask_b32_e32 v19, v5, v19, vcc
	v_cmp_ge_u16_e64 s[4:5], v21, v19
	s_and_b64 s[2:3], s[2:3], s[4:5]
	s_or_b64 s[0:1], s[0:1], s[2:3]
	v_cndmask_b32_e64 v13, v11, v9, s[0:1]
	v_cndmask_b32_e64 v23, v15, v17, s[0:1]
	v_add_u32_e32 v13, 1, v13
	v_add_u32_e32 v23, -1, v23
	v_min_u32_e32 v23, v13, v23
	v_lshlrev_b32_e32 v23, 1, v23
	ds_read_u16 v23, v23
	v_cndmask_b32_e64 v9, v9, v13, s[0:1]
	v_cndmask_b32_e64 v11, v13, v11, s[0:1]
	v_cmp_gt_u32_e64 s[4:5], s30, v9
	v_cmp_le_u32_e64 s[2:3], s31, v11
	s_waitcnt lgkmcnt(0)
	v_cndmask_b32_e64 v25, v23, v21, s[0:1]
	v_cndmask_b32_e64 v23, v19, v23, s[0:1]
	v_cmp_ge_u16_e64 s[6:7], v25, v23
	s_and_b64 s[4:5], s[4:5], s[6:7]
	s_or_b64 s[4:5], s[2:3], s[4:5]
	v_cndmask_b32_e64 v13, v11, v9, s[4:5]
	v_cndmask_b32_e64 v27, v15, v17, s[4:5]
	v_add_u32_e32 v13, 1, v13
	v_add_u32_e32 v27, -1, v27
	v_min_u32_e32 v27, v13, v27
	v_lshlrev_b32_e32 v27, 1, v27
	ds_read_u16 v27, v27
	v_cndmask_b32_e64 v9, v9, v13, s[4:5]
	v_cndmask_b32_e64 v11, v13, v11, s[4:5]
	v_cmp_gt_u32_e64 s[6:7], s30, v9
	v_cmp_le_u32_e64 s[2:3], s31, v11
	s_waitcnt lgkmcnt(0)
	v_cndmask_b32_e64 v29, v27, v25, s[4:5]
	v_cndmask_b32_e64 v27, v23, v27, s[4:5]
	;; [unrolled: 17-line block ×10, first 2 shown]
	v_cmp_ge_u16_e64 s[24:25], v46, v45
	s_and_b64 s[22:23], s[22:23], s[24:25]
	s_or_b64 s[20:21], s[20:21], s[22:23]
	v_cndmask_b32_e64 v13, v11, v9, s[20:21]
	v_cndmask_b32_e64 v47, v15, v17, s[20:21]
	v_add_u32_e32 v13, 1, v13
	v_add_u32_e32 v47, -1, v47
	v_min_u32_e32 v47, v13, v47
	v_lshlrev_b32_e32 v47, 1, v47
	ds_read_u16 v47, v47
	v_cndmask_b32_e32 v5, v7, v5, vcc
	v_cndmask_b32_e64 v7, v21, v19, s[0:1]
	v_cndmask_b32_e64 v19, v25, v23, s[4:5]
	v_cndmask_b32_e64 v9, v9, v13, s[20:21]
	s_waitcnt lgkmcnt(0)
	v_cndmask_b32_e64 v21, v47, v46, s[20:21]
	v_cndmask_b32_e64 v23, v45, v47, s[20:21]
	;; [unrolled: 1-line block ×3, first 2 shown]
	v_cmp_gt_u32_e64 s[0:1], s30, v9
	v_cmp_ge_u16_e64 s[4:5], v21, v23
	v_cmp_le_u32_e32 vcc, s31, v11
	s_and_b64 s[0:1], s[0:1], s[4:5]
	s_or_b64 vcc, vcc, s[0:1]
	v_cndmask_b32_e32 v13, v11, v9, vcc
	v_cndmask_b32_e32 v25, v15, v17, vcc
	v_add_u32_e32 v13, 1, v13
	v_add_u32_e32 v25, -1, v25
	v_min_u32_e32 v25, v13, v25
	v_lshlrev_b32_e32 v25, 1, v25
	ds_read_u16 v25, v25
	v_cndmask_b32_e64 v27, v29, v27, s[2:3]
	v_cndmask_b32_e64 v29, v32, v31, s[6:7]
	;; [unrolled: 1-line block ×3, first 2 shown]
	v_cndmask_b32_e32 v9, v9, v13, vcc
	s_waitcnt lgkmcnt(0)
	v_cndmask_b32_e32 v33, v25, v21, vcc
	v_cndmask_b32_e32 v25, v23, v25, vcc
	;; [unrolled: 1-line block ×3, first 2 shown]
	v_cmp_gt_u32_e64 s[2:3], s30, v9
	v_cmp_ge_u16_e64 s[4:5], v33, v25
	v_cmp_le_u32_e64 s[0:1], s31, v11
	s_and_b64 s[2:3], s[2:3], s[4:5]
	s_or_b64 s[0:1], s[0:1], s[2:3]
	v_cndmask_b32_e64 v13, v11, v9, s[0:1]
	v_cndmask_b32_e64 v34, v15, v17, s[0:1]
	v_add_u32_e32 v13, 1, v13
	v_add_u32_e32 v34, -1, v34
	v_min_u32_e32 v34, v13, v34
	v_lshlrev_b32_e32 v34, 1, v34
	ds_read_u16 v34, v34
	v_cndmask_b32_e64 v32, v36, v35, s[12:13]
	v_cndmask_b32_e64 v36, v40, v39, s[14:15]
	;; [unrolled: 1-line block ×4, first 2 shown]
	s_waitcnt lgkmcnt(0)
	v_cndmask_b32_e64 v39, v34, v33, s[0:1]
	v_cndmask_b32_e64 v34, v25, v34, s[0:1]
	v_cmp_gt_u32_e64 s[4:5], s30, v9
	v_cmp_ge_u16_e64 s[6:7], v39, v34
	v_cmp_le_u32_e64 s[2:3], s31, v11
	s_and_b64 s[4:5], s[4:5], s[6:7]
	s_or_b64 s[2:3], s[2:3], s[4:5]
	v_cndmask_b32_e64 v13, v11, v9, s[2:3]
	v_cndmask_b32_e64 v15, v15, v17, s[2:3]
	v_add_u32_e32 v13, 1, v13
	v_add_u32_e32 v15, -1, v15
	v_min_u32_e32 v15, v13, v15
	v_lshlrev_b32_e32 v15, 1, v15
	ds_read_u16 v15, v15
	v_cndmask_b32_e64 v9, v9, v13, s[2:3]
	v_cndmask_b32_e64 v25, v33, v25, s[0:1]
	;; [unrolled: 1-line block ×4, first 2 shown]
	s_waitcnt lgkmcnt(0)
	v_cndmask_b32_e64 v17, v15, v39, s[2:3]
	v_cndmask_b32_e64 v15, v34, v15, s[2:3]
	v_cmp_gt_u32_e64 s[0:1], s30, v9
	v_cmp_ge_u16_e64 s[2:3], v17, v15
	v_cndmask_b32_e64 v35, v38, v37, s[10:11]
	v_cndmask_b32_e64 v37, v42, v41, s[16:17]
	v_cndmask_b32_e32 v41, v21, v23, vcc
	v_cmp_le_u32_e32 vcc, s31, v11
	s_and_b64 s[0:1], s[0:1], s[2:3]
	s_or_b64 vcc, vcc, s[0:1]
	v_cndmask_b32_e64 v38, v44, v43, s[18:19]
	v_cndmask_b32_e64 v40, v46, v45, s[20:21]
	v_cndmask_b32_e32 v9, v17, v15, vcc
	s_mov_b32 s0, 0x5040100
	v_perm_b32 v23, v7, v5, s0
	v_perm_b32 v21, v27, v19, s0
	;; [unrolled: 1-line block ×8, first 2 shown]
.LBB181_106:
	s_or_b64 exec, exec, s[34:35]
	s_sub_i32 s6, s29, s28
	s_mov_b32 s29, 0
	s_lshl_b64 s[0:1], s[28:29], 1
	s_add_u32 s0, s26, s0
	v_and_b32_e32 v9, 0xfc, v0
	s_addc_u32 s1, s27, s1
	v_lshl_add_u32 v3, v3, 1, v9
	s_cmpk_gt_u32 s6, 0xfff
	s_barrier
	ds_write2_b32 v3, v23, v21 offset1:1
	ds_write2_b32 v3, v19, v17 offset0:2 offset1:3
	ds_write2_b32 v3, v15, v13 offset0:4 offset1:5
	;; [unrolled: 1-line block ×3, first 2 shown]
	v_lshrrev_b32_e32 v32, 5, v2
	v_lshrrev_b32_e32 v31, 5, v4
	;; [unrolled: 1-line block ×15, first 2 shown]
	s_waitcnt lgkmcnt(0)
	s_cbranch_scc0 .LBB181_108
; %bb.107:
	v_lshrrev_b32_e32 v3, 5, v0
	v_and_b32_e32 v3, 6, v3
	v_and_b32_e32 v33, 14, v32
	;; [unrolled: 1-line block ×8, first 2 shown]
	v_add_lshl_u32 v3, v3, v0, 1
	v_add_lshl_u32 v33, v33, v0, 1
	;; [unrolled: 1-line block ×8, first 2 shown]
	s_barrier
	ds_read_u16 v40, v3
	ds_read_u16 v33, v33 offset:512
	ds_read_u16 v34, v34 offset:1024
	;; [unrolled: 1-line block ×7, first 2 shown]
	v_and_b32_e32 v3, 0x5e, v19
	v_and_b32_e32 v41, 0x7e, v17
	;; [unrolled: 1-line block ×8, first 2 shown]
	v_add_lshl_u32 v3, v3, v0, 1
	v_add_lshl_u32 v41, v41, v0, 1
	;; [unrolled: 1-line block ×8, first 2 shown]
	ds_read_u16 v48, v3 offset:4096
	ds_read_u16 v41, v41 offset:4608
	;; [unrolled: 1-line block ×8, first 2 shown]
	v_mov_b32_e32 v47, s1
	v_add_co_u32_e32 v49, vcc, s0, v1
	v_addc_co_u32_e32 v47, vcc, 0, v47, vcc
	s_waitcnt lgkmcnt(14)
	global_store_short v1, v40, s[0:1]
	global_store_short v1, v33, s[0:1] offset:512
	s_waitcnt lgkmcnt(13)
	global_store_short v1, v34, s[0:1] offset:1024
	s_waitcnt lgkmcnt(12)
	;; [unrolled: 2-line block ×6, first 2 shown]
	global_store_short v1, v39, s[0:1] offset:3584
	v_add_co_u32_e32 v34, vcc, 0x1000, v49
	v_addc_co_u32_e32 v35, vcc, 0, v47, vcc
	s_waitcnt lgkmcnt(7)
	global_store_short v[34:35], v48, off
	s_waitcnt lgkmcnt(6)
	global_store_short v[34:35], v41, off offset:512
	s_waitcnt lgkmcnt(5)
	global_store_short v[34:35], v42, off offset:1024
	;; [unrolled: 2-line block ×6, first 2 shown]
	s_mov_b64 s[2:3], -1
	s_cbranch_execz .LBB181_109
	s_branch .LBB181_126
.LBB181_108:
	s_mov_b64 s[2:3], 0
                                        ; implicit-def: $vgpr3
.LBB181_109:
	s_waitcnt lgkmcnt(0)
	v_and_b32_e32 v3, 14, v32
	v_and_b32_e32 v31, 30, v31
	;; [unrolled: 1-line block ×8, first 2 shown]
	v_add_lshl_u32 v3, v3, v0, 1
	v_add_lshl_u32 v31, v31, v0, 1
	;; [unrolled: 1-line block ×8, first 2 shown]
	s_barrier
	ds_read_u16 v34, v3 offset:512
	ds_read_u16 v31, v31 offset:1024
	;; [unrolled: 1-line block ×8, first 2 shown]
	v_and_b32_e32 v3, 0x7e, v17
	v_add_lshl_u32 v3, v3, v0, 1
	v_and_b32_e32 v15, 0x7e, v15
	v_and_b32_e32 v13, 0x7e, v13
	;; [unrolled: 1-line block ×6, first 2 shown]
	v_add_lshl_u32 v17, v15, v0, 1
	v_add_lshl_u32 v32, v13, v0, 1
	;; [unrolled: 1-line block ×6, first 2 shown]
	ds_read_u16 v15, v3 offset:4608
	ds_read_u16 v13, v17 offset:5120
	;; [unrolled: 1-line block ×7, first 2 shown]
	v_mov_b32_e32 v17, s1
	v_add_co_u32_e32 v32, vcc, s0, v1
	v_addc_co_u32_e32 v33, vcc, 0, v17, vcc
	v_cmp_gt_u32_e32 vcc, s6, v0
	s_and_saveexec_b64 s[2:3], vcc
	s_cbranch_execnz .LBB181_129
; %bb.110:
	s_or_b64 exec, exec, s[2:3]
	v_cmp_gt_u32_e32 vcc, s6, v2
	s_and_saveexec_b64 s[2:3], vcc
	s_cbranch_execnz .LBB181_130
.LBB181_111:
	s_or_b64 exec, exec, s[2:3]
	v_cmp_gt_u32_e32 vcc, s6, v4
	s_and_saveexec_b64 s[2:3], vcc
	s_cbranch_execnz .LBB181_131
.LBB181_112:
	s_or_b64 exec, exec, s[2:3]
	v_cmp_gt_u32_e32 vcc, s6, v6
	s_and_saveexec_b64 s[2:3], vcc
	s_cbranch_execnz .LBB181_132
.LBB181_113:
	s_or_b64 exec, exec, s[2:3]
	v_cmp_gt_u32_e32 vcc, s6, v8
	s_and_saveexec_b64 s[2:3], vcc
	s_cbranch_execnz .LBB181_133
.LBB181_114:
	s_or_b64 exec, exec, s[2:3]
	v_cmp_gt_u32_e32 vcc, s6, v10
	s_and_saveexec_b64 s[2:3], vcc
	s_cbranch_execnz .LBB181_134
.LBB181_115:
	s_or_b64 exec, exec, s[2:3]
	v_cmp_gt_u32_e32 vcc, s6, v12
	s_and_saveexec_b64 s[2:3], vcc
	s_cbranch_execnz .LBB181_135
.LBB181_116:
	s_or_b64 exec, exec, s[2:3]
	v_cmp_gt_u32_e32 vcc, s6, v14
	s_and_saveexec_b64 s[2:3], vcc
	s_cbranch_execnz .LBB181_136
.LBB181_117:
	s_or_b64 exec, exec, s[2:3]
	v_cmp_gt_u32_e32 vcc, s6, v16
	s_and_saveexec_b64 s[2:3], vcc
	s_cbranch_execnz .LBB181_137
.LBB181_118:
	s_or_b64 exec, exec, s[2:3]
	v_cmp_gt_u32_e32 vcc, s6, v18
	s_and_saveexec_b64 s[2:3], vcc
	s_cbranch_execnz .LBB181_138
.LBB181_119:
	s_or_b64 exec, exec, s[2:3]
	v_cmp_gt_u32_e32 vcc, s6, v20
	s_and_saveexec_b64 s[2:3], vcc
	s_cbranch_execnz .LBB181_139
.LBB181_120:
	s_or_b64 exec, exec, s[2:3]
	v_cmp_gt_u32_e32 vcc, s6, v22
	s_and_saveexec_b64 s[2:3], vcc
	s_cbranch_execnz .LBB181_140
.LBB181_121:
	s_or_b64 exec, exec, s[2:3]
	v_cmp_gt_u32_e32 vcc, s6, v24
	s_and_saveexec_b64 s[2:3], vcc
	s_cbranch_execnz .LBB181_141
.LBB181_122:
	s_or_b64 exec, exec, s[2:3]
	v_cmp_gt_u32_e32 vcc, s6, v26
	s_and_saveexec_b64 s[2:3], vcc
	s_cbranch_execnz .LBB181_142
.LBB181_123:
	s_or_b64 exec, exec, s[2:3]
	v_cmp_gt_u32_e32 vcc, s6, v28
	s_and_saveexec_b64 s[2:3], vcc
	s_cbranch_execz .LBB181_125
.LBB181_124:
	v_add_co_u32_e32 v6, vcc, 0x1000, v32
	s_waitcnt lgkmcnt(2)
	v_addc_co_u32_e32 v7, vcc, 0, v33, vcc
	s_waitcnt lgkmcnt(1)
	global_store_short v[6:7], v5, off offset:3072
.LBB181_125:
	s_or_b64 exec, exec, s[2:3]
	v_cmp_gt_u32_e64 s[2:3], s6, v30
.LBB181_126:
	s_and_saveexec_b64 s[4:5], s[2:3]
	s_cbranch_execnz .LBB181_128
; %bb.127:
	s_endpgm
.LBB181_128:
	v_mov_b32_e32 v0, s1
	v_add_co_u32_e32 v1, vcc, s0, v1
	v_addc_co_u32_e32 v2, vcc, 0, v0, vcc
	v_add_co_u32_e32 v0, vcc, 0x1000, v1
	v_addc_co_u32_e32 v1, vcc, 0, v2, vcc
	s_waitcnt lgkmcnt(0)
	global_store_short v[0:1], v3, off offset:3584
	s_endpgm
.LBB181_129:
	v_lshrrev_b32_e32 v17, 5, v0
	v_and_b32_e32 v17, 6, v17
	v_add_lshl_u32 v0, v17, v0, 1
	ds_read_u16 v0, v0
	s_waitcnt lgkmcnt(0)
	global_store_short v[32:33], v0, off
	s_or_b64 exec, exec, s[2:3]
	v_cmp_gt_u32_e32 vcc, s6, v2
	s_and_saveexec_b64 s[2:3], vcc
	s_cbranch_execz .LBB181_111
.LBB181_130:
	s_waitcnt lgkmcnt(14)
	global_store_short v[32:33], v34, off offset:512
	s_or_b64 exec, exec, s[2:3]
	v_cmp_gt_u32_e32 vcc, s6, v4
	s_and_saveexec_b64 s[2:3], vcc
	s_cbranch_execz .LBB181_112
.LBB181_131:
	s_waitcnt lgkmcnt(13)
	global_store_short v[32:33], v31, off offset:1024
	s_or_b64 exec, exec, s[2:3]
	v_cmp_gt_u32_e32 vcc, s6, v6
	s_and_saveexec_b64 s[2:3], vcc
	s_cbranch_execz .LBB181_113
.LBB181_132:
	s_waitcnt lgkmcnt(12)
	global_store_short v[32:33], v29, off offset:1536
	s_or_b64 exec, exec, s[2:3]
	v_cmp_gt_u32_e32 vcc, s6, v8
	s_and_saveexec_b64 s[2:3], vcc
	s_cbranch_execz .LBB181_114
.LBB181_133:
	s_waitcnt lgkmcnt(11)
	global_store_short v[32:33], v27, off offset:2048
	s_or_b64 exec, exec, s[2:3]
	v_cmp_gt_u32_e32 vcc, s6, v10
	s_and_saveexec_b64 s[2:3], vcc
	s_cbranch_execz .LBB181_115
.LBB181_134:
	s_waitcnt lgkmcnt(10)
	global_store_short v[32:33], v25, off offset:2560
	s_or_b64 exec, exec, s[2:3]
	v_cmp_gt_u32_e32 vcc, s6, v12
	s_and_saveexec_b64 s[2:3], vcc
	s_cbranch_execz .LBB181_116
.LBB181_135:
	s_waitcnt lgkmcnt(9)
	global_store_short v[32:33], v23, off offset:3072
	s_or_b64 exec, exec, s[2:3]
	v_cmp_gt_u32_e32 vcc, s6, v14
	s_and_saveexec_b64 s[2:3], vcc
	s_cbranch_execz .LBB181_117
.LBB181_136:
	s_waitcnt lgkmcnt(8)
	global_store_short v[32:33], v21, off offset:3584
	s_or_b64 exec, exec, s[2:3]
	v_cmp_gt_u32_e32 vcc, s6, v16
	s_and_saveexec_b64 s[2:3], vcc
	s_cbranch_execz .LBB181_118
.LBB181_137:
	v_add_co_u32_e32 v16, vcc, 0x1000, v32
	v_addc_co_u32_e32 v17, vcc, 0, v33, vcc
	s_waitcnt lgkmcnt(7)
	global_store_short v[16:17], v19, off
	s_or_b64 exec, exec, s[2:3]
	v_cmp_gt_u32_e32 vcc, s6, v18
	s_and_saveexec_b64 s[2:3], vcc
	s_cbranch_execz .LBB181_119
.LBB181_138:
	v_add_co_u32_e32 v16, vcc, 0x1000, v32
	v_addc_co_u32_e32 v17, vcc, 0, v33, vcc
	s_waitcnt lgkmcnt(6)
	global_store_short v[16:17], v15, off offset:512
	s_or_b64 exec, exec, s[2:3]
	v_cmp_gt_u32_e32 vcc, s6, v20
	s_and_saveexec_b64 s[2:3], vcc
	s_cbranch_execz .LBB181_120
.LBB181_139:
	v_add_co_u32_e32 v14, vcc, 0x1000, v32
	s_waitcnt lgkmcnt(6)
	v_addc_co_u32_e32 v15, vcc, 0, v33, vcc
	s_waitcnt lgkmcnt(5)
	global_store_short v[14:15], v13, off offset:1024
	s_or_b64 exec, exec, s[2:3]
	v_cmp_gt_u32_e32 vcc, s6, v22
	s_and_saveexec_b64 s[2:3], vcc
	s_cbranch_execz .LBB181_121
.LBB181_140:
	v_add_co_u32_e32 v12, vcc, 0x1000, v32
	s_waitcnt lgkmcnt(5)
	v_addc_co_u32_e32 v13, vcc, 0, v33, vcc
	s_waitcnt lgkmcnt(4)
	global_store_short v[12:13], v11, off offset:1536
	s_or_b64 exec, exec, s[2:3]
	v_cmp_gt_u32_e32 vcc, s6, v24
	s_and_saveexec_b64 s[2:3], vcc
	s_cbranch_execz .LBB181_122
.LBB181_141:
	v_add_co_u32_e32 v10, vcc, 0x1000, v32
	s_waitcnt lgkmcnt(4)
	v_addc_co_u32_e32 v11, vcc, 0, v33, vcc
	s_waitcnt lgkmcnt(3)
	global_store_short v[10:11], v9, off offset:2048
	s_or_b64 exec, exec, s[2:3]
	v_cmp_gt_u32_e32 vcc, s6, v26
	s_and_saveexec_b64 s[2:3], vcc
	s_cbranch_execz .LBB181_123
.LBB181_142:
	v_add_co_u32_e32 v8, vcc, 0x1000, v32
	s_waitcnt lgkmcnt(3)
	v_addc_co_u32_e32 v9, vcc, 0, v33, vcc
	s_waitcnt lgkmcnt(2)
	global_store_short v[8:9], v7, off offset:2560
	s_or_b64 exec, exec, s[2:3]
	v_cmp_gt_u32_e32 vcc, s6, v28
	s_and_saveexec_b64 s[2:3], vcc
	s_cbranch_execnz .LBB181_124
	s_branch .LBB181_125
	.section	.rodata,"a",@progbits
	.p2align	6, 0x0
	.amdhsa_kernel _ZN7rocprim17ROCPRIM_400000_NS6detail17trampoline_kernelINS0_14default_configENS1_21merge_config_selectorItNS0_10empty_typeEEEZNS1_10merge_implIS3_N6thrust23THRUST_200600_302600_NS6detail15normal_iteratorINS9_10device_ptrIKtEEEESF_NSB_INSC_ItEEEEPS5_SI_SI_NS9_4lessItEEEE10hipError_tPvRmT0_T1_T2_T3_T4_T5_mmT6_P12ihipStream_tbEUlT_E0_NS1_11comp_targetILNS1_3genE4ELNS1_11target_archE910ELNS1_3gpuE8ELNS1_3repE0EEENS1_30default_config_static_selectorELNS0_4arch9wavefront6targetE1EEEvSP_
		.amdhsa_group_segment_fixed_size 8448
		.amdhsa_private_segment_fixed_size 0
		.amdhsa_kernarg_size 88
		.amdhsa_user_sgpr_count 6
		.amdhsa_user_sgpr_private_segment_buffer 1
		.amdhsa_user_sgpr_dispatch_ptr 0
		.amdhsa_user_sgpr_queue_ptr 0
		.amdhsa_user_sgpr_kernarg_segment_ptr 1
		.amdhsa_user_sgpr_dispatch_id 0
		.amdhsa_user_sgpr_flat_scratch_init 0
		.amdhsa_user_sgpr_kernarg_preload_length 0
		.amdhsa_user_sgpr_kernarg_preload_offset 0
		.amdhsa_user_sgpr_private_segment_size 0
		.amdhsa_uses_dynamic_stack 0
		.amdhsa_system_sgpr_private_segment_wavefront_offset 0
		.amdhsa_system_sgpr_workgroup_id_x 1
		.amdhsa_system_sgpr_workgroup_id_y 0
		.amdhsa_system_sgpr_workgroup_id_z 0
		.amdhsa_system_sgpr_workgroup_info 0
		.amdhsa_system_vgpr_workitem_id 0
		.amdhsa_next_free_vgpr 50
		.amdhsa_next_free_sgpr 36
		.amdhsa_accum_offset 52
		.amdhsa_reserve_vcc 1
		.amdhsa_reserve_flat_scratch 0
		.amdhsa_float_round_mode_32 0
		.amdhsa_float_round_mode_16_64 0
		.amdhsa_float_denorm_mode_32 3
		.amdhsa_float_denorm_mode_16_64 3
		.amdhsa_dx10_clamp 1
		.amdhsa_ieee_mode 1
		.amdhsa_fp16_overflow 0
		.amdhsa_tg_split 0
		.amdhsa_exception_fp_ieee_invalid_op 0
		.amdhsa_exception_fp_denorm_src 0
		.amdhsa_exception_fp_ieee_div_zero 0
		.amdhsa_exception_fp_ieee_overflow 0
		.amdhsa_exception_fp_ieee_underflow 0
		.amdhsa_exception_fp_ieee_inexact 0
		.amdhsa_exception_int_div_zero 0
	.end_amdhsa_kernel
	.section	.text._ZN7rocprim17ROCPRIM_400000_NS6detail17trampoline_kernelINS0_14default_configENS1_21merge_config_selectorItNS0_10empty_typeEEEZNS1_10merge_implIS3_N6thrust23THRUST_200600_302600_NS6detail15normal_iteratorINS9_10device_ptrIKtEEEESF_NSB_INSC_ItEEEEPS5_SI_SI_NS9_4lessItEEEE10hipError_tPvRmT0_T1_T2_T3_T4_T5_mmT6_P12ihipStream_tbEUlT_E0_NS1_11comp_targetILNS1_3genE4ELNS1_11target_archE910ELNS1_3gpuE8ELNS1_3repE0EEENS1_30default_config_static_selectorELNS0_4arch9wavefront6targetE1EEEvSP_,"axG",@progbits,_ZN7rocprim17ROCPRIM_400000_NS6detail17trampoline_kernelINS0_14default_configENS1_21merge_config_selectorItNS0_10empty_typeEEEZNS1_10merge_implIS3_N6thrust23THRUST_200600_302600_NS6detail15normal_iteratorINS9_10device_ptrIKtEEEESF_NSB_INSC_ItEEEEPS5_SI_SI_NS9_4lessItEEEE10hipError_tPvRmT0_T1_T2_T3_T4_T5_mmT6_P12ihipStream_tbEUlT_E0_NS1_11comp_targetILNS1_3genE4ELNS1_11target_archE910ELNS1_3gpuE8ELNS1_3repE0EEENS1_30default_config_static_selectorELNS0_4arch9wavefront6targetE1EEEvSP_,comdat
.Lfunc_end181:
	.size	_ZN7rocprim17ROCPRIM_400000_NS6detail17trampoline_kernelINS0_14default_configENS1_21merge_config_selectorItNS0_10empty_typeEEEZNS1_10merge_implIS3_N6thrust23THRUST_200600_302600_NS6detail15normal_iteratorINS9_10device_ptrIKtEEEESF_NSB_INSC_ItEEEEPS5_SI_SI_NS9_4lessItEEEE10hipError_tPvRmT0_T1_T2_T3_T4_T5_mmT6_P12ihipStream_tbEUlT_E0_NS1_11comp_targetILNS1_3genE4ELNS1_11target_archE910ELNS1_3gpuE8ELNS1_3repE0EEENS1_30default_config_static_selectorELNS0_4arch9wavefront6targetE1EEEvSP_, .Lfunc_end181-_ZN7rocprim17ROCPRIM_400000_NS6detail17trampoline_kernelINS0_14default_configENS1_21merge_config_selectorItNS0_10empty_typeEEEZNS1_10merge_implIS3_N6thrust23THRUST_200600_302600_NS6detail15normal_iteratorINS9_10device_ptrIKtEEEESF_NSB_INSC_ItEEEEPS5_SI_SI_NS9_4lessItEEEE10hipError_tPvRmT0_T1_T2_T3_T4_T5_mmT6_P12ihipStream_tbEUlT_E0_NS1_11comp_targetILNS1_3genE4ELNS1_11target_archE910ELNS1_3gpuE8ELNS1_3repE0EEENS1_30default_config_static_selectorELNS0_4arch9wavefront6targetE1EEEvSP_
                                        ; -- End function
	.section	.AMDGPU.csdata,"",@progbits
; Kernel info:
; codeLenInByte = 6164
; NumSgprs: 40
; NumVgprs: 50
; NumAgprs: 0
; TotalNumVgprs: 50
; ScratchSize: 0
; MemoryBound: 0
; FloatMode: 240
; IeeeMode: 1
; LDSByteSize: 8448 bytes/workgroup (compile time only)
; SGPRBlocks: 4
; VGPRBlocks: 6
; NumSGPRsForWavesPerEU: 40
; NumVGPRsForWavesPerEU: 50
; AccumOffset: 52
; Occupancy: 7
; WaveLimiterHint : 1
; COMPUTE_PGM_RSRC2:SCRATCH_EN: 0
; COMPUTE_PGM_RSRC2:USER_SGPR: 6
; COMPUTE_PGM_RSRC2:TRAP_HANDLER: 0
; COMPUTE_PGM_RSRC2:TGID_X_EN: 1
; COMPUTE_PGM_RSRC2:TGID_Y_EN: 0
; COMPUTE_PGM_RSRC2:TGID_Z_EN: 0
; COMPUTE_PGM_RSRC2:TIDIG_COMP_CNT: 0
; COMPUTE_PGM_RSRC3_GFX90A:ACCUM_OFFSET: 12
; COMPUTE_PGM_RSRC3_GFX90A:TG_SPLIT: 0
	.section	.text._ZN7rocprim17ROCPRIM_400000_NS6detail17trampoline_kernelINS0_14default_configENS1_21merge_config_selectorItNS0_10empty_typeEEEZNS1_10merge_implIS3_N6thrust23THRUST_200600_302600_NS6detail15normal_iteratorINS9_10device_ptrIKtEEEESF_NSB_INSC_ItEEEEPS5_SI_SI_NS9_4lessItEEEE10hipError_tPvRmT0_T1_T2_T3_T4_T5_mmT6_P12ihipStream_tbEUlT_E0_NS1_11comp_targetILNS1_3genE3ELNS1_11target_archE908ELNS1_3gpuE7ELNS1_3repE0EEENS1_30default_config_static_selectorELNS0_4arch9wavefront6targetE1EEEvSP_,"axG",@progbits,_ZN7rocprim17ROCPRIM_400000_NS6detail17trampoline_kernelINS0_14default_configENS1_21merge_config_selectorItNS0_10empty_typeEEEZNS1_10merge_implIS3_N6thrust23THRUST_200600_302600_NS6detail15normal_iteratorINS9_10device_ptrIKtEEEESF_NSB_INSC_ItEEEEPS5_SI_SI_NS9_4lessItEEEE10hipError_tPvRmT0_T1_T2_T3_T4_T5_mmT6_P12ihipStream_tbEUlT_E0_NS1_11comp_targetILNS1_3genE3ELNS1_11target_archE908ELNS1_3gpuE7ELNS1_3repE0EEENS1_30default_config_static_selectorELNS0_4arch9wavefront6targetE1EEEvSP_,comdat
	.protected	_ZN7rocprim17ROCPRIM_400000_NS6detail17trampoline_kernelINS0_14default_configENS1_21merge_config_selectorItNS0_10empty_typeEEEZNS1_10merge_implIS3_N6thrust23THRUST_200600_302600_NS6detail15normal_iteratorINS9_10device_ptrIKtEEEESF_NSB_INSC_ItEEEEPS5_SI_SI_NS9_4lessItEEEE10hipError_tPvRmT0_T1_T2_T3_T4_T5_mmT6_P12ihipStream_tbEUlT_E0_NS1_11comp_targetILNS1_3genE3ELNS1_11target_archE908ELNS1_3gpuE7ELNS1_3repE0EEENS1_30default_config_static_selectorELNS0_4arch9wavefront6targetE1EEEvSP_ ; -- Begin function _ZN7rocprim17ROCPRIM_400000_NS6detail17trampoline_kernelINS0_14default_configENS1_21merge_config_selectorItNS0_10empty_typeEEEZNS1_10merge_implIS3_N6thrust23THRUST_200600_302600_NS6detail15normal_iteratorINS9_10device_ptrIKtEEEESF_NSB_INSC_ItEEEEPS5_SI_SI_NS9_4lessItEEEE10hipError_tPvRmT0_T1_T2_T3_T4_T5_mmT6_P12ihipStream_tbEUlT_E0_NS1_11comp_targetILNS1_3genE3ELNS1_11target_archE908ELNS1_3gpuE7ELNS1_3repE0EEENS1_30default_config_static_selectorELNS0_4arch9wavefront6targetE1EEEvSP_
	.globl	_ZN7rocprim17ROCPRIM_400000_NS6detail17trampoline_kernelINS0_14default_configENS1_21merge_config_selectorItNS0_10empty_typeEEEZNS1_10merge_implIS3_N6thrust23THRUST_200600_302600_NS6detail15normal_iteratorINS9_10device_ptrIKtEEEESF_NSB_INSC_ItEEEEPS5_SI_SI_NS9_4lessItEEEE10hipError_tPvRmT0_T1_T2_T3_T4_T5_mmT6_P12ihipStream_tbEUlT_E0_NS1_11comp_targetILNS1_3genE3ELNS1_11target_archE908ELNS1_3gpuE7ELNS1_3repE0EEENS1_30default_config_static_selectorELNS0_4arch9wavefront6targetE1EEEvSP_
	.p2align	8
	.type	_ZN7rocprim17ROCPRIM_400000_NS6detail17trampoline_kernelINS0_14default_configENS1_21merge_config_selectorItNS0_10empty_typeEEEZNS1_10merge_implIS3_N6thrust23THRUST_200600_302600_NS6detail15normal_iteratorINS9_10device_ptrIKtEEEESF_NSB_INSC_ItEEEEPS5_SI_SI_NS9_4lessItEEEE10hipError_tPvRmT0_T1_T2_T3_T4_T5_mmT6_P12ihipStream_tbEUlT_E0_NS1_11comp_targetILNS1_3genE3ELNS1_11target_archE908ELNS1_3gpuE7ELNS1_3repE0EEENS1_30default_config_static_selectorELNS0_4arch9wavefront6targetE1EEEvSP_,@function
_ZN7rocprim17ROCPRIM_400000_NS6detail17trampoline_kernelINS0_14default_configENS1_21merge_config_selectorItNS0_10empty_typeEEEZNS1_10merge_implIS3_N6thrust23THRUST_200600_302600_NS6detail15normal_iteratorINS9_10device_ptrIKtEEEESF_NSB_INSC_ItEEEEPS5_SI_SI_NS9_4lessItEEEE10hipError_tPvRmT0_T1_T2_T3_T4_T5_mmT6_P12ihipStream_tbEUlT_E0_NS1_11comp_targetILNS1_3genE3ELNS1_11target_archE908ELNS1_3gpuE7ELNS1_3repE0EEENS1_30default_config_static_selectorELNS0_4arch9wavefront6targetE1EEEvSP_: ; @_ZN7rocprim17ROCPRIM_400000_NS6detail17trampoline_kernelINS0_14default_configENS1_21merge_config_selectorItNS0_10empty_typeEEEZNS1_10merge_implIS3_N6thrust23THRUST_200600_302600_NS6detail15normal_iteratorINS9_10device_ptrIKtEEEESF_NSB_INSC_ItEEEEPS5_SI_SI_NS9_4lessItEEEE10hipError_tPvRmT0_T1_T2_T3_T4_T5_mmT6_P12ihipStream_tbEUlT_E0_NS1_11comp_targetILNS1_3genE3ELNS1_11target_archE908ELNS1_3gpuE7ELNS1_3repE0EEENS1_30default_config_static_selectorELNS0_4arch9wavefront6targetE1EEEvSP_
; %bb.0:
	.section	.rodata,"a",@progbits
	.p2align	6, 0x0
	.amdhsa_kernel _ZN7rocprim17ROCPRIM_400000_NS6detail17trampoline_kernelINS0_14default_configENS1_21merge_config_selectorItNS0_10empty_typeEEEZNS1_10merge_implIS3_N6thrust23THRUST_200600_302600_NS6detail15normal_iteratorINS9_10device_ptrIKtEEEESF_NSB_INSC_ItEEEEPS5_SI_SI_NS9_4lessItEEEE10hipError_tPvRmT0_T1_T2_T3_T4_T5_mmT6_P12ihipStream_tbEUlT_E0_NS1_11comp_targetILNS1_3genE3ELNS1_11target_archE908ELNS1_3gpuE7ELNS1_3repE0EEENS1_30default_config_static_selectorELNS0_4arch9wavefront6targetE1EEEvSP_
		.amdhsa_group_segment_fixed_size 0
		.amdhsa_private_segment_fixed_size 0
		.amdhsa_kernarg_size 88
		.amdhsa_user_sgpr_count 6
		.amdhsa_user_sgpr_private_segment_buffer 1
		.amdhsa_user_sgpr_dispatch_ptr 0
		.amdhsa_user_sgpr_queue_ptr 0
		.amdhsa_user_sgpr_kernarg_segment_ptr 1
		.amdhsa_user_sgpr_dispatch_id 0
		.amdhsa_user_sgpr_flat_scratch_init 0
		.amdhsa_user_sgpr_kernarg_preload_length 0
		.amdhsa_user_sgpr_kernarg_preload_offset 0
		.amdhsa_user_sgpr_private_segment_size 0
		.amdhsa_uses_dynamic_stack 0
		.amdhsa_system_sgpr_private_segment_wavefront_offset 0
		.amdhsa_system_sgpr_workgroup_id_x 1
		.amdhsa_system_sgpr_workgroup_id_y 0
		.amdhsa_system_sgpr_workgroup_id_z 0
		.amdhsa_system_sgpr_workgroup_info 0
		.amdhsa_system_vgpr_workitem_id 0
		.amdhsa_next_free_vgpr 1
		.amdhsa_next_free_sgpr 0
		.amdhsa_accum_offset 4
		.amdhsa_reserve_vcc 0
		.amdhsa_reserve_flat_scratch 0
		.amdhsa_float_round_mode_32 0
		.amdhsa_float_round_mode_16_64 0
		.amdhsa_float_denorm_mode_32 3
		.amdhsa_float_denorm_mode_16_64 3
		.amdhsa_dx10_clamp 1
		.amdhsa_ieee_mode 1
		.amdhsa_fp16_overflow 0
		.amdhsa_tg_split 0
		.amdhsa_exception_fp_ieee_invalid_op 0
		.amdhsa_exception_fp_denorm_src 0
		.amdhsa_exception_fp_ieee_div_zero 0
		.amdhsa_exception_fp_ieee_overflow 0
		.amdhsa_exception_fp_ieee_underflow 0
		.amdhsa_exception_fp_ieee_inexact 0
		.amdhsa_exception_int_div_zero 0
	.end_amdhsa_kernel
	.section	.text._ZN7rocprim17ROCPRIM_400000_NS6detail17trampoline_kernelINS0_14default_configENS1_21merge_config_selectorItNS0_10empty_typeEEEZNS1_10merge_implIS3_N6thrust23THRUST_200600_302600_NS6detail15normal_iteratorINS9_10device_ptrIKtEEEESF_NSB_INSC_ItEEEEPS5_SI_SI_NS9_4lessItEEEE10hipError_tPvRmT0_T1_T2_T3_T4_T5_mmT6_P12ihipStream_tbEUlT_E0_NS1_11comp_targetILNS1_3genE3ELNS1_11target_archE908ELNS1_3gpuE7ELNS1_3repE0EEENS1_30default_config_static_selectorELNS0_4arch9wavefront6targetE1EEEvSP_,"axG",@progbits,_ZN7rocprim17ROCPRIM_400000_NS6detail17trampoline_kernelINS0_14default_configENS1_21merge_config_selectorItNS0_10empty_typeEEEZNS1_10merge_implIS3_N6thrust23THRUST_200600_302600_NS6detail15normal_iteratorINS9_10device_ptrIKtEEEESF_NSB_INSC_ItEEEEPS5_SI_SI_NS9_4lessItEEEE10hipError_tPvRmT0_T1_T2_T3_T4_T5_mmT6_P12ihipStream_tbEUlT_E0_NS1_11comp_targetILNS1_3genE3ELNS1_11target_archE908ELNS1_3gpuE7ELNS1_3repE0EEENS1_30default_config_static_selectorELNS0_4arch9wavefront6targetE1EEEvSP_,comdat
.Lfunc_end182:
	.size	_ZN7rocprim17ROCPRIM_400000_NS6detail17trampoline_kernelINS0_14default_configENS1_21merge_config_selectorItNS0_10empty_typeEEEZNS1_10merge_implIS3_N6thrust23THRUST_200600_302600_NS6detail15normal_iteratorINS9_10device_ptrIKtEEEESF_NSB_INSC_ItEEEEPS5_SI_SI_NS9_4lessItEEEE10hipError_tPvRmT0_T1_T2_T3_T4_T5_mmT6_P12ihipStream_tbEUlT_E0_NS1_11comp_targetILNS1_3genE3ELNS1_11target_archE908ELNS1_3gpuE7ELNS1_3repE0EEENS1_30default_config_static_selectorELNS0_4arch9wavefront6targetE1EEEvSP_, .Lfunc_end182-_ZN7rocprim17ROCPRIM_400000_NS6detail17trampoline_kernelINS0_14default_configENS1_21merge_config_selectorItNS0_10empty_typeEEEZNS1_10merge_implIS3_N6thrust23THRUST_200600_302600_NS6detail15normal_iteratorINS9_10device_ptrIKtEEEESF_NSB_INSC_ItEEEEPS5_SI_SI_NS9_4lessItEEEE10hipError_tPvRmT0_T1_T2_T3_T4_T5_mmT6_P12ihipStream_tbEUlT_E0_NS1_11comp_targetILNS1_3genE3ELNS1_11target_archE908ELNS1_3gpuE7ELNS1_3repE0EEENS1_30default_config_static_selectorELNS0_4arch9wavefront6targetE1EEEvSP_
                                        ; -- End function
	.section	.AMDGPU.csdata,"",@progbits
; Kernel info:
; codeLenInByte = 0
; NumSgprs: 4
; NumVgprs: 0
; NumAgprs: 0
; TotalNumVgprs: 0
; ScratchSize: 0
; MemoryBound: 0
; FloatMode: 240
; IeeeMode: 1
; LDSByteSize: 0 bytes/workgroup (compile time only)
; SGPRBlocks: 0
; VGPRBlocks: 0
; NumSGPRsForWavesPerEU: 4
; NumVGPRsForWavesPerEU: 1
; AccumOffset: 4
; Occupancy: 8
; WaveLimiterHint : 0
; COMPUTE_PGM_RSRC2:SCRATCH_EN: 0
; COMPUTE_PGM_RSRC2:USER_SGPR: 6
; COMPUTE_PGM_RSRC2:TRAP_HANDLER: 0
; COMPUTE_PGM_RSRC2:TGID_X_EN: 1
; COMPUTE_PGM_RSRC2:TGID_Y_EN: 0
; COMPUTE_PGM_RSRC2:TGID_Z_EN: 0
; COMPUTE_PGM_RSRC2:TIDIG_COMP_CNT: 0
; COMPUTE_PGM_RSRC3_GFX90A:ACCUM_OFFSET: 0
; COMPUTE_PGM_RSRC3_GFX90A:TG_SPLIT: 0
	.section	.text._ZN7rocprim17ROCPRIM_400000_NS6detail17trampoline_kernelINS0_14default_configENS1_21merge_config_selectorItNS0_10empty_typeEEEZNS1_10merge_implIS3_N6thrust23THRUST_200600_302600_NS6detail15normal_iteratorINS9_10device_ptrIKtEEEESF_NSB_INSC_ItEEEEPS5_SI_SI_NS9_4lessItEEEE10hipError_tPvRmT0_T1_T2_T3_T4_T5_mmT6_P12ihipStream_tbEUlT_E0_NS1_11comp_targetILNS1_3genE2ELNS1_11target_archE906ELNS1_3gpuE6ELNS1_3repE0EEENS1_30default_config_static_selectorELNS0_4arch9wavefront6targetE1EEEvSP_,"axG",@progbits,_ZN7rocprim17ROCPRIM_400000_NS6detail17trampoline_kernelINS0_14default_configENS1_21merge_config_selectorItNS0_10empty_typeEEEZNS1_10merge_implIS3_N6thrust23THRUST_200600_302600_NS6detail15normal_iteratorINS9_10device_ptrIKtEEEESF_NSB_INSC_ItEEEEPS5_SI_SI_NS9_4lessItEEEE10hipError_tPvRmT0_T1_T2_T3_T4_T5_mmT6_P12ihipStream_tbEUlT_E0_NS1_11comp_targetILNS1_3genE2ELNS1_11target_archE906ELNS1_3gpuE6ELNS1_3repE0EEENS1_30default_config_static_selectorELNS0_4arch9wavefront6targetE1EEEvSP_,comdat
	.protected	_ZN7rocprim17ROCPRIM_400000_NS6detail17trampoline_kernelINS0_14default_configENS1_21merge_config_selectorItNS0_10empty_typeEEEZNS1_10merge_implIS3_N6thrust23THRUST_200600_302600_NS6detail15normal_iteratorINS9_10device_ptrIKtEEEESF_NSB_INSC_ItEEEEPS5_SI_SI_NS9_4lessItEEEE10hipError_tPvRmT0_T1_T2_T3_T4_T5_mmT6_P12ihipStream_tbEUlT_E0_NS1_11comp_targetILNS1_3genE2ELNS1_11target_archE906ELNS1_3gpuE6ELNS1_3repE0EEENS1_30default_config_static_selectorELNS0_4arch9wavefront6targetE1EEEvSP_ ; -- Begin function _ZN7rocprim17ROCPRIM_400000_NS6detail17trampoline_kernelINS0_14default_configENS1_21merge_config_selectorItNS0_10empty_typeEEEZNS1_10merge_implIS3_N6thrust23THRUST_200600_302600_NS6detail15normal_iteratorINS9_10device_ptrIKtEEEESF_NSB_INSC_ItEEEEPS5_SI_SI_NS9_4lessItEEEE10hipError_tPvRmT0_T1_T2_T3_T4_T5_mmT6_P12ihipStream_tbEUlT_E0_NS1_11comp_targetILNS1_3genE2ELNS1_11target_archE906ELNS1_3gpuE6ELNS1_3repE0EEENS1_30default_config_static_selectorELNS0_4arch9wavefront6targetE1EEEvSP_
	.globl	_ZN7rocprim17ROCPRIM_400000_NS6detail17trampoline_kernelINS0_14default_configENS1_21merge_config_selectorItNS0_10empty_typeEEEZNS1_10merge_implIS3_N6thrust23THRUST_200600_302600_NS6detail15normal_iteratorINS9_10device_ptrIKtEEEESF_NSB_INSC_ItEEEEPS5_SI_SI_NS9_4lessItEEEE10hipError_tPvRmT0_T1_T2_T3_T4_T5_mmT6_P12ihipStream_tbEUlT_E0_NS1_11comp_targetILNS1_3genE2ELNS1_11target_archE906ELNS1_3gpuE6ELNS1_3repE0EEENS1_30default_config_static_selectorELNS0_4arch9wavefront6targetE1EEEvSP_
	.p2align	8
	.type	_ZN7rocprim17ROCPRIM_400000_NS6detail17trampoline_kernelINS0_14default_configENS1_21merge_config_selectorItNS0_10empty_typeEEEZNS1_10merge_implIS3_N6thrust23THRUST_200600_302600_NS6detail15normal_iteratorINS9_10device_ptrIKtEEEESF_NSB_INSC_ItEEEEPS5_SI_SI_NS9_4lessItEEEE10hipError_tPvRmT0_T1_T2_T3_T4_T5_mmT6_P12ihipStream_tbEUlT_E0_NS1_11comp_targetILNS1_3genE2ELNS1_11target_archE906ELNS1_3gpuE6ELNS1_3repE0EEENS1_30default_config_static_selectorELNS0_4arch9wavefront6targetE1EEEvSP_,@function
_ZN7rocprim17ROCPRIM_400000_NS6detail17trampoline_kernelINS0_14default_configENS1_21merge_config_selectorItNS0_10empty_typeEEEZNS1_10merge_implIS3_N6thrust23THRUST_200600_302600_NS6detail15normal_iteratorINS9_10device_ptrIKtEEEESF_NSB_INSC_ItEEEEPS5_SI_SI_NS9_4lessItEEEE10hipError_tPvRmT0_T1_T2_T3_T4_T5_mmT6_P12ihipStream_tbEUlT_E0_NS1_11comp_targetILNS1_3genE2ELNS1_11target_archE906ELNS1_3gpuE6ELNS1_3repE0EEENS1_30default_config_static_selectorELNS0_4arch9wavefront6targetE1EEEvSP_: ; @_ZN7rocprim17ROCPRIM_400000_NS6detail17trampoline_kernelINS0_14default_configENS1_21merge_config_selectorItNS0_10empty_typeEEEZNS1_10merge_implIS3_N6thrust23THRUST_200600_302600_NS6detail15normal_iteratorINS9_10device_ptrIKtEEEESF_NSB_INSC_ItEEEEPS5_SI_SI_NS9_4lessItEEEE10hipError_tPvRmT0_T1_T2_T3_T4_T5_mmT6_P12ihipStream_tbEUlT_E0_NS1_11comp_targetILNS1_3genE2ELNS1_11target_archE906ELNS1_3gpuE6ELNS1_3repE0EEENS1_30default_config_static_selectorELNS0_4arch9wavefront6targetE1EEEvSP_
; %bb.0:
	.section	.rodata,"a",@progbits
	.p2align	6, 0x0
	.amdhsa_kernel _ZN7rocprim17ROCPRIM_400000_NS6detail17trampoline_kernelINS0_14default_configENS1_21merge_config_selectorItNS0_10empty_typeEEEZNS1_10merge_implIS3_N6thrust23THRUST_200600_302600_NS6detail15normal_iteratorINS9_10device_ptrIKtEEEESF_NSB_INSC_ItEEEEPS5_SI_SI_NS9_4lessItEEEE10hipError_tPvRmT0_T1_T2_T3_T4_T5_mmT6_P12ihipStream_tbEUlT_E0_NS1_11comp_targetILNS1_3genE2ELNS1_11target_archE906ELNS1_3gpuE6ELNS1_3repE0EEENS1_30default_config_static_selectorELNS0_4arch9wavefront6targetE1EEEvSP_
		.amdhsa_group_segment_fixed_size 0
		.amdhsa_private_segment_fixed_size 0
		.amdhsa_kernarg_size 88
		.amdhsa_user_sgpr_count 6
		.amdhsa_user_sgpr_private_segment_buffer 1
		.amdhsa_user_sgpr_dispatch_ptr 0
		.amdhsa_user_sgpr_queue_ptr 0
		.amdhsa_user_sgpr_kernarg_segment_ptr 1
		.amdhsa_user_sgpr_dispatch_id 0
		.amdhsa_user_sgpr_flat_scratch_init 0
		.amdhsa_user_sgpr_kernarg_preload_length 0
		.amdhsa_user_sgpr_kernarg_preload_offset 0
		.amdhsa_user_sgpr_private_segment_size 0
		.amdhsa_uses_dynamic_stack 0
		.amdhsa_system_sgpr_private_segment_wavefront_offset 0
		.amdhsa_system_sgpr_workgroup_id_x 1
		.amdhsa_system_sgpr_workgroup_id_y 0
		.amdhsa_system_sgpr_workgroup_id_z 0
		.amdhsa_system_sgpr_workgroup_info 0
		.amdhsa_system_vgpr_workitem_id 0
		.amdhsa_next_free_vgpr 1
		.amdhsa_next_free_sgpr 0
		.amdhsa_accum_offset 4
		.amdhsa_reserve_vcc 0
		.amdhsa_reserve_flat_scratch 0
		.amdhsa_float_round_mode_32 0
		.amdhsa_float_round_mode_16_64 0
		.amdhsa_float_denorm_mode_32 3
		.amdhsa_float_denorm_mode_16_64 3
		.amdhsa_dx10_clamp 1
		.amdhsa_ieee_mode 1
		.amdhsa_fp16_overflow 0
		.amdhsa_tg_split 0
		.amdhsa_exception_fp_ieee_invalid_op 0
		.amdhsa_exception_fp_denorm_src 0
		.amdhsa_exception_fp_ieee_div_zero 0
		.amdhsa_exception_fp_ieee_overflow 0
		.amdhsa_exception_fp_ieee_underflow 0
		.amdhsa_exception_fp_ieee_inexact 0
		.amdhsa_exception_int_div_zero 0
	.end_amdhsa_kernel
	.section	.text._ZN7rocprim17ROCPRIM_400000_NS6detail17trampoline_kernelINS0_14default_configENS1_21merge_config_selectorItNS0_10empty_typeEEEZNS1_10merge_implIS3_N6thrust23THRUST_200600_302600_NS6detail15normal_iteratorINS9_10device_ptrIKtEEEESF_NSB_INSC_ItEEEEPS5_SI_SI_NS9_4lessItEEEE10hipError_tPvRmT0_T1_T2_T3_T4_T5_mmT6_P12ihipStream_tbEUlT_E0_NS1_11comp_targetILNS1_3genE2ELNS1_11target_archE906ELNS1_3gpuE6ELNS1_3repE0EEENS1_30default_config_static_selectorELNS0_4arch9wavefront6targetE1EEEvSP_,"axG",@progbits,_ZN7rocprim17ROCPRIM_400000_NS6detail17trampoline_kernelINS0_14default_configENS1_21merge_config_selectorItNS0_10empty_typeEEEZNS1_10merge_implIS3_N6thrust23THRUST_200600_302600_NS6detail15normal_iteratorINS9_10device_ptrIKtEEEESF_NSB_INSC_ItEEEEPS5_SI_SI_NS9_4lessItEEEE10hipError_tPvRmT0_T1_T2_T3_T4_T5_mmT6_P12ihipStream_tbEUlT_E0_NS1_11comp_targetILNS1_3genE2ELNS1_11target_archE906ELNS1_3gpuE6ELNS1_3repE0EEENS1_30default_config_static_selectorELNS0_4arch9wavefront6targetE1EEEvSP_,comdat
.Lfunc_end183:
	.size	_ZN7rocprim17ROCPRIM_400000_NS6detail17trampoline_kernelINS0_14default_configENS1_21merge_config_selectorItNS0_10empty_typeEEEZNS1_10merge_implIS3_N6thrust23THRUST_200600_302600_NS6detail15normal_iteratorINS9_10device_ptrIKtEEEESF_NSB_INSC_ItEEEEPS5_SI_SI_NS9_4lessItEEEE10hipError_tPvRmT0_T1_T2_T3_T4_T5_mmT6_P12ihipStream_tbEUlT_E0_NS1_11comp_targetILNS1_3genE2ELNS1_11target_archE906ELNS1_3gpuE6ELNS1_3repE0EEENS1_30default_config_static_selectorELNS0_4arch9wavefront6targetE1EEEvSP_, .Lfunc_end183-_ZN7rocprim17ROCPRIM_400000_NS6detail17trampoline_kernelINS0_14default_configENS1_21merge_config_selectorItNS0_10empty_typeEEEZNS1_10merge_implIS3_N6thrust23THRUST_200600_302600_NS6detail15normal_iteratorINS9_10device_ptrIKtEEEESF_NSB_INSC_ItEEEEPS5_SI_SI_NS9_4lessItEEEE10hipError_tPvRmT0_T1_T2_T3_T4_T5_mmT6_P12ihipStream_tbEUlT_E0_NS1_11comp_targetILNS1_3genE2ELNS1_11target_archE906ELNS1_3gpuE6ELNS1_3repE0EEENS1_30default_config_static_selectorELNS0_4arch9wavefront6targetE1EEEvSP_
                                        ; -- End function
	.section	.AMDGPU.csdata,"",@progbits
; Kernel info:
; codeLenInByte = 0
; NumSgprs: 4
; NumVgprs: 0
; NumAgprs: 0
; TotalNumVgprs: 0
; ScratchSize: 0
; MemoryBound: 0
; FloatMode: 240
; IeeeMode: 1
; LDSByteSize: 0 bytes/workgroup (compile time only)
; SGPRBlocks: 0
; VGPRBlocks: 0
; NumSGPRsForWavesPerEU: 4
; NumVGPRsForWavesPerEU: 1
; AccumOffset: 4
; Occupancy: 8
; WaveLimiterHint : 0
; COMPUTE_PGM_RSRC2:SCRATCH_EN: 0
; COMPUTE_PGM_RSRC2:USER_SGPR: 6
; COMPUTE_PGM_RSRC2:TRAP_HANDLER: 0
; COMPUTE_PGM_RSRC2:TGID_X_EN: 1
; COMPUTE_PGM_RSRC2:TGID_Y_EN: 0
; COMPUTE_PGM_RSRC2:TGID_Z_EN: 0
; COMPUTE_PGM_RSRC2:TIDIG_COMP_CNT: 0
; COMPUTE_PGM_RSRC3_GFX90A:ACCUM_OFFSET: 0
; COMPUTE_PGM_RSRC3_GFX90A:TG_SPLIT: 0
	.section	.text._ZN7rocprim17ROCPRIM_400000_NS6detail17trampoline_kernelINS0_14default_configENS1_21merge_config_selectorItNS0_10empty_typeEEEZNS1_10merge_implIS3_N6thrust23THRUST_200600_302600_NS6detail15normal_iteratorINS9_10device_ptrIKtEEEESF_NSB_INSC_ItEEEEPS5_SI_SI_NS9_4lessItEEEE10hipError_tPvRmT0_T1_T2_T3_T4_T5_mmT6_P12ihipStream_tbEUlT_E0_NS1_11comp_targetILNS1_3genE10ELNS1_11target_archE1201ELNS1_3gpuE5ELNS1_3repE0EEENS1_30default_config_static_selectorELNS0_4arch9wavefront6targetE1EEEvSP_,"axG",@progbits,_ZN7rocprim17ROCPRIM_400000_NS6detail17trampoline_kernelINS0_14default_configENS1_21merge_config_selectorItNS0_10empty_typeEEEZNS1_10merge_implIS3_N6thrust23THRUST_200600_302600_NS6detail15normal_iteratorINS9_10device_ptrIKtEEEESF_NSB_INSC_ItEEEEPS5_SI_SI_NS9_4lessItEEEE10hipError_tPvRmT0_T1_T2_T3_T4_T5_mmT6_P12ihipStream_tbEUlT_E0_NS1_11comp_targetILNS1_3genE10ELNS1_11target_archE1201ELNS1_3gpuE5ELNS1_3repE0EEENS1_30default_config_static_selectorELNS0_4arch9wavefront6targetE1EEEvSP_,comdat
	.protected	_ZN7rocprim17ROCPRIM_400000_NS6detail17trampoline_kernelINS0_14default_configENS1_21merge_config_selectorItNS0_10empty_typeEEEZNS1_10merge_implIS3_N6thrust23THRUST_200600_302600_NS6detail15normal_iteratorINS9_10device_ptrIKtEEEESF_NSB_INSC_ItEEEEPS5_SI_SI_NS9_4lessItEEEE10hipError_tPvRmT0_T1_T2_T3_T4_T5_mmT6_P12ihipStream_tbEUlT_E0_NS1_11comp_targetILNS1_3genE10ELNS1_11target_archE1201ELNS1_3gpuE5ELNS1_3repE0EEENS1_30default_config_static_selectorELNS0_4arch9wavefront6targetE1EEEvSP_ ; -- Begin function _ZN7rocprim17ROCPRIM_400000_NS6detail17trampoline_kernelINS0_14default_configENS1_21merge_config_selectorItNS0_10empty_typeEEEZNS1_10merge_implIS3_N6thrust23THRUST_200600_302600_NS6detail15normal_iteratorINS9_10device_ptrIKtEEEESF_NSB_INSC_ItEEEEPS5_SI_SI_NS9_4lessItEEEE10hipError_tPvRmT0_T1_T2_T3_T4_T5_mmT6_P12ihipStream_tbEUlT_E0_NS1_11comp_targetILNS1_3genE10ELNS1_11target_archE1201ELNS1_3gpuE5ELNS1_3repE0EEENS1_30default_config_static_selectorELNS0_4arch9wavefront6targetE1EEEvSP_
	.globl	_ZN7rocprim17ROCPRIM_400000_NS6detail17trampoline_kernelINS0_14default_configENS1_21merge_config_selectorItNS0_10empty_typeEEEZNS1_10merge_implIS3_N6thrust23THRUST_200600_302600_NS6detail15normal_iteratorINS9_10device_ptrIKtEEEESF_NSB_INSC_ItEEEEPS5_SI_SI_NS9_4lessItEEEE10hipError_tPvRmT0_T1_T2_T3_T4_T5_mmT6_P12ihipStream_tbEUlT_E0_NS1_11comp_targetILNS1_3genE10ELNS1_11target_archE1201ELNS1_3gpuE5ELNS1_3repE0EEENS1_30default_config_static_selectorELNS0_4arch9wavefront6targetE1EEEvSP_
	.p2align	8
	.type	_ZN7rocprim17ROCPRIM_400000_NS6detail17trampoline_kernelINS0_14default_configENS1_21merge_config_selectorItNS0_10empty_typeEEEZNS1_10merge_implIS3_N6thrust23THRUST_200600_302600_NS6detail15normal_iteratorINS9_10device_ptrIKtEEEESF_NSB_INSC_ItEEEEPS5_SI_SI_NS9_4lessItEEEE10hipError_tPvRmT0_T1_T2_T3_T4_T5_mmT6_P12ihipStream_tbEUlT_E0_NS1_11comp_targetILNS1_3genE10ELNS1_11target_archE1201ELNS1_3gpuE5ELNS1_3repE0EEENS1_30default_config_static_selectorELNS0_4arch9wavefront6targetE1EEEvSP_,@function
_ZN7rocprim17ROCPRIM_400000_NS6detail17trampoline_kernelINS0_14default_configENS1_21merge_config_selectorItNS0_10empty_typeEEEZNS1_10merge_implIS3_N6thrust23THRUST_200600_302600_NS6detail15normal_iteratorINS9_10device_ptrIKtEEEESF_NSB_INSC_ItEEEEPS5_SI_SI_NS9_4lessItEEEE10hipError_tPvRmT0_T1_T2_T3_T4_T5_mmT6_P12ihipStream_tbEUlT_E0_NS1_11comp_targetILNS1_3genE10ELNS1_11target_archE1201ELNS1_3gpuE5ELNS1_3repE0EEENS1_30default_config_static_selectorELNS0_4arch9wavefront6targetE1EEEvSP_: ; @_ZN7rocprim17ROCPRIM_400000_NS6detail17trampoline_kernelINS0_14default_configENS1_21merge_config_selectorItNS0_10empty_typeEEEZNS1_10merge_implIS3_N6thrust23THRUST_200600_302600_NS6detail15normal_iteratorINS9_10device_ptrIKtEEEESF_NSB_INSC_ItEEEEPS5_SI_SI_NS9_4lessItEEEE10hipError_tPvRmT0_T1_T2_T3_T4_T5_mmT6_P12ihipStream_tbEUlT_E0_NS1_11comp_targetILNS1_3genE10ELNS1_11target_archE1201ELNS1_3gpuE5ELNS1_3repE0EEENS1_30default_config_static_selectorELNS0_4arch9wavefront6targetE1EEEvSP_
; %bb.0:
	.section	.rodata,"a",@progbits
	.p2align	6, 0x0
	.amdhsa_kernel _ZN7rocprim17ROCPRIM_400000_NS6detail17trampoline_kernelINS0_14default_configENS1_21merge_config_selectorItNS0_10empty_typeEEEZNS1_10merge_implIS3_N6thrust23THRUST_200600_302600_NS6detail15normal_iteratorINS9_10device_ptrIKtEEEESF_NSB_INSC_ItEEEEPS5_SI_SI_NS9_4lessItEEEE10hipError_tPvRmT0_T1_T2_T3_T4_T5_mmT6_P12ihipStream_tbEUlT_E0_NS1_11comp_targetILNS1_3genE10ELNS1_11target_archE1201ELNS1_3gpuE5ELNS1_3repE0EEENS1_30default_config_static_selectorELNS0_4arch9wavefront6targetE1EEEvSP_
		.amdhsa_group_segment_fixed_size 0
		.amdhsa_private_segment_fixed_size 0
		.amdhsa_kernarg_size 88
		.amdhsa_user_sgpr_count 6
		.amdhsa_user_sgpr_private_segment_buffer 1
		.amdhsa_user_sgpr_dispatch_ptr 0
		.amdhsa_user_sgpr_queue_ptr 0
		.amdhsa_user_sgpr_kernarg_segment_ptr 1
		.amdhsa_user_sgpr_dispatch_id 0
		.amdhsa_user_sgpr_flat_scratch_init 0
		.amdhsa_user_sgpr_kernarg_preload_length 0
		.amdhsa_user_sgpr_kernarg_preload_offset 0
		.amdhsa_user_sgpr_private_segment_size 0
		.amdhsa_uses_dynamic_stack 0
		.amdhsa_system_sgpr_private_segment_wavefront_offset 0
		.amdhsa_system_sgpr_workgroup_id_x 1
		.amdhsa_system_sgpr_workgroup_id_y 0
		.amdhsa_system_sgpr_workgroup_id_z 0
		.amdhsa_system_sgpr_workgroup_info 0
		.amdhsa_system_vgpr_workitem_id 0
		.amdhsa_next_free_vgpr 1
		.amdhsa_next_free_sgpr 0
		.amdhsa_accum_offset 4
		.amdhsa_reserve_vcc 0
		.amdhsa_reserve_flat_scratch 0
		.amdhsa_float_round_mode_32 0
		.amdhsa_float_round_mode_16_64 0
		.amdhsa_float_denorm_mode_32 3
		.amdhsa_float_denorm_mode_16_64 3
		.amdhsa_dx10_clamp 1
		.amdhsa_ieee_mode 1
		.amdhsa_fp16_overflow 0
		.amdhsa_tg_split 0
		.amdhsa_exception_fp_ieee_invalid_op 0
		.amdhsa_exception_fp_denorm_src 0
		.amdhsa_exception_fp_ieee_div_zero 0
		.amdhsa_exception_fp_ieee_overflow 0
		.amdhsa_exception_fp_ieee_underflow 0
		.amdhsa_exception_fp_ieee_inexact 0
		.amdhsa_exception_int_div_zero 0
	.end_amdhsa_kernel
	.section	.text._ZN7rocprim17ROCPRIM_400000_NS6detail17trampoline_kernelINS0_14default_configENS1_21merge_config_selectorItNS0_10empty_typeEEEZNS1_10merge_implIS3_N6thrust23THRUST_200600_302600_NS6detail15normal_iteratorINS9_10device_ptrIKtEEEESF_NSB_INSC_ItEEEEPS5_SI_SI_NS9_4lessItEEEE10hipError_tPvRmT0_T1_T2_T3_T4_T5_mmT6_P12ihipStream_tbEUlT_E0_NS1_11comp_targetILNS1_3genE10ELNS1_11target_archE1201ELNS1_3gpuE5ELNS1_3repE0EEENS1_30default_config_static_selectorELNS0_4arch9wavefront6targetE1EEEvSP_,"axG",@progbits,_ZN7rocprim17ROCPRIM_400000_NS6detail17trampoline_kernelINS0_14default_configENS1_21merge_config_selectorItNS0_10empty_typeEEEZNS1_10merge_implIS3_N6thrust23THRUST_200600_302600_NS6detail15normal_iteratorINS9_10device_ptrIKtEEEESF_NSB_INSC_ItEEEEPS5_SI_SI_NS9_4lessItEEEE10hipError_tPvRmT0_T1_T2_T3_T4_T5_mmT6_P12ihipStream_tbEUlT_E0_NS1_11comp_targetILNS1_3genE10ELNS1_11target_archE1201ELNS1_3gpuE5ELNS1_3repE0EEENS1_30default_config_static_selectorELNS0_4arch9wavefront6targetE1EEEvSP_,comdat
.Lfunc_end184:
	.size	_ZN7rocprim17ROCPRIM_400000_NS6detail17trampoline_kernelINS0_14default_configENS1_21merge_config_selectorItNS0_10empty_typeEEEZNS1_10merge_implIS3_N6thrust23THRUST_200600_302600_NS6detail15normal_iteratorINS9_10device_ptrIKtEEEESF_NSB_INSC_ItEEEEPS5_SI_SI_NS9_4lessItEEEE10hipError_tPvRmT0_T1_T2_T3_T4_T5_mmT6_P12ihipStream_tbEUlT_E0_NS1_11comp_targetILNS1_3genE10ELNS1_11target_archE1201ELNS1_3gpuE5ELNS1_3repE0EEENS1_30default_config_static_selectorELNS0_4arch9wavefront6targetE1EEEvSP_, .Lfunc_end184-_ZN7rocprim17ROCPRIM_400000_NS6detail17trampoline_kernelINS0_14default_configENS1_21merge_config_selectorItNS0_10empty_typeEEEZNS1_10merge_implIS3_N6thrust23THRUST_200600_302600_NS6detail15normal_iteratorINS9_10device_ptrIKtEEEESF_NSB_INSC_ItEEEEPS5_SI_SI_NS9_4lessItEEEE10hipError_tPvRmT0_T1_T2_T3_T4_T5_mmT6_P12ihipStream_tbEUlT_E0_NS1_11comp_targetILNS1_3genE10ELNS1_11target_archE1201ELNS1_3gpuE5ELNS1_3repE0EEENS1_30default_config_static_selectorELNS0_4arch9wavefront6targetE1EEEvSP_
                                        ; -- End function
	.section	.AMDGPU.csdata,"",@progbits
; Kernel info:
; codeLenInByte = 0
; NumSgprs: 4
; NumVgprs: 0
; NumAgprs: 0
; TotalNumVgprs: 0
; ScratchSize: 0
; MemoryBound: 0
; FloatMode: 240
; IeeeMode: 1
; LDSByteSize: 0 bytes/workgroup (compile time only)
; SGPRBlocks: 0
; VGPRBlocks: 0
; NumSGPRsForWavesPerEU: 4
; NumVGPRsForWavesPerEU: 1
; AccumOffset: 4
; Occupancy: 8
; WaveLimiterHint : 0
; COMPUTE_PGM_RSRC2:SCRATCH_EN: 0
; COMPUTE_PGM_RSRC2:USER_SGPR: 6
; COMPUTE_PGM_RSRC2:TRAP_HANDLER: 0
; COMPUTE_PGM_RSRC2:TGID_X_EN: 1
; COMPUTE_PGM_RSRC2:TGID_Y_EN: 0
; COMPUTE_PGM_RSRC2:TGID_Z_EN: 0
; COMPUTE_PGM_RSRC2:TIDIG_COMP_CNT: 0
; COMPUTE_PGM_RSRC3_GFX90A:ACCUM_OFFSET: 0
; COMPUTE_PGM_RSRC3_GFX90A:TG_SPLIT: 0
	.section	.text._ZN7rocprim17ROCPRIM_400000_NS6detail17trampoline_kernelINS0_14default_configENS1_21merge_config_selectorItNS0_10empty_typeEEEZNS1_10merge_implIS3_N6thrust23THRUST_200600_302600_NS6detail15normal_iteratorINS9_10device_ptrIKtEEEESF_NSB_INSC_ItEEEEPS5_SI_SI_NS9_4lessItEEEE10hipError_tPvRmT0_T1_T2_T3_T4_T5_mmT6_P12ihipStream_tbEUlT_E0_NS1_11comp_targetILNS1_3genE10ELNS1_11target_archE1200ELNS1_3gpuE4ELNS1_3repE0EEENS1_30default_config_static_selectorELNS0_4arch9wavefront6targetE1EEEvSP_,"axG",@progbits,_ZN7rocprim17ROCPRIM_400000_NS6detail17trampoline_kernelINS0_14default_configENS1_21merge_config_selectorItNS0_10empty_typeEEEZNS1_10merge_implIS3_N6thrust23THRUST_200600_302600_NS6detail15normal_iteratorINS9_10device_ptrIKtEEEESF_NSB_INSC_ItEEEEPS5_SI_SI_NS9_4lessItEEEE10hipError_tPvRmT0_T1_T2_T3_T4_T5_mmT6_P12ihipStream_tbEUlT_E0_NS1_11comp_targetILNS1_3genE10ELNS1_11target_archE1200ELNS1_3gpuE4ELNS1_3repE0EEENS1_30default_config_static_selectorELNS0_4arch9wavefront6targetE1EEEvSP_,comdat
	.protected	_ZN7rocprim17ROCPRIM_400000_NS6detail17trampoline_kernelINS0_14default_configENS1_21merge_config_selectorItNS0_10empty_typeEEEZNS1_10merge_implIS3_N6thrust23THRUST_200600_302600_NS6detail15normal_iteratorINS9_10device_ptrIKtEEEESF_NSB_INSC_ItEEEEPS5_SI_SI_NS9_4lessItEEEE10hipError_tPvRmT0_T1_T2_T3_T4_T5_mmT6_P12ihipStream_tbEUlT_E0_NS1_11comp_targetILNS1_3genE10ELNS1_11target_archE1200ELNS1_3gpuE4ELNS1_3repE0EEENS1_30default_config_static_selectorELNS0_4arch9wavefront6targetE1EEEvSP_ ; -- Begin function _ZN7rocprim17ROCPRIM_400000_NS6detail17trampoline_kernelINS0_14default_configENS1_21merge_config_selectorItNS0_10empty_typeEEEZNS1_10merge_implIS3_N6thrust23THRUST_200600_302600_NS6detail15normal_iteratorINS9_10device_ptrIKtEEEESF_NSB_INSC_ItEEEEPS5_SI_SI_NS9_4lessItEEEE10hipError_tPvRmT0_T1_T2_T3_T4_T5_mmT6_P12ihipStream_tbEUlT_E0_NS1_11comp_targetILNS1_3genE10ELNS1_11target_archE1200ELNS1_3gpuE4ELNS1_3repE0EEENS1_30default_config_static_selectorELNS0_4arch9wavefront6targetE1EEEvSP_
	.globl	_ZN7rocprim17ROCPRIM_400000_NS6detail17trampoline_kernelINS0_14default_configENS1_21merge_config_selectorItNS0_10empty_typeEEEZNS1_10merge_implIS3_N6thrust23THRUST_200600_302600_NS6detail15normal_iteratorINS9_10device_ptrIKtEEEESF_NSB_INSC_ItEEEEPS5_SI_SI_NS9_4lessItEEEE10hipError_tPvRmT0_T1_T2_T3_T4_T5_mmT6_P12ihipStream_tbEUlT_E0_NS1_11comp_targetILNS1_3genE10ELNS1_11target_archE1200ELNS1_3gpuE4ELNS1_3repE0EEENS1_30default_config_static_selectorELNS0_4arch9wavefront6targetE1EEEvSP_
	.p2align	8
	.type	_ZN7rocprim17ROCPRIM_400000_NS6detail17trampoline_kernelINS0_14default_configENS1_21merge_config_selectorItNS0_10empty_typeEEEZNS1_10merge_implIS3_N6thrust23THRUST_200600_302600_NS6detail15normal_iteratorINS9_10device_ptrIKtEEEESF_NSB_INSC_ItEEEEPS5_SI_SI_NS9_4lessItEEEE10hipError_tPvRmT0_T1_T2_T3_T4_T5_mmT6_P12ihipStream_tbEUlT_E0_NS1_11comp_targetILNS1_3genE10ELNS1_11target_archE1200ELNS1_3gpuE4ELNS1_3repE0EEENS1_30default_config_static_selectorELNS0_4arch9wavefront6targetE1EEEvSP_,@function
_ZN7rocprim17ROCPRIM_400000_NS6detail17trampoline_kernelINS0_14default_configENS1_21merge_config_selectorItNS0_10empty_typeEEEZNS1_10merge_implIS3_N6thrust23THRUST_200600_302600_NS6detail15normal_iteratorINS9_10device_ptrIKtEEEESF_NSB_INSC_ItEEEEPS5_SI_SI_NS9_4lessItEEEE10hipError_tPvRmT0_T1_T2_T3_T4_T5_mmT6_P12ihipStream_tbEUlT_E0_NS1_11comp_targetILNS1_3genE10ELNS1_11target_archE1200ELNS1_3gpuE4ELNS1_3repE0EEENS1_30default_config_static_selectorELNS0_4arch9wavefront6targetE1EEEvSP_: ; @_ZN7rocprim17ROCPRIM_400000_NS6detail17trampoline_kernelINS0_14default_configENS1_21merge_config_selectorItNS0_10empty_typeEEEZNS1_10merge_implIS3_N6thrust23THRUST_200600_302600_NS6detail15normal_iteratorINS9_10device_ptrIKtEEEESF_NSB_INSC_ItEEEEPS5_SI_SI_NS9_4lessItEEEE10hipError_tPvRmT0_T1_T2_T3_T4_T5_mmT6_P12ihipStream_tbEUlT_E0_NS1_11comp_targetILNS1_3genE10ELNS1_11target_archE1200ELNS1_3gpuE4ELNS1_3repE0EEENS1_30default_config_static_selectorELNS0_4arch9wavefront6targetE1EEEvSP_
; %bb.0:
	.section	.rodata,"a",@progbits
	.p2align	6, 0x0
	.amdhsa_kernel _ZN7rocprim17ROCPRIM_400000_NS6detail17trampoline_kernelINS0_14default_configENS1_21merge_config_selectorItNS0_10empty_typeEEEZNS1_10merge_implIS3_N6thrust23THRUST_200600_302600_NS6detail15normal_iteratorINS9_10device_ptrIKtEEEESF_NSB_INSC_ItEEEEPS5_SI_SI_NS9_4lessItEEEE10hipError_tPvRmT0_T1_T2_T3_T4_T5_mmT6_P12ihipStream_tbEUlT_E0_NS1_11comp_targetILNS1_3genE10ELNS1_11target_archE1200ELNS1_3gpuE4ELNS1_3repE0EEENS1_30default_config_static_selectorELNS0_4arch9wavefront6targetE1EEEvSP_
		.amdhsa_group_segment_fixed_size 0
		.amdhsa_private_segment_fixed_size 0
		.amdhsa_kernarg_size 88
		.amdhsa_user_sgpr_count 6
		.amdhsa_user_sgpr_private_segment_buffer 1
		.amdhsa_user_sgpr_dispatch_ptr 0
		.amdhsa_user_sgpr_queue_ptr 0
		.amdhsa_user_sgpr_kernarg_segment_ptr 1
		.amdhsa_user_sgpr_dispatch_id 0
		.amdhsa_user_sgpr_flat_scratch_init 0
		.amdhsa_user_sgpr_kernarg_preload_length 0
		.amdhsa_user_sgpr_kernarg_preload_offset 0
		.amdhsa_user_sgpr_private_segment_size 0
		.amdhsa_uses_dynamic_stack 0
		.amdhsa_system_sgpr_private_segment_wavefront_offset 0
		.amdhsa_system_sgpr_workgroup_id_x 1
		.amdhsa_system_sgpr_workgroup_id_y 0
		.amdhsa_system_sgpr_workgroup_id_z 0
		.amdhsa_system_sgpr_workgroup_info 0
		.amdhsa_system_vgpr_workitem_id 0
		.amdhsa_next_free_vgpr 1
		.amdhsa_next_free_sgpr 0
		.amdhsa_accum_offset 4
		.amdhsa_reserve_vcc 0
		.amdhsa_reserve_flat_scratch 0
		.amdhsa_float_round_mode_32 0
		.amdhsa_float_round_mode_16_64 0
		.amdhsa_float_denorm_mode_32 3
		.amdhsa_float_denorm_mode_16_64 3
		.amdhsa_dx10_clamp 1
		.amdhsa_ieee_mode 1
		.amdhsa_fp16_overflow 0
		.amdhsa_tg_split 0
		.amdhsa_exception_fp_ieee_invalid_op 0
		.amdhsa_exception_fp_denorm_src 0
		.amdhsa_exception_fp_ieee_div_zero 0
		.amdhsa_exception_fp_ieee_overflow 0
		.amdhsa_exception_fp_ieee_underflow 0
		.amdhsa_exception_fp_ieee_inexact 0
		.amdhsa_exception_int_div_zero 0
	.end_amdhsa_kernel
	.section	.text._ZN7rocprim17ROCPRIM_400000_NS6detail17trampoline_kernelINS0_14default_configENS1_21merge_config_selectorItNS0_10empty_typeEEEZNS1_10merge_implIS3_N6thrust23THRUST_200600_302600_NS6detail15normal_iteratorINS9_10device_ptrIKtEEEESF_NSB_INSC_ItEEEEPS5_SI_SI_NS9_4lessItEEEE10hipError_tPvRmT0_T1_T2_T3_T4_T5_mmT6_P12ihipStream_tbEUlT_E0_NS1_11comp_targetILNS1_3genE10ELNS1_11target_archE1200ELNS1_3gpuE4ELNS1_3repE0EEENS1_30default_config_static_selectorELNS0_4arch9wavefront6targetE1EEEvSP_,"axG",@progbits,_ZN7rocprim17ROCPRIM_400000_NS6detail17trampoline_kernelINS0_14default_configENS1_21merge_config_selectorItNS0_10empty_typeEEEZNS1_10merge_implIS3_N6thrust23THRUST_200600_302600_NS6detail15normal_iteratorINS9_10device_ptrIKtEEEESF_NSB_INSC_ItEEEEPS5_SI_SI_NS9_4lessItEEEE10hipError_tPvRmT0_T1_T2_T3_T4_T5_mmT6_P12ihipStream_tbEUlT_E0_NS1_11comp_targetILNS1_3genE10ELNS1_11target_archE1200ELNS1_3gpuE4ELNS1_3repE0EEENS1_30default_config_static_selectorELNS0_4arch9wavefront6targetE1EEEvSP_,comdat
.Lfunc_end185:
	.size	_ZN7rocprim17ROCPRIM_400000_NS6detail17trampoline_kernelINS0_14default_configENS1_21merge_config_selectorItNS0_10empty_typeEEEZNS1_10merge_implIS3_N6thrust23THRUST_200600_302600_NS6detail15normal_iteratorINS9_10device_ptrIKtEEEESF_NSB_INSC_ItEEEEPS5_SI_SI_NS9_4lessItEEEE10hipError_tPvRmT0_T1_T2_T3_T4_T5_mmT6_P12ihipStream_tbEUlT_E0_NS1_11comp_targetILNS1_3genE10ELNS1_11target_archE1200ELNS1_3gpuE4ELNS1_3repE0EEENS1_30default_config_static_selectorELNS0_4arch9wavefront6targetE1EEEvSP_, .Lfunc_end185-_ZN7rocprim17ROCPRIM_400000_NS6detail17trampoline_kernelINS0_14default_configENS1_21merge_config_selectorItNS0_10empty_typeEEEZNS1_10merge_implIS3_N6thrust23THRUST_200600_302600_NS6detail15normal_iteratorINS9_10device_ptrIKtEEEESF_NSB_INSC_ItEEEEPS5_SI_SI_NS9_4lessItEEEE10hipError_tPvRmT0_T1_T2_T3_T4_T5_mmT6_P12ihipStream_tbEUlT_E0_NS1_11comp_targetILNS1_3genE10ELNS1_11target_archE1200ELNS1_3gpuE4ELNS1_3repE0EEENS1_30default_config_static_selectorELNS0_4arch9wavefront6targetE1EEEvSP_
                                        ; -- End function
	.section	.AMDGPU.csdata,"",@progbits
; Kernel info:
; codeLenInByte = 0
; NumSgprs: 4
; NumVgprs: 0
; NumAgprs: 0
; TotalNumVgprs: 0
; ScratchSize: 0
; MemoryBound: 0
; FloatMode: 240
; IeeeMode: 1
; LDSByteSize: 0 bytes/workgroup (compile time only)
; SGPRBlocks: 0
; VGPRBlocks: 0
; NumSGPRsForWavesPerEU: 4
; NumVGPRsForWavesPerEU: 1
; AccumOffset: 4
; Occupancy: 8
; WaveLimiterHint : 0
; COMPUTE_PGM_RSRC2:SCRATCH_EN: 0
; COMPUTE_PGM_RSRC2:USER_SGPR: 6
; COMPUTE_PGM_RSRC2:TRAP_HANDLER: 0
; COMPUTE_PGM_RSRC2:TGID_X_EN: 1
; COMPUTE_PGM_RSRC2:TGID_Y_EN: 0
; COMPUTE_PGM_RSRC2:TGID_Z_EN: 0
; COMPUTE_PGM_RSRC2:TIDIG_COMP_CNT: 0
; COMPUTE_PGM_RSRC3_GFX90A:ACCUM_OFFSET: 0
; COMPUTE_PGM_RSRC3_GFX90A:TG_SPLIT: 0
	.section	.text._ZN7rocprim17ROCPRIM_400000_NS6detail17trampoline_kernelINS0_14default_configENS1_21merge_config_selectorItNS0_10empty_typeEEEZNS1_10merge_implIS3_N6thrust23THRUST_200600_302600_NS6detail15normal_iteratorINS9_10device_ptrIKtEEEESF_NSB_INSC_ItEEEEPS5_SI_SI_NS9_4lessItEEEE10hipError_tPvRmT0_T1_T2_T3_T4_T5_mmT6_P12ihipStream_tbEUlT_E0_NS1_11comp_targetILNS1_3genE9ELNS1_11target_archE1100ELNS1_3gpuE3ELNS1_3repE0EEENS1_30default_config_static_selectorELNS0_4arch9wavefront6targetE1EEEvSP_,"axG",@progbits,_ZN7rocprim17ROCPRIM_400000_NS6detail17trampoline_kernelINS0_14default_configENS1_21merge_config_selectorItNS0_10empty_typeEEEZNS1_10merge_implIS3_N6thrust23THRUST_200600_302600_NS6detail15normal_iteratorINS9_10device_ptrIKtEEEESF_NSB_INSC_ItEEEEPS5_SI_SI_NS9_4lessItEEEE10hipError_tPvRmT0_T1_T2_T3_T4_T5_mmT6_P12ihipStream_tbEUlT_E0_NS1_11comp_targetILNS1_3genE9ELNS1_11target_archE1100ELNS1_3gpuE3ELNS1_3repE0EEENS1_30default_config_static_selectorELNS0_4arch9wavefront6targetE1EEEvSP_,comdat
	.protected	_ZN7rocprim17ROCPRIM_400000_NS6detail17trampoline_kernelINS0_14default_configENS1_21merge_config_selectorItNS0_10empty_typeEEEZNS1_10merge_implIS3_N6thrust23THRUST_200600_302600_NS6detail15normal_iteratorINS9_10device_ptrIKtEEEESF_NSB_INSC_ItEEEEPS5_SI_SI_NS9_4lessItEEEE10hipError_tPvRmT0_T1_T2_T3_T4_T5_mmT6_P12ihipStream_tbEUlT_E0_NS1_11comp_targetILNS1_3genE9ELNS1_11target_archE1100ELNS1_3gpuE3ELNS1_3repE0EEENS1_30default_config_static_selectorELNS0_4arch9wavefront6targetE1EEEvSP_ ; -- Begin function _ZN7rocprim17ROCPRIM_400000_NS6detail17trampoline_kernelINS0_14default_configENS1_21merge_config_selectorItNS0_10empty_typeEEEZNS1_10merge_implIS3_N6thrust23THRUST_200600_302600_NS6detail15normal_iteratorINS9_10device_ptrIKtEEEESF_NSB_INSC_ItEEEEPS5_SI_SI_NS9_4lessItEEEE10hipError_tPvRmT0_T1_T2_T3_T4_T5_mmT6_P12ihipStream_tbEUlT_E0_NS1_11comp_targetILNS1_3genE9ELNS1_11target_archE1100ELNS1_3gpuE3ELNS1_3repE0EEENS1_30default_config_static_selectorELNS0_4arch9wavefront6targetE1EEEvSP_
	.globl	_ZN7rocprim17ROCPRIM_400000_NS6detail17trampoline_kernelINS0_14default_configENS1_21merge_config_selectorItNS0_10empty_typeEEEZNS1_10merge_implIS3_N6thrust23THRUST_200600_302600_NS6detail15normal_iteratorINS9_10device_ptrIKtEEEESF_NSB_INSC_ItEEEEPS5_SI_SI_NS9_4lessItEEEE10hipError_tPvRmT0_T1_T2_T3_T4_T5_mmT6_P12ihipStream_tbEUlT_E0_NS1_11comp_targetILNS1_3genE9ELNS1_11target_archE1100ELNS1_3gpuE3ELNS1_3repE0EEENS1_30default_config_static_selectorELNS0_4arch9wavefront6targetE1EEEvSP_
	.p2align	8
	.type	_ZN7rocprim17ROCPRIM_400000_NS6detail17trampoline_kernelINS0_14default_configENS1_21merge_config_selectorItNS0_10empty_typeEEEZNS1_10merge_implIS3_N6thrust23THRUST_200600_302600_NS6detail15normal_iteratorINS9_10device_ptrIKtEEEESF_NSB_INSC_ItEEEEPS5_SI_SI_NS9_4lessItEEEE10hipError_tPvRmT0_T1_T2_T3_T4_T5_mmT6_P12ihipStream_tbEUlT_E0_NS1_11comp_targetILNS1_3genE9ELNS1_11target_archE1100ELNS1_3gpuE3ELNS1_3repE0EEENS1_30default_config_static_selectorELNS0_4arch9wavefront6targetE1EEEvSP_,@function
_ZN7rocprim17ROCPRIM_400000_NS6detail17trampoline_kernelINS0_14default_configENS1_21merge_config_selectorItNS0_10empty_typeEEEZNS1_10merge_implIS3_N6thrust23THRUST_200600_302600_NS6detail15normal_iteratorINS9_10device_ptrIKtEEEESF_NSB_INSC_ItEEEEPS5_SI_SI_NS9_4lessItEEEE10hipError_tPvRmT0_T1_T2_T3_T4_T5_mmT6_P12ihipStream_tbEUlT_E0_NS1_11comp_targetILNS1_3genE9ELNS1_11target_archE1100ELNS1_3gpuE3ELNS1_3repE0EEENS1_30default_config_static_selectorELNS0_4arch9wavefront6targetE1EEEvSP_: ; @_ZN7rocprim17ROCPRIM_400000_NS6detail17trampoline_kernelINS0_14default_configENS1_21merge_config_selectorItNS0_10empty_typeEEEZNS1_10merge_implIS3_N6thrust23THRUST_200600_302600_NS6detail15normal_iteratorINS9_10device_ptrIKtEEEESF_NSB_INSC_ItEEEEPS5_SI_SI_NS9_4lessItEEEE10hipError_tPvRmT0_T1_T2_T3_T4_T5_mmT6_P12ihipStream_tbEUlT_E0_NS1_11comp_targetILNS1_3genE9ELNS1_11target_archE1100ELNS1_3gpuE3ELNS1_3repE0EEENS1_30default_config_static_selectorELNS0_4arch9wavefront6targetE1EEEvSP_
; %bb.0:
	.section	.rodata,"a",@progbits
	.p2align	6, 0x0
	.amdhsa_kernel _ZN7rocprim17ROCPRIM_400000_NS6detail17trampoline_kernelINS0_14default_configENS1_21merge_config_selectorItNS0_10empty_typeEEEZNS1_10merge_implIS3_N6thrust23THRUST_200600_302600_NS6detail15normal_iteratorINS9_10device_ptrIKtEEEESF_NSB_INSC_ItEEEEPS5_SI_SI_NS9_4lessItEEEE10hipError_tPvRmT0_T1_T2_T3_T4_T5_mmT6_P12ihipStream_tbEUlT_E0_NS1_11comp_targetILNS1_3genE9ELNS1_11target_archE1100ELNS1_3gpuE3ELNS1_3repE0EEENS1_30default_config_static_selectorELNS0_4arch9wavefront6targetE1EEEvSP_
		.amdhsa_group_segment_fixed_size 0
		.amdhsa_private_segment_fixed_size 0
		.amdhsa_kernarg_size 88
		.amdhsa_user_sgpr_count 6
		.amdhsa_user_sgpr_private_segment_buffer 1
		.amdhsa_user_sgpr_dispatch_ptr 0
		.amdhsa_user_sgpr_queue_ptr 0
		.amdhsa_user_sgpr_kernarg_segment_ptr 1
		.amdhsa_user_sgpr_dispatch_id 0
		.amdhsa_user_sgpr_flat_scratch_init 0
		.amdhsa_user_sgpr_kernarg_preload_length 0
		.amdhsa_user_sgpr_kernarg_preload_offset 0
		.amdhsa_user_sgpr_private_segment_size 0
		.amdhsa_uses_dynamic_stack 0
		.amdhsa_system_sgpr_private_segment_wavefront_offset 0
		.amdhsa_system_sgpr_workgroup_id_x 1
		.amdhsa_system_sgpr_workgroup_id_y 0
		.amdhsa_system_sgpr_workgroup_id_z 0
		.amdhsa_system_sgpr_workgroup_info 0
		.amdhsa_system_vgpr_workitem_id 0
		.amdhsa_next_free_vgpr 1
		.amdhsa_next_free_sgpr 0
		.amdhsa_accum_offset 4
		.amdhsa_reserve_vcc 0
		.amdhsa_reserve_flat_scratch 0
		.amdhsa_float_round_mode_32 0
		.amdhsa_float_round_mode_16_64 0
		.amdhsa_float_denorm_mode_32 3
		.amdhsa_float_denorm_mode_16_64 3
		.amdhsa_dx10_clamp 1
		.amdhsa_ieee_mode 1
		.amdhsa_fp16_overflow 0
		.amdhsa_tg_split 0
		.amdhsa_exception_fp_ieee_invalid_op 0
		.amdhsa_exception_fp_denorm_src 0
		.amdhsa_exception_fp_ieee_div_zero 0
		.amdhsa_exception_fp_ieee_overflow 0
		.amdhsa_exception_fp_ieee_underflow 0
		.amdhsa_exception_fp_ieee_inexact 0
		.amdhsa_exception_int_div_zero 0
	.end_amdhsa_kernel
	.section	.text._ZN7rocprim17ROCPRIM_400000_NS6detail17trampoline_kernelINS0_14default_configENS1_21merge_config_selectorItNS0_10empty_typeEEEZNS1_10merge_implIS3_N6thrust23THRUST_200600_302600_NS6detail15normal_iteratorINS9_10device_ptrIKtEEEESF_NSB_INSC_ItEEEEPS5_SI_SI_NS9_4lessItEEEE10hipError_tPvRmT0_T1_T2_T3_T4_T5_mmT6_P12ihipStream_tbEUlT_E0_NS1_11comp_targetILNS1_3genE9ELNS1_11target_archE1100ELNS1_3gpuE3ELNS1_3repE0EEENS1_30default_config_static_selectorELNS0_4arch9wavefront6targetE1EEEvSP_,"axG",@progbits,_ZN7rocprim17ROCPRIM_400000_NS6detail17trampoline_kernelINS0_14default_configENS1_21merge_config_selectorItNS0_10empty_typeEEEZNS1_10merge_implIS3_N6thrust23THRUST_200600_302600_NS6detail15normal_iteratorINS9_10device_ptrIKtEEEESF_NSB_INSC_ItEEEEPS5_SI_SI_NS9_4lessItEEEE10hipError_tPvRmT0_T1_T2_T3_T4_T5_mmT6_P12ihipStream_tbEUlT_E0_NS1_11comp_targetILNS1_3genE9ELNS1_11target_archE1100ELNS1_3gpuE3ELNS1_3repE0EEENS1_30default_config_static_selectorELNS0_4arch9wavefront6targetE1EEEvSP_,comdat
.Lfunc_end186:
	.size	_ZN7rocprim17ROCPRIM_400000_NS6detail17trampoline_kernelINS0_14default_configENS1_21merge_config_selectorItNS0_10empty_typeEEEZNS1_10merge_implIS3_N6thrust23THRUST_200600_302600_NS6detail15normal_iteratorINS9_10device_ptrIKtEEEESF_NSB_INSC_ItEEEEPS5_SI_SI_NS9_4lessItEEEE10hipError_tPvRmT0_T1_T2_T3_T4_T5_mmT6_P12ihipStream_tbEUlT_E0_NS1_11comp_targetILNS1_3genE9ELNS1_11target_archE1100ELNS1_3gpuE3ELNS1_3repE0EEENS1_30default_config_static_selectorELNS0_4arch9wavefront6targetE1EEEvSP_, .Lfunc_end186-_ZN7rocprim17ROCPRIM_400000_NS6detail17trampoline_kernelINS0_14default_configENS1_21merge_config_selectorItNS0_10empty_typeEEEZNS1_10merge_implIS3_N6thrust23THRUST_200600_302600_NS6detail15normal_iteratorINS9_10device_ptrIKtEEEESF_NSB_INSC_ItEEEEPS5_SI_SI_NS9_4lessItEEEE10hipError_tPvRmT0_T1_T2_T3_T4_T5_mmT6_P12ihipStream_tbEUlT_E0_NS1_11comp_targetILNS1_3genE9ELNS1_11target_archE1100ELNS1_3gpuE3ELNS1_3repE0EEENS1_30default_config_static_selectorELNS0_4arch9wavefront6targetE1EEEvSP_
                                        ; -- End function
	.section	.AMDGPU.csdata,"",@progbits
; Kernel info:
; codeLenInByte = 0
; NumSgprs: 4
; NumVgprs: 0
; NumAgprs: 0
; TotalNumVgprs: 0
; ScratchSize: 0
; MemoryBound: 0
; FloatMode: 240
; IeeeMode: 1
; LDSByteSize: 0 bytes/workgroup (compile time only)
; SGPRBlocks: 0
; VGPRBlocks: 0
; NumSGPRsForWavesPerEU: 4
; NumVGPRsForWavesPerEU: 1
; AccumOffset: 4
; Occupancy: 8
; WaveLimiterHint : 0
; COMPUTE_PGM_RSRC2:SCRATCH_EN: 0
; COMPUTE_PGM_RSRC2:USER_SGPR: 6
; COMPUTE_PGM_RSRC2:TRAP_HANDLER: 0
; COMPUTE_PGM_RSRC2:TGID_X_EN: 1
; COMPUTE_PGM_RSRC2:TGID_Y_EN: 0
; COMPUTE_PGM_RSRC2:TGID_Z_EN: 0
; COMPUTE_PGM_RSRC2:TIDIG_COMP_CNT: 0
; COMPUTE_PGM_RSRC3_GFX90A:ACCUM_OFFSET: 0
; COMPUTE_PGM_RSRC3_GFX90A:TG_SPLIT: 0
	.section	.text._ZN7rocprim17ROCPRIM_400000_NS6detail17trampoline_kernelINS0_14default_configENS1_21merge_config_selectorItNS0_10empty_typeEEEZNS1_10merge_implIS3_N6thrust23THRUST_200600_302600_NS6detail15normal_iteratorINS9_10device_ptrIKtEEEESF_NSB_INSC_ItEEEEPS5_SI_SI_NS9_4lessItEEEE10hipError_tPvRmT0_T1_T2_T3_T4_T5_mmT6_P12ihipStream_tbEUlT_E0_NS1_11comp_targetILNS1_3genE8ELNS1_11target_archE1030ELNS1_3gpuE2ELNS1_3repE0EEENS1_30default_config_static_selectorELNS0_4arch9wavefront6targetE1EEEvSP_,"axG",@progbits,_ZN7rocprim17ROCPRIM_400000_NS6detail17trampoline_kernelINS0_14default_configENS1_21merge_config_selectorItNS0_10empty_typeEEEZNS1_10merge_implIS3_N6thrust23THRUST_200600_302600_NS6detail15normal_iteratorINS9_10device_ptrIKtEEEESF_NSB_INSC_ItEEEEPS5_SI_SI_NS9_4lessItEEEE10hipError_tPvRmT0_T1_T2_T3_T4_T5_mmT6_P12ihipStream_tbEUlT_E0_NS1_11comp_targetILNS1_3genE8ELNS1_11target_archE1030ELNS1_3gpuE2ELNS1_3repE0EEENS1_30default_config_static_selectorELNS0_4arch9wavefront6targetE1EEEvSP_,comdat
	.protected	_ZN7rocprim17ROCPRIM_400000_NS6detail17trampoline_kernelINS0_14default_configENS1_21merge_config_selectorItNS0_10empty_typeEEEZNS1_10merge_implIS3_N6thrust23THRUST_200600_302600_NS6detail15normal_iteratorINS9_10device_ptrIKtEEEESF_NSB_INSC_ItEEEEPS5_SI_SI_NS9_4lessItEEEE10hipError_tPvRmT0_T1_T2_T3_T4_T5_mmT6_P12ihipStream_tbEUlT_E0_NS1_11comp_targetILNS1_3genE8ELNS1_11target_archE1030ELNS1_3gpuE2ELNS1_3repE0EEENS1_30default_config_static_selectorELNS0_4arch9wavefront6targetE1EEEvSP_ ; -- Begin function _ZN7rocprim17ROCPRIM_400000_NS6detail17trampoline_kernelINS0_14default_configENS1_21merge_config_selectorItNS0_10empty_typeEEEZNS1_10merge_implIS3_N6thrust23THRUST_200600_302600_NS6detail15normal_iteratorINS9_10device_ptrIKtEEEESF_NSB_INSC_ItEEEEPS5_SI_SI_NS9_4lessItEEEE10hipError_tPvRmT0_T1_T2_T3_T4_T5_mmT6_P12ihipStream_tbEUlT_E0_NS1_11comp_targetILNS1_3genE8ELNS1_11target_archE1030ELNS1_3gpuE2ELNS1_3repE0EEENS1_30default_config_static_selectorELNS0_4arch9wavefront6targetE1EEEvSP_
	.globl	_ZN7rocprim17ROCPRIM_400000_NS6detail17trampoline_kernelINS0_14default_configENS1_21merge_config_selectorItNS0_10empty_typeEEEZNS1_10merge_implIS3_N6thrust23THRUST_200600_302600_NS6detail15normal_iteratorINS9_10device_ptrIKtEEEESF_NSB_INSC_ItEEEEPS5_SI_SI_NS9_4lessItEEEE10hipError_tPvRmT0_T1_T2_T3_T4_T5_mmT6_P12ihipStream_tbEUlT_E0_NS1_11comp_targetILNS1_3genE8ELNS1_11target_archE1030ELNS1_3gpuE2ELNS1_3repE0EEENS1_30default_config_static_selectorELNS0_4arch9wavefront6targetE1EEEvSP_
	.p2align	8
	.type	_ZN7rocprim17ROCPRIM_400000_NS6detail17trampoline_kernelINS0_14default_configENS1_21merge_config_selectorItNS0_10empty_typeEEEZNS1_10merge_implIS3_N6thrust23THRUST_200600_302600_NS6detail15normal_iteratorINS9_10device_ptrIKtEEEESF_NSB_INSC_ItEEEEPS5_SI_SI_NS9_4lessItEEEE10hipError_tPvRmT0_T1_T2_T3_T4_T5_mmT6_P12ihipStream_tbEUlT_E0_NS1_11comp_targetILNS1_3genE8ELNS1_11target_archE1030ELNS1_3gpuE2ELNS1_3repE0EEENS1_30default_config_static_selectorELNS0_4arch9wavefront6targetE1EEEvSP_,@function
_ZN7rocprim17ROCPRIM_400000_NS6detail17trampoline_kernelINS0_14default_configENS1_21merge_config_selectorItNS0_10empty_typeEEEZNS1_10merge_implIS3_N6thrust23THRUST_200600_302600_NS6detail15normal_iteratorINS9_10device_ptrIKtEEEESF_NSB_INSC_ItEEEEPS5_SI_SI_NS9_4lessItEEEE10hipError_tPvRmT0_T1_T2_T3_T4_T5_mmT6_P12ihipStream_tbEUlT_E0_NS1_11comp_targetILNS1_3genE8ELNS1_11target_archE1030ELNS1_3gpuE2ELNS1_3repE0EEENS1_30default_config_static_selectorELNS0_4arch9wavefront6targetE1EEEvSP_: ; @_ZN7rocprim17ROCPRIM_400000_NS6detail17trampoline_kernelINS0_14default_configENS1_21merge_config_selectorItNS0_10empty_typeEEEZNS1_10merge_implIS3_N6thrust23THRUST_200600_302600_NS6detail15normal_iteratorINS9_10device_ptrIKtEEEESF_NSB_INSC_ItEEEEPS5_SI_SI_NS9_4lessItEEEE10hipError_tPvRmT0_T1_T2_T3_T4_T5_mmT6_P12ihipStream_tbEUlT_E0_NS1_11comp_targetILNS1_3genE8ELNS1_11target_archE1030ELNS1_3gpuE2ELNS1_3repE0EEENS1_30default_config_static_selectorELNS0_4arch9wavefront6targetE1EEEvSP_
; %bb.0:
	.section	.rodata,"a",@progbits
	.p2align	6, 0x0
	.amdhsa_kernel _ZN7rocprim17ROCPRIM_400000_NS6detail17trampoline_kernelINS0_14default_configENS1_21merge_config_selectorItNS0_10empty_typeEEEZNS1_10merge_implIS3_N6thrust23THRUST_200600_302600_NS6detail15normal_iteratorINS9_10device_ptrIKtEEEESF_NSB_INSC_ItEEEEPS5_SI_SI_NS9_4lessItEEEE10hipError_tPvRmT0_T1_T2_T3_T4_T5_mmT6_P12ihipStream_tbEUlT_E0_NS1_11comp_targetILNS1_3genE8ELNS1_11target_archE1030ELNS1_3gpuE2ELNS1_3repE0EEENS1_30default_config_static_selectorELNS0_4arch9wavefront6targetE1EEEvSP_
		.amdhsa_group_segment_fixed_size 0
		.amdhsa_private_segment_fixed_size 0
		.amdhsa_kernarg_size 88
		.amdhsa_user_sgpr_count 6
		.amdhsa_user_sgpr_private_segment_buffer 1
		.amdhsa_user_sgpr_dispatch_ptr 0
		.amdhsa_user_sgpr_queue_ptr 0
		.amdhsa_user_sgpr_kernarg_segment_ptr 1
		.amdhsa_user_sgpr_dispatch_id 0
		.amdhsa_user_sgpr_flat_scratch_init 0
		.amdhsa_user_sgpr_kernarg_preload_length 0
		.amdhsa_user_sgpr_kernarg_preload_offset 0
		.amdhsa_user_sgpr_private_segment_size 0
		.amdhsa_uses_dynamic_stack 0
		.amdhsa_system_sgpr_private_segment_wavefront_offset 0
		.amdhsa_system_sgpr_workgroup_id_x 1
		.amdhsa_system_sgpr_workgroup_id_y 0
		.amdhsa_system_sgpr_workgroup_id_z 0
		.amdhsa_system_sgpr_workgroup_info 0
		.amdhsa_system_vgpr_workitem_id 0
		.amdhsa_next_free_vgpr 1
		.amdhsa_next_free_sgpr 0
		.amdhsa_accum_offset 4
		.amdhsa_reserve_vcc 0
		.amdhsa_reserve_flat_scratch 0
		.amdhsa_float_round_mode_32 0
		.amdhsa_float_round_mode_16_64 0
		.amdhsa_float_denorm_mode_32 3
		.amdhsa_float_denorm_mode_16_64 3
		.amdhsa_dx10_clamp 1
		.amdhsa_ieee_mode 1
		.amdhsa_fp16_overflow 0
		.amdhsa_tg_split 0
		.amdhsa_exception_fp_ieee_invalid_op 0
		.amdhsa_exception_fp_denorm_src 0
		.amdhsa_exception_fp_ieee_div_zero 0
		.amdhsa_exception_fp_ieee_overflow 0
		.amdhsa_exception_fp_ieee_underflow 0
		.amdhsa_exception_fp_ieee_inexact 0
		.amdhsa_exception_int_div_zero 0
	.end_amdhsa_kernel
	.section	.text._ZN7rocprim17ROCPRIM_400000_NS6detail17trampoline_kernelINS0_14default_configENS1_21merge_config_selectorItNS0_10empty_typeEEEZNS1_10merge_implIS3_N6thrust23THRUST_200600_302600_NS6detail15normal_iteratorINS9_10device_ptrIKtEEEESF_NSB_INSC_ItEEEEPS5_SI_SI_NS9_4lessItEEEE10hipError_tPvRmT0_T1_T2_T3_T4_T5_mmT6_P12ihipStream_tbEUlT_E0_NS1_11comp_targetILNS1_3genE8ELNS1_11target_archE1030ELNS1_3gpuE2ELNS1_3repE0EEENS1_30default_config_static_selectorELNS0_4arch9wavefront6targetE1EEEvSP_,"axG",@progbits,_ZN7rocprim17ROCPRIM_400000_NS6detail17trampoline_kernelINS0_14default_configENS1_21merge_config_selectorItNS0_10empty_typeEEEZNS1_10merge_implIS3_N6thrust23THRUST_200600_302600_NS6detail15normal_iteratorINS9_10device_ptrIKtEEEESF_NSB_INSC_ItEEEEPS5_SI_SI_NS9_4lessItEEEE10hipError_tPvRmT0_T1_T2_T3_T4_T5_mmT6_P12ihipStream_tbEUlT_E0_NS1_11comp_targetILNS1_3genE8ELNS1_11target_archE1030ELNS1_3gpuE2ELNS1_3repE0EEENS1_30default_config_static_selectorELNS0_4arch9wavefront6targetE1EEEvSP_,comdat
.Lfunc_end187:
	.size	_ZN7rocprim17ROCPRIM_400000_NS6detail17trampoline_kernelINS0_14default_configENS1_21merge_config_selectorItNS0_10empty_typeEEEZNS1_10merge_implIS3_N6thrust23THRUST_200600_302600_NS6detail15normal_iteratorINS9_10device_ptrIKtEEEESF_NSB_INSC_ItEEEEPS5_SI_SI_NS9_4lessItEEEE10hipError_tPvRmT0_T1_T2_T3_T4_T5_mmT6_P12ihipStream_tbEUlT_E0_NS1_11comp_targetILNS1_3genE8ELNS1_11target_archE1030ELNS1_3gpuE2ELNS1_3repE0EEENS1_30default_config_static_selectorELNS0_4arch9wavefront6targetE1EEEvSP_, .Lfunc_end187-_ZN7rocprim17ROCPRIM_400000_NS6detail17trampoline_kernelINS0_14default_configENS1_21merge_config_selectorItNS0_10empty_typeEEEZNS1_10merge_implIS3_N6thrust23THRUST_200600_302600_NS6detail15normal_iteratorINS9_10device_ptrIKtEEEESF_NSB_INSC_ItEEEEPS5_SI_SI_NS9_4lessItEEEE10hipError_tPvRmT0_T1_T2_T3_T4_T5_mmT6_P12ihipStream_tbEUlT_E0_NS1_11comp_targetILNS1_3genE8ELNS1_11target_archE1030ELNS1_3gpuE2ELNS1_3repE0EEENS1_30default_config_static_selectorELNS0_4arch9wavefront6targetE1EEEvSP_
                                        ; -- End function
	.section	.AMDGPU.csdata,"",@progbits
; Kernel info:
; codeLenInByte = 0
; NumSgprs: 4
; NumVgprs: 0
; NumAgprs: 0
; TotalNumVgprs: 0
; ScratchSize: 0
; MemoryBound: 0
; FloatMode: 240
; IeeeMode: 1
; LDSByteSize: 0 bytes/workgroup (compile time only)
; SGPRBlocks: 0
; VGPRBlocks: 0
; NumSGPRsForWavesPerEU: 4
; NumVGPRsForWavesPerEU: 1
; AccumOffset: 4
; Occupancy: 8
; WaveLimiterHint : 0
; COMPUTE_PGM_RSRC2:SCRATCH_EN: 0
; COMPUTE_PGM_RSRC2:USER_SGPR: 6
; COMPUTE_PGM_RSRC2:TRAP_HANDLER: 0
; COMPUTE_PGM_RSRC2:TGID_X_EN: 1
; COMPUTE_PGM_RSRC2:TGID_Y_EN: 0
; COMPUTE_PGM_RSRC2:TGID_Z_EN: 0
; COMPUTE_PGM_RSRC2:TIDIG_COMP_CNT: 0
; COMPUTE_PGM_RSRC3_GFX90A:ACCUM_OFFSET: 0
; COMPUTE_PGM_RSRC3_GFX90A:TG_SPLIT: 0
	.section	.text._ZN7rocprim17ROCPRIM_400000_NS6detail17trampoline_kernelINS0_14default_configENS1_22reduce_config_selectorIN6thrust23THRUST_200600_302600_NS5tupleIblNS6_9null_typeES8_S8_S8_S8_S8_S8_S8_EEEEZNS1_11reduce_implILb1ES3_NS6_12zip_iteratorINS7_INS6_11hip_rocprim26transform_input_iterator_tIbNSD_35transform_pair_of_input_iterators_tIbNS6_6detail15normal_iteratorINS6_10device_ptrIKtEEEESL_NS6_8equal_toItEEEENSG_9not_fun_tINSD_8identityEEEEENSD_19counting_iterator_tIlEES8_S8_S8_S8_S8_S8_S8_S8_EEEEPS9_S9_NSD_9__find_if7functorIS9_EEEE10hipError_tPvRmT1_T2_T3_mT4_P12ihipStream_tbEUlT_E0_NS1_11comp_targetILNS1_3genE0ELNS1_11target_archE4294967295ELNS1_3gpuE0ELNS1_3repE0EEENS1_30default_config_static_selectorELNS0_4arch9wavefront6targetE1EEEvS14_,"axG",@progbits,_ZN7rocprim17ROCPRIM_400000_NS6detail17trampoline_kernelINS0_14default_configENS1_22reduce_config_selectorIN6thrust23THRUST_200600_302600_NS5tupleIblNS6_9null_typeES8_S8_S8_S8_S8_S8_S8_EEEEZNS1_11reduce_implILb1ES3_NS6_12zip_iteratorINS7_INS6_11hip_rocprim26transform_input_iterator_tIbNSD_35transform_pair_of_input_iterators_tIbNS6_6detail15normal_iteratorINS6_10device_ptrIKtEEEESL_NS6_8equal_toItEEEENSG_9not_fun_tINSD_8identityEEEEENSD_19counting_iterator_tIlEES8_S8_S8_S8_S8_S8_S8_S8_EEEEPS9_S9_NSD_9__find_if7functorIS9_EEEE10hipError_tPvRmT1_T2_T3_mT4_P12ihipStream_tbEUlT_E0_NS1_11comp_targetILNS1_3genE0ELNS1_11target_archE4294967295ELNS1_3gpuE0ELNS1_3repE0EEENS1_30default_config_static_selectorELNS0_4arch9wavefront6targetE1EEEvS14_,comdat
	.protected	_ZN7rocprim17ROCPRIM_400000_NS6detail17trampoline_kernelINS0_14default_configENS1_22reduce_config_selectorIN6thrust23THRUST_200600_302600_NS5tupleIblNS6_9null_typeES8_S8_S8_S8_S8_S8_S8_EEEEZNS1_11reduce_implILb1ES3_NS6_12zip_iteratorINS7_INS6_11hip_rocprim26transform_input_iterator_tIbNSD_35transform_pair_of_input_iterators_tIbNS6_6detail15normal_iteratorINS6_10device_ptrIKtEEEESL_NS6_8equal_toItEEEENSG_9not_fun_tINSD_8identityEEEEENSD_19counting_iterator_tIlEES8_S8_S8_S8_S8_S8_S8_S8_EEEEPS9_S9_NSD_9__find_if7functorIS9_EEEE10hipError_tPvRmT1_T2_T3_mT4_P12ihipStream_tbEUlT_E0_NS1_11comp_targetILNS1_3genE0ELNS1_11target_archE4294967295ELNS1_3gpuE0ELNS1_3repE0EEENS1_30default_config_static_selectorELNS0_4arch9wavefront6targetE1EEEvS14_ ; -- Begin function _ZN7rocprim17ROCPRIM_400000_NS6detail17trampoline_kernelINS0_14default_configENS1_22reduce_config_selectorIN6thrust23THRUST_200600_302600_NS5tupleIblNS6_9null_typeES8_S8_S8_S8_S8_S8_S8_EEEEZNS1_11reduce_implILb1ES3_NS6_12zip_iteratorINS7_INS6_11hip_rocprim26transform_input_iterator_tIbNSD_35transform_pair_of_input_iterators_tIbNS6_6detail15normal_iteratorINS6_10device_ptrIKtEEEESL_NS6_8equal_toItEEEENSG_9not_fun_tINSD_8identityEEEEENSD_19counting_iterator_tIlEES8_S8_S8_S8_S8_S8_S8_S8_EEEEPS9_S9_NSD_9__find_if7functorIS9_EEEE10hipError_tPvRmT1_T2_T3_mT4_P12ihipStream_tbEUlT_E0_NS1_11comp_targetILNS1_3genE0ELNS1_11target_archE4294967295ELNS1_3gpuE0ELNS1_3repE0EEENS1_30default_config_static_selectorELNS0_4arch9wavefront6targetE1EEEvS14_
	.globl	_ZN7rocprim17ROCPRIM_400000_NS6detail17trampoline_kernelINS0_14default_configENS1_22reduce_config_selectorIN6thrust23THRUST_200600_302600_NS5tupleIblNS6_9null_typeES8_S8_S8_S8_S8_S8_S8_EEEEZNS1_11reduce_implILb1ES3_NS6_12zip_iteratorINS7_INS6_11hip_rocprim26transform_input_iterator_tIbNSD_35transform_pair_of_input_iterators_tIbNS6_6detail15normal_iteratorINS6_10device_ptrIKtEEEESL_NS6_8equal_toItEEEENSG_9not_fun_tINSD_8identityEEEEENSD_19counting_iterator_tIlEES8_S8_S8_S8_S8_S8_S8_S8_EEEEPS9_S9_NSD_9__find_if7functorIS9_EEEE10hipError_tPvRmT1_T2_T3_mT4_P12ihipStream_tbEUlT_E0_NS1_11comp_targetILNS1_3genE0ELNS1_11target_archE4294967295ELNS1_3gpuE0ELNS1_3repE0EEENS1_30default_config_static_selectorELNS0_4arch9wavefront6targetE1EEEvS14_
	.p2align	8
	.type	_ZN7rocprim17ROCPRIM_400000_NS6detail17trampoline_kernelINS0_14default_configENS1_22reduce_config_selectorIN6thrust23THRUST_200600_302600_NS5tupleIblNS6_9null_typeES8_S8_S8_S8_S8_S8_S8_EEEEZNS1_11reduce_implILb1ES3_NS6_12zip_iteratorINS7_INS6_11hip_rocprim26transform_input_iterator_tIbNSD_35transform_pair_of_input_iterators_tIbNS6_6detail15normal_iteratorINS6_10device_ptrIKtEEEESL_NS6_8equal_toItEEEENSG_9not_fun_tINSD_8identityEEEEENSD_19counting_iterator_tIlEES8_S8_S8_S8_S8_S8_S8_S8_EEEEPS9_S9_NSD_9__find_if7functorIS9_EEEE10hipError_tPvRmT1_T2_T3_mT4_P12ihipStream_tbEUlT_E0_NS1_11comp_targetILNS1_3genE0ELNS1_11target_archE4294967295ELNS1_3gpuE0ELNS1_3repE0EEENS1_30default_config_static_selectorELNS0_4arch9wavefront6targetE1EEEvS14_,@function
_ZN7rocprim17ROCPRIM_400000_NS6detail17trampoline_kernelINS0_14default_configENS1_22reduce_config_selectorIN6thrust23THRUST_200600_302600_NS5tupleIblNS6_9null_typeES8_S8_S8_S8_S8_S8_S8_EEEEZNS1_11reduce_implILb1ES3_NS6_12zip_iteratorINS7_INS6_11hip_rocprim26transform_input_iterator_tIbNSD_35transform_pair_of_input_iterators_tIbNS6_6detail15normal_iteratorINS6_10device_ptrIKtEEEESL_NS6_8equal_toItEEEENSG_9not_fun_tINSD_8identityEEEEENSD_19counting_iterator_tIlEES8_S8_S8_S8_S8_S8_S8_S8_EEEEPS9_S9_NSD_9__find_if7functorIS9_EEEE10hipError_tPvRmT1_T2_T3_mT4_P12ihipStream_tbEUlT_E0_NS1_11comp_targetILNS1_3genE0ELNS1_11target_archE4294967295ELNS1_3gpuE0ELNS1_3repE0EEENS1_30default_config_static_selectorELNS0_4arch9wavefront6targetE1EEEvS14_: ; @_ZN7rocprim17ROCPRIM_400000_NS6detail17trampoline_kernelINS0_14default_configENS1_22reduce_config_selectorIN6thrust23THRUST_200600_302600_NS5tupleIblNS6_9null_typeES8_S8_S8_S8_S8_S8_S8_EEEEZNS1_11reduce_implILb1ES3_NS6_12zip_iteratorINS7_INS6_11hip_rocprim26transform_input_iterator_tIbNSD_35transform_pair_of_input_iterators_tIbNS6_6detail15normal_iteratorINS6_10device_ptrIKtEEEESL_NS6_8equal_toItEEEENSG_9not_fun_tINSD_8identityEEEEENSD_19counting_iterator_tIlEES8_S8_S8_S8_S8_S8_S8_S8_EEEEPS9_S9_NSD_9__find_if7functorIS9_EEEE10hipError_tPvRmT1_T2_T3_mT4_P12ihipStream_tbEUlT_E0_NS1_11comp_targetILNS1_3genE0ELNS1_11target_archE4294967295ELNS1_3gpuE0ELNS1_3repE0EEENS1_30default_config_static_selectorELNS0_4arch9wavefront6targetE1EEEvS14_
; %bb.0:
	.section	.rodata,"a",@progbits
	.p2align	6, 0x0
	.amdhsa_kernel _ZN7rocprim17ROCPRIM_400000_NS6detail17trampoline_kernelINS0_14default_configENS1_22reduce_config_selectorIN6thrust23THRUST_200600_302600_NS5tupleIblNS6_9null_typeES8_S8_S8_S8_S8_S8_S8_EEEEZNS1_11reduce_implILb1ES3_NS6_12zip_iteratorINS7_INS6_11hip_rocprim26transform_input_iterator_tIbNSD_35transform_pair_of_input_iterators_tIbNS6_6detail15normal_iteratorINS6_10device_ptrIKtEEEESL_NS6_8equal_toItEEEENSG_9not_fun_tINSD_8identityEEEEENSD_19counting_iterator_tIlEES8_S8_S8_S8_S8_S8_S8_S8_EEEEPS9_S9_NSD_9__find_if7functorIS9_EEEE10hipError_tPvRmT1_T2_T3_mT4_P12ihipStream_tbEUlT_E0_NS1_11comp_targetILNS1_3genE0ELNS1_11target_archE4294967295ELNS1_3gpuE0ELNS1_3repE0EEENS1_30default_config_static_selectorELNS0_4arch9wavefront6targetE1EEEvS14_
		.amdhsa_group_segment_fixed_size 0
		.amdhsa_private_segment_fixed_size 0
		.amdhsa_kernarg_size 104
		.amdhsa_user_sgpr_count 6
		.amdhsa_user_sgpr_private_segment_buffer 1
		.amdhsa_user_sgpr_dispatch_ptr 0
		.amdhsa_user_sgpr_queue_ptr 0
		.amdhsa_user_sgpr_kernarg_segment_ptr 1
		.amdhsa_user_sgpr_dispatch_id 0
		.amdhsa_user_sgpr_flat_scratch_init 0
		.amdhsa_user_sgpr_kernarg_preload_length 0
		.amdhsa_user_sgpr_kernarg_preload_offset 0
		.amdhsa_user_sgpr_private_segment_size 0
		.amdhsa_uses_dynamic_stack 0
		.amdhsa_system_sgpr_private_segment_wavefront_offset 0
		.amdhsa_system_sgpr_workgroup_id_x 1
		.amdhsa_system_sgpr_workgroup_id_y 0
		.amdhsa_system_sgpr_workgroup_id_z 0
		.amdhsa_system_sgpr_workgroup_info 0
		.amdhsa_system_vgpr_workitem_id 0
		.amdhsa_next_free_vgpr 1
		.amdhsa_next_free_sgpr 0
		.amdhsa_accum_offset 4
		.amdhsa_reserve_vcc 0
		.amdhsa_reserve_flat_scratch 0
		.amdhsa_float_round_mode_32 0
		.amdhsa_float_round_mode_16_64 0
		.amdhsa_float_denorm_mode_32 3
		.amdhsa_float_denorm_mode_16_64 3
		.amdhsa_dx10_clamp 1
		.amdhsa_ieee_mode 1
		.amdhsa_fp16_overflow 0
		.amdhsa_tg_split 0
		.amdhsa_exception_fp_ieee_invalid_op 0
		.amdhsa_exception_fp_denorm_src 0
		.amdhsa_exception_fp_ieee_div_zero 0
		.amdhsa_exception_fp_ieee_overflow 0
		.amdhsa_exception_fp_ieee_underflow 0
		.amdhsa_exception_fp_ieee_inexact 0
		.amdhsa_exception_int_div_zero 0
	.end_amdhsa_kernel
	.section	.text._ZN7rocprim17ROCPRIM_400000_NS6detail17trampoline_kernelINS0_14default_configENS1_22reduce_config_selectorIN6thrust23THRUST_200600_302600_NS5tupleIblNS6_9null_typeES8_S8_S8_S8_S8_S8_S8_EEEEZNS1_11reduce_implILb1ES3_NS6_12zip_iteratorINS7_INS6_11hip_rocprim26transform_input_iterator_tIbNSD_35transform_pair_of_input_iterators_tIbNS6_6detail15normal_iteratorINS6_10device_ptrIKtEEEESL_NS6_8equal_toItEEEENSG_9not_fun_tINSD_8identityEEEEENSD_19counting_iterator_tIlEES8_S8_S8_S8_S8_S8_S8_S8_EEEEPS9_S9_NSD_9__find_if7functorIS9_EEEE10hipError_tPvRmT1_T2_T3_mT4_P12ihipStream_tbEUlT_E0_NS1_11comp_targetILNS1_3genE0ELNS1_11target_archE4294967295ELNS1_3gpuE0ELNS1_3repE0EEENS1_30default_config_static_selectorELNS0_4arch9wavefront6targetE1EEEvS14_,"axG",@progbits,_ZN7rocprim17ROCPRIM_400000_NS6detail17trampoline_kernelINS0_14default_configENS1_22reduce_config_selectorIN6thrust23THRUST_200600_302600_NS5tupleIblNS6_9null_typeES8_S8_S8_S8_S8_S8_S8_EEEEZNS1_11reduce_implILb1ES3_NS6_12zip_iteratorINS7_INS6_11hip_rocprim26transform_input_iterator_tIbNSD_35transform_pair_of_input_iterators_tIbNS6_6detail15normal_iteratorINS6_10device_ptrIKtEEEESL_NS6_8equal_toItEEEENSG_9not_fun_tINSD_8identityEEEEENSD_19counting_iterator_tIlEES8_S8_S8_S8_S8_S8_S8_S8_EEEEPS9_S9_NSD_9__find_if7functorIS9_EEEE10hipError_tPvRmT1_T2_T3_mT4_P12ihipStream_tbEUlT_E0_NS1_11comp_targetILNS1_3genE0ELNS1_11target_archE4294967295ELNS1_3gpuE0ELNS1_3repE0EEENS1_30default_config_static_selectorELNS0_4arch9wavefront6targetE1EEEvS14_,comdat
.Lfunc_end188:
	.size	_ZN7rocprim17ROCPRIM_400000_NS6detail17trampoline_kernelINS0_14default_configENS1_22reduce_config_selectorIN6thrust23THRUST_200600_302600_NS5tupleIblNS6_9null_typeES8_S8_S8_S8_S8_S8_S8_EEEEZNS1_11reduce_implILb1ES3_NS6_12zip_iteratorINS7_INS6_11hip_rocprim26transform_input_iterator_tIbNSD_35transform_pair_of_input_iterators_tIbNS6_6detail15normal_iteratorINS6_10device_ptrIKtEEEESL_NS6_8equal_toItEEEENSG_9not_fun_tINSD_8identityEEEEENSD_19counting_iterator_tIlEES8_S8_S8_S8_S8_S8_S8_S8_EEEEPS9_S9_NSD_9__find_if7functorIS9_EEEE10hipError_tPvRmT1_T2_T3_mT4_P12ihipStream_tbEUlT_E0_NS1_11comp_targetILNS1_3genE0ELNS1_11target_archE4294967295ELNS1_3gpuE0ELNS1_3repE0EEENS1_30default_config_static_selectorELNS0_4arch9wavefront6targetE1EEEvS14_, .Lfunc_end188-_ZN7rocprim17ROCPRIM_400000_NS6detail17trampoline_kernelINS0_14default_configENS1_22reduce_config_selectorIN6thrust23THRUST_200600_302600_NS5tupleIblNS6_9null_typeES8_S8_S8_S8_S8_S8_S8_EEEEZNS1_11reduce_implILb1ES3_NS6_12zip_iteratorINS7_INS6_11hip_rocprim26transform_input_iterator_tIbNSD_35transform_pair_of_input_iterators_tIbNS6_6detail15normal_iteratorINS6_10device_ptrIKtEEEESL_NS6_8equal_toItEEEENSG_9not_fun_tINSD_8identityEEEEENSD_19counting_iterator_tIlEES8_S8_S8_S8_S8_S8_S8_S8_EEEEPS9_S9_NSD_9__find_if7functorIS9_EEEE10hipError_tPvRmT1_T2_T3_mT4_P12ihipStream_tbEUlT_E0_NS1_11comp_targetILNS1_3genE0ELNS1_11target_archE4294967295ELNS1_3gpuE0ELNS1_3repE0EEENS1_30default_config_static_selectorELNS0_4arch9wavefront6targetE1EEEvS14_
                                        ; -- End function
	.section	.AMDGPU.csdata,"",@progbits
; Kernel info:
; codeLenInByte = 0
; NumSgprs: 4
; NumVgprs: 0
; NumAgprs: 0
; TotalNumVgprs: 0
; ScratchSize: 0
; MemoryBound: 0
; FloatMode: 240
; IeeeMode: 1
; LDSByteSize: 0 bytes/workgroup (compile time only)
; SGPRBlocks: 0
; VGPRBlocks: 0
; NumSGPRsForWavesPerEU: 4
; NumVGPRsForWavesPerEU: 1
; AccumOffset: 4
; Occupancy: 8
; WaveLimiterHint : 0
; COMPUTE_PGM_RSRC2:SCRATCH_EN: 0
; COMPUTE_PGM_RSRC2:USER_SGPR: 6
; COMPUTE_PGM_RSRC2:TRAP_HANDLER: 0
; COMPUTE_PGM_RSRC2:TGID_X_EN: 1
; COMPUTE_PGM_RSRC2:TGID_Y_EN: 0
; COMPUTE_PGM_RSRC2:TGID_Z_EN: 0
; COMPUTE_PGM_RSRC2:TIDIG_COMP_CNT: 0
; COMPUTE_PGM_RSRC3_GFX90A:ACCUM_OFFSET: 0
; COMPUTE_PGM_RSRC3_GFX90A:TG_SPLIT: 0
	.section	.text._ZN7rocprim17ROCPRIM_400000_NS6detail17trampoline_kernelINS0_14default_configENS1_22reduce_config_selectorIN6thrust23THRUST_200600_302600_NS5tupleIblNS6_9null_typeES8_S8_S8_S8_S8_S8_S8_EEEEZNS1_11reduce_implILb1ES3_NS6_12zip_iteratorINS7_INS6_11hip_rocprim26transform_input_iterator_tIbNSD_35transform_pair_of_input_iterators_tIbNS6_6detail15normal_iteratorINS6_10device_ptrIKtEEEESL_NS6_8equal_toItEEEENSG_9not_fun_tINSD_8identityEEEEENSD_19counting_iterator_tIlEES8_S8_S8_S8_S8_S8_S8_S8_EEEEPS9_S9_NSD_9__find_if7functorIS9_EEEE10hipError_tPvRmT1_T2_T3_mT4_P12ihipStream_tbEUlT_E0_NS1_11comp_targetILNS1_3genE5ELNS1_11target_archE942ELNS1_3gpuE9ELNS1_3repE0EEENS1_30default_config_static_selectorELNS0_4arch9wavefront6targetE1EEEvS14_,"axG",@progbits,_ZN7rocprim17ROCPRIM_400000_NS6detail17trampoline_kernelINS0_14default_configENS1_22reduce_config_selectorIN6thrust23THRUST_200600_302600_NS5tupleIblNS6_9null_typeES8_S8_S8_S8_S8_S8_S8_EEEEZNS1_11reduce_implILb1ES3_NS6_12zip_iteratorINS7_INS6_11hip_rocprim26transform_input_iterator_tIbNSD_35transform_pair_of_input_iterators_tIbNS6_6detail15normal_iteratorINS6_10device_ptrIKtEEEESL_NS6_8equal_toItEEEENSG_9not_fun_tINSD_8identityEEEEENSD_19counting_iterator_tIlEES8_S8_S8_S8_S8_S8_S8_S8_EEEEPS9_S9_NSD_9__find_if7functorIS9_EEEE10hipError_tPvRmT1_T2_T3_mT4_P12ihipStream_tbEUlT_E0_NS1_11comp_targetILNS1_3genE5ELNS1_11target_archE942ELNS1_3gpuE9ELNS1_3repE0EEENS1_30default_config_static_selectorELNS0_4arch9wavefront6targetE1EEEvS14_,comdat
	.protected	_ZN7rocprim17ROCPRIM_400000_NS6detail17trampoline_kernelINS0_14default_configENS1_22reduce_config_selectorIN6thrust23THRUST_200600_302600_NS5tupleIblNS6_9null_typeES8_S8_S8_S8_S8_S8_S8_EEEEZNS1_11reduce_implILb1ES3_NS6_12zip_iteratorINS7_INS6_11hip_rocprim26transform_input_iterator_tIbNSD_35transform_pair_of_input_iterators_tIbNS6_6detail15normal_iteratorINS6_10device_ptrIKtEEEESL_NS6_8equal_toItEEEENSG_9not_fun_tINSD_8identityEEEEENSD_19counting_iterator_tIlEES8_S8_S8_S8_S8_S8_S8_S8_EEEEPS9_S9_NSD_9__find_if7functorIS9_EEEE10hipError_tPvRmT1_T2_T3_mT4_P12ihipStream_tbEUlT_E0_NS1_11comp_targetILNS1_3genE5ELNS1_11target_archE942ELNS1_3gpuE9ELNS1_3repE0EEENS1_30default_config_static_selectorELNS0_4arch9wavefront6targetE1EEEvS14_ ; -- Begin function _ZN7rocprim17ROCPRIM_400000_NS6detail17trampoline_kernelINS0_14default_configENS1_22reduce_config_selectorIN6thrust23THRUST_200600_302600_NS5tupleIblNS6_9null_typeES8_S8_S8_S8_S8_S8_S8_EEEEZNS1_11reduce_implILb1ES3_NS6_12zip_iteratorINS7_INS6_11hip_rocprim26transform_input_iterator_tIbNSD_35transform_pair_of_input_iterators_tIbNS6_6detail15normal_iteratorINS6_10device_ptrIKtEEEESL_NS6_8equal_toItEEEENSG_9not_fun_tINSD_8identityEEEEENSD_19counting_iterator_tIlEES8_S8_S8_S8_S8_S8_S8_S8_EEEEPS9_S9_NSD_9__find_if7functorIS9_EEEE10hipError_tPvRmT1_T2_T3_mT4_P12ihipStream_tbEUlT_E0_NS1_11comp_targetILNS1_3genE5ELNS1_11target_archE942ELNS1_3gpuE9ELNS1_3repE0EEENS1_30default_config_static_selectorELNS0_4arch9wavefront6targetE1EEEvS14_
	.globl	_ZN7rocprim17ROCPRIM_400000_NS6detail17trampoline_kernelINS0_14default_configENS1_22reduce_config_selectorIN6thrust23THRUST_200600_302600_NS5tupleIblNS6_9null_typeES8_S8_S8_S8_S8_S8_S8_EEEEZNS1_11reduce_implILb1ES3_NS6_12zip_iteratorINS7_INS6_11hip_rocprim26transform_input_iterator_tIbNSD_35transform_pair_of_input_iterators_tIbNS6_6detail15normal_iteratorINS6_10device_ptrIKtEEEESL_NS6_8equal_toItEEEENSG_9not_fun_tINSD_8identityEEEEENSD_19counting_iterator_tIlEES8_S8_S8_S8_S8_S8_S8_S8_EEEEPS9_S9_NSD_9__find_if7functorIS9_EEEE10hipError_tPvRmT1_T2_T3_mT4_P12ihipStream_tbEUlT_E0_NS1_11comp_targetILNS1_3genE5ELNS1_11target_archE942ELNS1_3gpuE9ELNS1_3repE0EEENS1_30default_config_static_selectorELNS0_4arch9wavefront6targetE1EEEvS14_
	.p2align	8
	.type	_ZN7rocprim17ROCPRIM_400000_NS6detail17trampoline_kernelINS0_14default_configENS1_22reduce_config_selectorIN6thrust23THRUST_200600_302600_NS5tupleIblNS6_9null_typeES8_S8_S8_S8_S8_S8_S8_EEEEZNS1_11reduce_implILb1ES3_NS6_12zip_iteratorINS7_INS6_11hip_rocprim26transform_input_iterator_tIbNSD_35transform_pair_of_input_iterators_tIbNS6_6detail15normal_iteratorINS6_10device_ptrIKtEEEESL_NS6_8equal_toItEEEENSG_9not_fun_tINSD_8identityEEEEENSD_19counting_iterator_tIlEES8_S8_S8_S8_S8_S8_S8_S8_EEEEPS9_S9_NSD_9__find_if7functorIS9_EEEE10hipError_tPvRmT1_T2_T3_mT4_P12ihipStream_tbEUlT_E0_NS1_11comp_targetILNS1_3genE5ELNS1_11target_archE942ELNS1_3gpuE9ELNS1_3repE0EEENS1_30default_config_static_selectorELNS0_4arch9wavefront6targetE1EEEvS14_,@function
_ZN7rocprim17ROCPRIM_400000_NS6detail17trampoline_kernelINS0_14default_configENS1_22reduce_config_selectorIN6thrust23THRUST_200600_302600_NS5tupleIblNS6_9null_typeES8_S8_S8_S8_S8_S8_S8_EEEEZNS1_11reduce_implILb1ES3_NS6_12zip_iteratorINS7_INS6_11hip_rocprim26transform_input_iterator_tIbNSD_35transform_pair_of_input_iterators_tIbNS6_6detail15normal_iteratorINS6_10device_ptrIKtEEEESL_NS6_8equal_toItEEEENSG_9not_fun_tINSD_8identityEEEEENSD_19counting_iterator_tIlEES8_S8_S8_S8_S8_S8_S8_S8_EEEEPS9_S9_NSD_9__find_if7functorIS9_EEEE10hipError_tPvRmT1_T2_T3_mT4_P12ihipStream_tbEUlT_E0_NS1_11comp_targetILNS1_3genE5ELNS1_11target_archE942ELNS1_3gpuE9ELNS1_3repE0EEENS1_30default_config_static_selectorELNS0_4arch9wavefront6targetE1EEEvS14_: ; @_ZN7rocprim17ROCPRIM_400000_NS6detail17trampoline_kernelINS0_14default_configENS1_22reduce_config_selectorIN6thrust23THRUST_200600_302600_NS5tupleIblNS6_9null_typeES8_S8_S8_S8_S8_S8_S8_EEEEZNS1_11reduce_implILb1ES3_NS6_12zip_iteratorINS7_INS6_11hip_rocprim26transform_input_iterator_tIbNSD_35transform_pair_of_input_iterators_tIbNS6_6detail15normal_iteratorINS6_10device_ptrIKtEEEESL_NS6_8equal_toItEEEENSG_9not_fun_tINSD_8identityEEEEENSD_19counting_iterator_tIlEES8_S8_S8_S8_S8_S8_S8_S8_EEEEPS9_S9_NSD_9__find_if7functorIS9_EEEE10hipError_tPvRmT1_T2_T3_mT4_P12ihipStream_tbEUlT_E0_NS1_11comp_targetILNS1_3genE5ELNS1_11target_archE942ELNS1_3gpuE9ELNS1_3repE0EEENS1_30default_config_static_selectorELNS0_4arch9wavefront6targetE1EEEvS14_
; %bb.0:
	.section	.rodata,"a",@progbits
	.p2align	6, 0x0
	.amdhsa_kernel _ZN7rocprim17ROCPRIM_400000_NS6detail17trampoline_kernelINS0_14default_configENS1_22reduce_config_selectorIN6thrust23THRUST_200600_302600_NS5tupleIblNS6_9null_typeES8_S8_S8_S8_S8_S8_S8_EEEEZNS1_11reduce_implILb1ES3_NS6_12zip_iteratorINS7_INS6_11hip_rocprim26transform_input_iterator_tIbNSD_35transform_pair_of_input_iterators_tIbNS6_6detail15normal_iteratorINS6_10device_ptrIKtEEEESL_NS6_8equal_toItEEEENSG_9not_fun_tINSD_8identityEEEEENSD_19counting_iterator_tIlEES8_S8_S8_S8_S8_S8_S8_S8_EEEEPS9_S9_NSD_9__find_if7functorIS9_EEEE10hipError_tPvRmT1_T2_T3_mT4_P12ihipStream_tbEUlT_E0_NS1_11comp_targetILNS1_3genE5ELNS1_11target_archE942ELNS1_3gpuE9ELNS1_3repE0EEENS1_30default_config_static_selectorELNS0_4arch9wavefront6targetE1EEEvS14_
		.amdhsa_group_segment_fixed_size 0
		.amdhsa_private_segment_fixed_size 0
		.amdhsa_kernarg_size 104
		.amdhsa_user_sgpr_count 6
		.amdhsa_user_sgpr_private_segment_buffer 1
		.amdhsa_user_sgpr_dispatch_ptr 0
		.amdhsa_user_sgpr_queue_ptr 0
		.amdhsa_user_sgpr_kernarg_segment_ptr 1
		.amdhsa_user_sgpr_dispatch_id 0
		.amdhsa_user_sgpr_flat_scratch_init 0
		.amdhsa_user_sgpr_kernarg_preload_length 0
		.amdhsa_user_sgpr_kernarg_preload_offset 0
		.amdhsa_user_sgpr_private_segment_size 0
		.amdhsa_uses_dynamic_stack 0
		.amdhsa_system_sgpr_private_segment_wavefront_offset 0
		.amdhsa_system_sgpr_workgroup_id_x 1
		.amdhsa_system_sgpr_workgroup_id_y 0
		.amdhsa_system_sgpr_workgroup_id_z 0
		.amdhsa_system_sgpr_workgroup_info 0
		.amdhsa_system_vgpr_workitem_id 0
		.amdhsa_next_free_vgpr 1
		.amdhsa_next_free_sgpr 0
		.amdhsa_accum_offset 4
		.amdhsa_reserve_vcc 0
		.amdhsa_reserve_flat_scratch 0
		.amdhsa_float_round_mode_32 0
		.amdhsa_float_round_mode_16_64 0
		.amdhsa_float_denorm_mode_32 3
		.amdhsa_float_denorm_mode_16_64 3
		.amdhsa_dx10_clamp 1
		.amdhsa_ieee_mode 1
		.amdhsa_fp16_overflow 0
		.amdhsa_tg_split 0
		.amdhsa_exception_fp_ieee_invalid_op 0
		.amdhsa_exception_fp_denorm_src 0
		.amdhsa_exception_fp_ieee_div_zero 0
		.amdhsa_exception_fp_ieee_overflow 0
		.amdhsa_exception_fp_ieee_underflow 0
		.amdhsa_exception_fp_ieee_inexact 0
		.amdhsa_exception_int_div_zero 0
	.end_amdhsa_kernel
	.section	.text._ZN7rocprim17ROCPRIM_400000_NS6detail17trampoline_kernelINS0_14default_configENS1_22reduce_config_selectorIN6thrust23THRUST_200600_302600_NS5tupleIblNS6_9null_typeES8_S8_S8_S8_S8_S8_S8_EEEEZNS1_11reduce_implILb1ES3_NS6_12zip_iteratorINS7_INS6_11hip_rocprim26transform_input_iterator_tIbNSD_35transform_pair_of_input_iterators_tIbNS6_6detail15normal_iteratorINS6_10device_ptrIKtEEEESL_NS6_8equal_toItEEEENSG_9not_fun_tINSD_8identityEEEEENSD_19counting_iterator_tIlEES8_S8_S8_S8_S8_S8_S8_S8_EEEEPS9_S9_NSD_9__find_if7functorIS9_EEEE10hipError_tPvRmT1_T2_T3_mT4_P12ihipStream_tbEUlT_E0_NS1_11comp_targetILNS1_3genE5ELNS1_11target_archE942ELNS1_3gpuE9ELNS1_3repE0EEENS1_30default_config_static_selectorELNS0_4arch9wavefront6targetE1EEEvS14_,"axG",@progbits,_ZN7rocprim17ROCPRIM_400000_NS6detail17trampoline_kernelINS0_14default_configENS1_22reduce_config_selectorIN6thrust23THRUST_200600_302600_NS5tupleIblNS6_9null_typeES8_S8_S8_S8_S8_S8_S8_EEEEZNS1_11reduce_implILb1ES3_NS6_12zip_iteratorINS7_INS6_11hip_rocprim26transform_input_iterator_tIbNSD_35transform_pair_of_input_iterators_tIbNS6_6detail15normal_iteratorINS6_10device_ptrIKtEEEESL_NS6_8equal_toItEEEENSG_9not_fun_tINSD_8identityEEEEENSD_19counting_iterator_tIlEES8_S8_S8_S8_S8_S8_S8_S8_EEEEPS9_S9_NSD_9__find_if7functorIS9_EEEE10hipError_tPvRmT1_T2_T3_mT4_P12ihipStream_tbEUlT_E0_NS1_11comp_targetILNS1_3genE5ELNS1_11target_archE942ELNS1_3gpuE9ELNS1_3repE0EEENS1_30default_config_static_selectorELNS0_4arch9wavefront6targetE1EEEvS14_,comdat
.Lfunc_end189:
	.size	_ZN7rocprim17ROCPRIM_400000_NS6detail17trampoline_kernelINS0_14default_configENS1_22reduce_config_selectorIN6thrust23THRUST_200600_302600_NS5tupleIblNS6_9null_typeES8_S8_S8_S8_S8_S8_S8_EEEEZNS1_11reduce_implILb1ES3_NS6_12zip_iteratorINS7_INS6_11hip_rocprim26transform_input_iterator_tIbNSD_35transform_pair_of_input_iterators_tIbNS6_6detail15normal_iteratorINS6_10device_ptrIKtEEEESL_NS6_8equal_toItEEEENSG_9not_fun_tINSD_8identityEEEEENSD_19counting_iterator_tIlEES8_S8_S8_S8_S8_S8_S8_S8_EEEEPS9_S9_NSD_9__find_if7functorIS9_EEEE10hipError_tPvRmT1_T2_T3_mT4_P12ihipStream_tbEUlT_E0_NS1_11comp_targetILNS1_3genE5ELNS1_11target_archE942ELNS1_3gpuE9ELNS1_3repE0EEENS1_30default_config_static_selectorELNS0_4arch9wavefront6targetE1EEEvS14_, .Lfunc_end189-_ZN7rocprim17ROCPRIM_400000_NS6detail17trampoline_kernelINS0_14default_configENS1_22reduce_config_selectorIN6thrust23THRUST_200600_302600_NS5tupleIblNS6_9null_typeES8_S8_S8_S8_S8_S8_S8_EEEEZNS1_11reduce_implILb1ES3_NS6_12zip_iteratorINS7_INS6_11hip_rocprim26transform_input_iterator_tIbNSD_35transform_pair_of_input_iterators_tIbNS6_6detail15normal_iteratorINS6_10device_ptrIKtEEEESL_NS6_8equal_toItEEEENSG_9not_fun_tINSD_8identityEEEEENSD_19counting_iterator_tIlEES8_S8_S8_S8_S8_S8_S8_S8_EEEEPS9_S9_NSD_9__find_if7functorIS9_EEEE10hipError_tPvRmT1_T2_T3_mT4_P12ihipStream_tbEUlT_E0_NS1_11comp_targetILNS1_3genE5ELNS1_11target_archE942ELNS1_3gpuE9ELNS1_3repE0EEENS1_30default_config_static_selectorELNS0_4arch9wavefront6targetE1EEEvS14_
                                        ; -- End function
	.section	.AMDGPU.csdata,"",@progbits
; Kernel info:
; codeLenInByte = 0
; NumSgprs: 4
; NumVgprs: 0
; NumAgprs: 0
; TotalNumVgprs: 0
; ScratchSize: 0
; MemoryBound: 0
; FloatMode: 240
; IeeeMode: 1
; LDSByteSize: 0 bytes/workgroup (compile time only)
; SGPRBlocks: 0
; VGPRBlocks: 0
; NumSGPRsForWavesPerEU: 4
; NumVGPRsForWavesPerEU: 1
; AccumOffset: 4
; Occupancy: 8
; WaveLimiterHint : 0
; COMPUTE_PGM_RSRC2:SCRATCH_EN: 0
; COMPUTE_PGM_RSRC2:USER_SGPR: 6
; COMPUTE_PGM_RSRC2:TRAP_HANDLER: 0
; COMPUTE_PGM_RSRC2:TGID_X_EN: 1
; COMPUTE_PGM_RSRC2:TGID_Y_EN: 0
; COMPUTE_PGM_RSRC2:TGID_Z_EN: 0
; COMPUTE_PGM_RSRC2:TIDIG_COMP_CNT: 0
; COMPUTE_PGM_RSRC3_GFX90A:ACCUM_OFFSET: 0
; COMPUTE_PGM_RSRC3_GFX90A:TG_SPLIT: 0
	.section	.text._ZN7rocprim17ROCPRIM_400000_NS6detail17trampoline_kernelINS0_14default_configENS1_22reduce_config_selectorIN6thrust23THRUST_200600_302600_NS5tupleIblNS6_9null_typeES8_S8_S8_S8_S8_S8_S8_EEEEZNS1_11reduce_implILb1ES3_NS6_12zip_iteratorINS7_INS6_11hip_rocprim26transform_input_iterator_tIbNSD_35transform_pair_of_input_iterators_tIbNS6_6detail15normal_iteratorINS6_10device_ptrIKtEEEESL_NS6_8equal_toItEEEENSG_9not_fun_tINSD_8identityEEEEENSD_19counting_iterator_tIlEES8_S8_S8_S8_S8_S8_S8_S8_EEEEPS9_S9_NSD_9__find_if7functorIS9_EEEE10hipError_tPvRmT1_T2_T3_mT4_P12ihipStream_tbEUlT_E0_NS1_11comp_targetILNS1_3genE4ELNS1_11target_archE910ELNS1_3gpuE8ELNS1_3repE0EEENS1_30default_config_static_selectorELNS0_4arch9wavefront6targetE1EEEvS14_,"axG",@progbits,_ZN7rocprim17ROCPRIM_400000_NS6detail17trampoline_kernelINS0_14default_configENS1_22reduce_config_selectorIN6thrust23THRUST_200600_302600_NS5tupleIblNS6_9null_typeES8_S8_S8_S8_S8_S8_S8_EEEEZNS1_11reduce_implILb1ES3_NS6_12zip_iteratorINS7_INS6_11hip_rocprim26transform_input_iterator_tIbNSD_35transform_pair_of_input_iterators_tIbNS6_6detail15normal_iteratorINS6_10device_ptrIKtEEEESL_NS6_8equal_toItEEEENSG_9not_fun_tINSD_8identityEEEEENSD_19counting_iterator_tIlEES8_S8_S8_S8_S8_S8_S8_S8_EEEEPS9_S9_NSD_9__find_if7functorIS9_EEEE10hipError_tPvRmT1_T2_T3_mT4_P12ihipStream_tbEUlT_E0_NS1_11comp_targetILNS1_3genE4ELNS1_11target_archE910ELNS1_3gpuE8ELNS1_3repE0EEENS1_30default_config_static_selectorELNS0_4arch9wavefront6targetE1EEEvS14_,comdat
	.protected	_ZN7rocprim17ROCPRIM_400000_NS6detail17trampoline_kernelINS0_14default_configENS1_22reduce_config_selectorIN6thrust23THRUST_200600_302600_NS5tupleIblNS6_9null_typeES8_S8_S8_S8_S8_S8_S8_EEEEZNS1_11reduce_implILb1ES3_NS6_12zip_iteratorINS7_INS6_11hip_rocprim26transform_input_iterator_tIbNSD_35transform_pair_of_input_iterators_tIbNS6_6detail15normal_iteratorINS6_10device_ptrIKtEEEESL_NS6_8equal_toItEEEENSG_9not_fun_tINSD_8identityEEEEENSD_19counting_iterator_tIlEES8_S8_S8_S8_S8_S8_S8_S8_EEEEPS9_S9_NSD_9__find_if7functorIS9_EEEE10hipError_tPvRmT1_T2_T3_mT4_P12ihipStream_tbEUlT_E0_NS1_11comp_targetILNS1_3genE4ELNS1_11target_archE910ELNS1_3gpuE8ELNS1_3repE0EEENS1_30default_config_static_selectorELNS0_4arch9wavefront6targetE1EEEvS14_ ; -- Begin function _ZN7rocprim17ROCPRIM_400000_NS6detail17trampoline_kernelINS0_14default_configENS1_22reduce_config_selectorIN6thrust23THRUST_200600_302600_NS5tupleIblNS6_9null_typeES8_S8_S8_S8_S8_S8_S8_EEEEZNS1_11reduce_implILb1ES3_NS6_12zip_iteratorINS7_INS6_11hip_rocprim26transform_input_iterator_tIbNSD_35transform_pair_of_input_iterators_tIbNS6_6detail15normal_iteratorINS6_10device_ptrIKtEEEESL_NS6_8equal_toItEEEENSG_9not_fun_tINSD_8identityEEEEENSD_19counting_iterator_tIlEES8_S8_S8_S8_S8_S8_S8_S8_EEEEPS9_S9_NSD_9__find_if7functorIS9_EEEE10hipError_tPvRmT1_T2_T3_mT4_P12ihipStream_tbEUlT_E0_NS1_11comp_targetILNS1_3genE4ELNS1_11target_archE910ELNS1_3gpuE8ELNS1_3repE0EEENS1_30default_config_static_selectorELNS0_4arch9wavefront6targetE1EEEvS14_
	.globl	_ZN7rocprim17ROCPRIM_400000_NS6detail17trampoline_kernelINS0_14default_configENS1_22reduce_config_selectorIN6thrust23THRUST_200600_302600_NS5tupleIblNS6_9null_typeES8_S8_S8_S8_S8_S8_S8_EEEEZNS1_11reduce_implILb1ES3_NS6_12zip_iteratorINS7_INS6_11hip_rocprim26transform_input_iterator_tIbNSD_35transform_pair_of_input_iterators_tIbNS6_6detail15normal_iteratorINS6_10device_ptrIKtEEEESL_NS6_8equal_toItEEEENSG_9not_fun_tINSD_8identityEEEEENSD_19counting_iterator_tIlEES8_S8_S8_S8_S8_S8_S8_S8_EEEEPS9_S9_NSD_9__find_if7functorIS9_EEEE10hipError_tPvRmT1_T2_T3_mT4_P12ihipStream_tbEUlT_E0_NS1_11comp_targetILNS1_3genE4ELNS1_11target_archE910ELNS1_3gpuE8ELNS1_3repE0EEENS1_30default_config_static_selectorELNS0_4arch9wavefront6targetE1EEEvS14_
	.p2align	8
	.type	_ZN7rocprim17ROCPRIM_400000_NS6detail17trampoline_kernelINS0_14default_configENS1_22reduce_config_selectorIN6thrust23THRUST_200600_302600_NS5tupleIblNS6_9null_typeES8_S8_S8_S8_S8_S8_S8_EEEEZNS1_11reduce_implILb1ES3_NS6_12zip_iteratorINS7_INS6_11hip_rocprim26transform_input_iterator_tIbNSD_35transform_pair_of_input_iterators_tIbNS6_6detail15normal_iteratorINS6_10device_ptrIKtEEEESL_NS6_8equal_toItEEEENSG_9not_fun_tINSD_8identityEEEEENSD_19counting_iterator_tIlEES8_S8_S8_S8_S8_S8_S8_S8_EEEEPS9_S9_NSD_9__find_if7functorIS9_EEEE10hipError_tPvRmT1_T2_T3_mT4_P12ihipStream_tbEUlT_E0_NS1_11comp_targetILNS1_3genE4ELNS1_11target_archE910ELNS1_3gpuE8ELNS1_3repE0EEENS1_30default_config_static_selectorELNS0_4arch9wavefront6targetE1EEEvS14_,@function
_ZN7rocprim17ROCPRIM_400000_NS6detail17trampoline_kernelINS0_14default_configENS1_22reduce_config_selectorIN6thrust23THRUST_200600_302600_NS5tupleIblNS6_9null_typeES8_S8_S8_S8_S8_S8_S8_EEEEZNS1_11reduce_implILb1ES3_NS6_12zip_iteratorINS7_INS6_11hip_rocprim26transform_input_iterator_tIbNSD_35transform_pair_of_input_iterators_tIbNS6_6detail15normal_iteratorINS6_10device_ptrIKtEEEESL_NS6_8equal_toItEEEENSG_9not_fun_tINSD_8identityEEEEENSD_19counting_iterator_tIlEES8_S8_S8_S8_S8_S8_S8_S8_EEEEPS9_S9_NSD_9__find_if7functorIS9_EEEE10hipError_tPvRmT1_T2_T3_mT4_P12ihipStream_tbEUlT_E0_NS1_11comp_targetILNS1_3genE4ELNS1_11target_archE910ELNS1_3gpuE8ELNS1_3repE0EEENS1_30default_config_static_selectorELNS0_4arch9wavefront6targetE1EEEvS14_: ; @_ZN7rocprim17ROCPRIM_400000_NS6detail17trampoline_kernelINS0_14default_configENS1_22reduce_config_selectorIN6thrust23THRUST_200600_302600_NS5tupleIblNS6_9null_typeES8_S8_S8_S8_S8_S8_S8_EEEEZNS1_11reduce_implILb1ES3_NS6_12zip_iteratorINS7_INS6_11hip_rocprim26transform_input_iterator_tIbNSD_35transform_pair_of_input_iterators_tIbNS6_6detail15normal_iteratorINS6_10device_ptrIKtEEEESL_NS6_8equal_toItEEEENSG_9not_fun_tINSD_8identityEEEEENSD_19counting_iterator_tIlEES8_S8_S8_S8_S8_S8_S8_S8_EEEEPS9_S9_NSD_9__find_if7functorIS9_EEEE10hipError_tPvRmT1_T2_T3_mT4_P12ihipStream_tbEUlT_E0_NS1_11comp_targetILNS1_3genE4ELNS1_11target_archE910ELNS1_3gpuE8ELNS1_3repE0EEENS1_30default_config_static_selectorELNS0_4arch9wavefront6targetE1EEEvS14_
; %bb.0:
	s_load_dwordx8 s[8:15], s[4:5], 0x20
	s_load_dwordx4 s[0:3], s[4:5], 0x0
	s_load_dwordx4 s[16:19], s[4:5], 0x40
	s_mov_b32 s25, 0
	s_mov_b32 s7, s25
	s_waitcnt lgkmcnt(0)
	s_lshl_b64 s[20:21], s[10:11], 1
	s_add_u32 s22, s0, s20
	s_addc_u32 s23, s1, s21
	s_add_u32 s26, s2, s20
	s_addc_u32 s27, s3, s21
	s_lshl_b32 s24, s6, 9
	s_lshr_b64 s[0:1], s[12:13], 9
	s_lshl_b64 s[2:3], s[24:25], 1
	s_add_u32 s20, s22, s2
	s_addc_u32 s21, s23, s3
	s_add_u32 s22, s26, s2
	s_addc_u32 s23, s27, s3
	;; [unrolled: 2-line block ×4, first 2 shown]
	s_cmp_lg_u64 s[0:1], s[6:7]
	v_lshlrev_b32_e32 v1, 1, v0
	s_cbranch_scc0 .LBB190_18
; %bb.1:
	global_load_ushort v2, v1, s[22:23] offset:512
	global_load_ushort v3, v1, s[22:23]
	global_load_ushort v4, v1, s[20:21] offset:512
	global_load_ushort v5, v1, s[20:21]
	v_mov_b32_e32 v6, s9
	v_add_co_u32_e32 v7, vcc, s8, v0
	v_addc_co_u32_e32 v6, vcc, 0, v6, vcc
	v_add_co_u32_e32 v8, vcc, 0x100, v7
	v_addc_co_u32_e32 v9, vcc, 0, v6, vcc
	s_waitcnt vmcnt(1)
	v_cmp_ne_u16_e32 vcc, v4, v2
	s_waitcnt vmcnt(0)
	v_cmp_ne_u16_e64 s[0:1], v5, v3
	v_cndmask_b32_e64 v3, v9, v6, s[0:1]
	v_cndmask_b32_e64 v2, v8, v7, s[0:1]
	s_or_b64 s[0:1], s[0:1], vcc
	v_cndmask_b32_e64 v6, 0, 1, s[0:1]
	v_mov_b32_dpp v4, v2 quad_perm:[1,0,3,2] row_mask:0xf bank_mask:0xf bound_ctrl:1
	v_mov_b32_dpp v5, v3 quad_perm:[1,0,3,2] row_mask:0xf bank_mask:0xf bound_ctrl:1
	;; [unrolled: 1-line block ×3, first 2 shown]
	v_and_b32_e32 v8, 1, v7
	v_cmp_eq_u32_e32 vcc, 1, v8
	s_and_saveexec_b64 s[2:3], vcc
; %bb.2:
	v_cmp_lt_i64_e32 vcc, v[2:3], v[4:5]
	v_cndmask_b32_e64 v7, v7, 1, s[0:1]
	s_and_b64 vcc, s[0:1], vcc
	v_cndmask_b32_e32 v2, v4, v2, vcc
	v_and_b32_e32 v4, 1, v7
	v_cndmask_b32_e32 v3, v5, v3, vcc
	v_cmp_eq_u32_e32 vcc, 1, v4
	s_andn2_b64 s[0:1], s[0:1], exec
	s_and_b64 s[10:11], vcc, exec
	v_and_b32_e32 v6, 0xff, v7
	s_or_b64 s[0:1], s[0:1], s[10:11]
; %bb.3:
	s_or_b64 exec, exec, s[2:3]
	v_mov_b32_dpp v7, v6 quad_perm:[2,3,0,1] row_mask:0xf bank_mask:0xf bound_ctrl:1
	v_and_b32_e32 v8, 1, v7
	v_mov_b32_dpp v4, v2 quad_perm:[2,3,0,1] row_mask:0xf bank_mask:0xf bound_ctrl:1
	v_mov_b32_dpp v5, v3 quad_perm:[2,3,0,1] row_mask:0xf bank_mask:0xf bound_ctrl:1
	v_cmp_eq_u32_e32 vcc, 1, v8
	s_and_saveexec_b64 s[2:3], vcc
; %bb.4:
	v_cmp_lt_i64_e32 vcc, v[2:3], v[4:5]
	v_cndmask_b32_e64 v7, v7, 1, s[0:1]
	s_and_b64 vcc, s[0:1], vcc
	v_cndmask_b32_e32 v2, v4, v2, vcc
	v_and_b32_e32 v4, 1, v7
	v_cndmask_b32_e32 v3, v5, v3, vcc
	v_cmp_eq_u32_e32 vcc, 1, v4
	s_andn2_b64 s[0:1], s[0:1], exec
	s_and_b64 s[10:11], vcc, exec
	v_and_b32_e32 v6, 0xff, v7
	s_or_b64 s[0:1], s[0:1], s[10:11]
; %bb.5:
	s_or_b64 exec, exec, s[2:3]
	v_mov_b32_dpp v7, v6 row_ror:4 row_mask:0xf bank_mask:0xf bound_ctrl:1
	v_and_b32_e32 v8, 1, v7
	v_mov_b32_dpp v4, v2 row_ror:4 row_mask:0xf bank_mask:0xf bound_ctrl:1
	v_mov_b32_dpp v5, v3 row_ror:4 row_mask:0xf bank_mask:0xf bound_ctrl:1
	v_cmp_eq_u32_e32 vcc, 1, v8
	s_and_saveexec_b64 s[2:3], vcc
; %bb.6:
	v_cmp_lt_i64_e32 vcc, v[2:3], v[4:5]
	v_cndmask_b32_e64 v7, v7, 1, s[0:1]
	s_and_b64 vcc, s[0:1], vcc
	v_cndmask_b32_e32 v2, v4, v2, vcc
	v_and_b32_e32 v4, 1, v7
	v_cndmask_b32_e32 v3, v5, v3, vcc
	v_cmp_eq_u32_e32 vcc, 1, v4
	s_andn2_b64 s[0:1], s[0:1], exec
	s_and_b64 s[10:11], vcc, exec
	v_and_b32_e32 v6, 0xff, v7
	s_or_b64 s[0:1], s[0:1], s[10:11]
; %bb.7:
	s_or_b64 exec, exec, s[2:3]
	v_mov_b32_dpp v7, v6 row_ror:8 row_mask:0xf bank_mask:0xf bound_ctrl:1
	v_and_b32_e32 v8, 1, v7
	v_mov_b32_dpp v4, v2 row_ror:8 row_mask:0xf bank_mask:0xf bound_ctrl:1
	v_mov_b32_dpp v5, v3 row_ror:8 row_mask:0xf bank_mask:0xf bound_ctrl:1
	v_cmp_eq_u32_e32 vcc, 1, v8
	s_and_saveexec_b64 s[2:3], vcc
; %bb.8:
	v_cmp_lt_i64_e32 vcc, v[2:3], v[4:5]
	v_cndmask_b32_e64 v7, v7, 1, s[0:1]
	s_and_b64 vcc, s[0:1], vcc
	v_cndmask_b32_e32 v2, v4, v2, vcc
	v_and_b32_e32 v4, 1, v7
	v_cndmask_b32_e32 v3, v5, v3, vcc
	v_cmp_eq_u32_e32 vcc, 1, v4
	s_andn2_b64 s[0:1], s[0:1], exec
	s_and_b64 s[10:11], vcc, exec
	v_and_b32_e32 v6, 0xff, v7
	s_or_b64 s[0:1], s[0:1], s[10:11]
; %bb.9:
	s_or_b64 exec, exec, s[2:3]
	v_mov_b32_dpp v7, v6 row_bcast:15 row_mask:0xf bank_mask:0xf bound_ctrl:1
	v_and_b32_e32 v8, 1, v7
	v_mov_b32_dpp v4, v2 row_bcast:15 row_mask:0xf bank_mask:0xf bound_ctrl:1
	v_mov_b32_dpp v5, v3 row_bcast:15 row_mask:0xf bank_mask:0xf bound_ctrl:1
	v_cmp_eq_u32_e32 vcc, 1, v8
	s_and_saveexec_b64 s[2:3], vcc
; %bb.10:
	v_cmp_lt_i64_e32 vcc, v[2:3], v[4:5]
	v_cndmask_b32_e64 v7, v7, 1, s[0:1]
	s_and_b64 vcc, s[0:1], vcc
	v_cndmask_b32_e32 v2, v4, v2, vcc
	v_and_b32_e32 v4, 1, v7
	v_cndmask_b32_e32 v3, v5, v3, vcc
	v_cmp_eq_u32_e32 vcc, 1, v4
	s_andn2_b64 s[0:1], s[0:1], exec
	s_and_b64 s[10:11], vcc, exec
	v_and_b32_e32 v6, 0xff, v7
	s_or_b64 s[0:1], s[0:1], s[10:11]
; %bb.11:
	s_or_b64 exec, exec, s[2:3]
	v_mov_b32_dpp v7, v6 row_bcast:31 row_mask:0xf bank_mask:0xf bound_ctrl:1
	v_and_b32_e32 v8, 1, v7
	v_mov_b32_dpp v4, v2 row_bcast:31 row_mask:0xf bank_mask:0xf bound_ctrl:1
	v_mov_b32_dpp v5, v3 row_bcast:31 row_mask:0xf bank_mask:0xf bound_ctrl:1
	v_cmp_eq_u32_e32 vcc, 1, v8
	s_and_saveexec_b64 s[2:3], vcc
; %bb.12:
	v_cmp_lt_i64_e32 vcc, v[2:3], v[4:5]
	v_and_b32_e32 v6, 0xff, v7
	s_and_b64 vcc, s[0:1], vcc
	v_cndmask_b32_e32 v2, v4, v2, vcc
	v_cndmask_b32_e32 v3, v5, v3, vcc
	v_cndmask_b32_e64 v6, v6, 1, s[0:1]
; %bb.13:
	s_or_b64 exec, exec, s[2:3]
	v_mbcnt_lo_u32_b32 v4, -1, 0
	v_mbcnt_hi_u32_b32 v4, -1, v4
	v_bfrev_b32_e32 v5, 0.5
	v_lshl_or_b32 v5, v4, 2, v5
	ds_bpermute_b32 v6, v5, v6
	ds_bpermute_b32 v2, v5, v2
	ds_bpermute_b32 v3, v5, v3
	v_cmp_eq_u32_e32 vcc, 0, v4
	s_and_saveexec_b64 s[0:1], vcc
	s_cbranch_execz .LBB190_15
; %bb.14:
	v_lshrrev_b32_e32 v5, 2, v0
	v_and_b32_e32 v5, 48, v5
	s_waitcnt lgkmcnt(2)
	ds_write_b8 v5, v6
	s_waitcnt lgkmcnt(1)
	ds_write_b64 v5, v[2:3] offset:8
.LBB190_15:
	s_or_b64 exec, exec, s[0:1]
	v_cmp_gt_u32_e32 vcc, 64, v0
	s_waitcnt lgkmcnt(0)
	s_barrier
	s_and_saveexec_b64 s[2:3], vcc
	s_cbranch_execz .LBB190_17
; %bb.16:
	v_and_b32_e32 v5, 3, v4
	v_lshlrev_b32_e32 v2, 4, v5
	ds_read_u8 v8, v2
	ds_read_b64 v[2:3], v2 offset:8
	v_cmp_ne_u32_e32 vcc, 3, v5
	v_addc_co_u32_e32 v6, vcc, 0, v4, vcc
	s_waitcnt lgkmcnt(1)
	v_and_b32_e32 v7, 0xff, v8
	v_lshlrev_b32_e32 v9, 2, v6
	ds_bpermute_b32 v10, v9, v7
	s_waitcnt lgkmcnt(1)
	ds_bpermute_b32 v6, v9, v2
	ds_bpermute_b32 v7, v9, v3
	v_and_b32_e32 v9, 1, v8
	s_waitcnt lgkmcnt(2)
	v_and_b32_e32 v11, 1, v10
	v_cmp_eq_u32_e64 s[0:1], 1, v11
	s_waitcnt lgkmcnt(0)
	v_cmp_lt_i64_e32 vcc, v[6:7], v[2:3]
	s_and_b64 vcc, s[0:1], vcc
	v_cndmask_b32_e64 v8, v8, 1, s[0:1]
	v_cndmask_b32_e32 v2, v2, v6, vcc
	v_cndmask_b32_e32 v3, v3, v7, vcc
	v_cmp_eq_u32_e32 vcc, 1, v9
	v_cndmask_b32_e32 v8, v10, v8, vcc
	v_cndmask_b32_e32 v3, v7, v3, vcc
	;; [unrolled: 1-line block ×3, first 2 shown]
	v_cmp_gt_u32_e32 vcc, 2, v5
	v_cndmask_b32_e64 v5, 0, 1, vcc
	v_lshlrev_b32_e32 v5, 1, v5
	v_and_b32_e32 v6, 0xff, v8
	v_add_lshl_u32 v5, v5, v4, 2
	ds_bpermute_b32 v6, v5, v6
	ds_bpermute_b32 v4, v5, v2
	;; [unrolled: 1-line block ×3, first 2 shown]
	v_and_b32_e32 v7, 1, v8
	s_waitcnt lgkmcnt(2)
	v_and_b32_e32 v9, 1, v6
	v_cmp_eq_u32_e64 s[0:1], 1, v9
	s_waitcnt lgkmcnt(0)
	v_cmp_lt_i64_e32 vcc, v[4:5], v[2:3]
	s_and_b64 vcc, s[0:1], vcc
	v_cndmask_b32_e64 v8, v8, 1, s[0:1]
	v_cndmask_b32_e32 v2, v2, v4, vcc
	v_cndmask_b32_e32 v3, v3, v5, vcc
	v_cmp_eq_u32_e32 vcc, 1, v7
	v_cndmask_b32_e32 v6, v6, v8, vcc
	v_cndmask_b32_e32 v3, v5, v3, vcc
	;; [unrolled: 1-line block ×3, first 2 shown]
	v_and_b32_e32 v6, 0xff, v6
.LBB190_17:
	s_or_b64 exec, exec, s[2:3]
	s_load_dword s10, s[4:5], 0x50
	s_load_dwordx2 s[2:3], s[4:5], 0x58
	s_branch .LBB190_46
.LBB190_18:
                                        ; implicit-def: $vgpr2_vgpr3
                                        ; implicit-def: $vgpr6
	s_load_dword s10, s[4:5], 0x50
	s_load_dwordx2 s[2:3], s[4:5], 0x58
	s_cbranch_execz .LBB190_46
; %bb.19:
	s_sub_i32 s11, s12, s24
	v_pk_mov_b32 v[4:5], 0, 0
	v_cmp_gt_u32_e32 vcc, s11, v0
	v_mov_b32_e32 v6, 0
	v_pk_mov_b32 v[2:3], v[4:5], v[4:5] op_sel:[0,1]
	v_mov_b32_e32 v7, 0
	s_and_saveexec_b64 s[0:1], vcc
	s_cbranch_execz .LBB190_21
; %bb.20:
	global_load_ushort v7, v1, s[20:21]
	global_load_ushort v8, v1, s[22:23]
	v_mov_b32_e32 v3, s9
	v_add_co_u32_e32 v2, vcc, s8, v0
	v_addc_co_u32_e32 v3, vcc, 0, v3, vcc
	s_waitcnt vmcnt(0)
	v_cmp_ne_u16_e32 vcc, v7, v8
	v_cndmask_b32_e64 v7, 0, 1, vcc
.LBB190_21:
	s_or_b64 exec, exec, s[0:1]
	v_or_b32_e32 v8, 0x100, v0
	v_cmp_gt_u32_e32 vcc, s11, v8
	s_and_saveexec_b64 s[4:5], vcc
	s_cbranch_execz .LBB190_23
; %bb.22:
	global_load_ushort v6, v1, s[20:21] offset:512
	global_load_ushort v9, v1, s[22:23] offset:512
	v_mov_b32_e32 v1, s9
	v_add_co_u32_e64 v4, s[0:1], s8, v8
	v_addc_co_u32_e64 v5, s[0:1], 0, v1, s[0:1]
	s_waitcnt vmcnt(0)
	v_cmp_ne_u16_e64 s[0:1], v6, v9
	v_cndmask_b32_e64 v6, 0, 1, s[0:1]
.LBB190_23:
	s_or_b64 exec, exec, s[4:5]
	s_and_saveexec_b64 s[4:5], vcc
	s_cbranch_execz .LBB190_25
; %bb.24:
	v_and_b32_e32 v8, 1, v6
	v_cmp_lt_i64_e32 vcc, v[4:5], v[2:3]
	v_cmp_eq_u32_e64 s[0:1], 1, v8
	v_and_b32_e32 v1, 1, v7
	s_and_b64 vcc, s[0:1], vcc
	v_cndmask_b32_e64 v7, v7, 1, s[0:1]
	v_cndmask_b32_e32 v2, v2, v4, vcc
	v_cndmask_b32_e32 v3, v3, v5, vcc
	v_cmp_eq_u32_e32 vcc, 1, v1
	v_cndmask_b32_e32 v7, v6, v7, vcc
	v_cndmask_b32_e32 v3, v5, v3, vcc
	;; [unrolled: 1-line block ×3, first 2 shown]
.LBB190_25:
	s_or_b64 exec, exec, s[4:5]
	v_mbcnt_lo_u32_b32 v1, -1, 0
	v_mbcnt_hi_u32_b32 v1, -1, v1
	v_and_b32_e32 v8, 63, v1
	v_cmp_ne_u32_e32 vcc, 63, v8
	v_addc_co_u32_e32 v4, vcc, 0, v1, vcc
	v_and_b32_e32 v6, 0xffff, v7
	v_lshlrev_b32_e32 v5, 2, v4
	ds_bpermute_b32 v10, v5, v6
	ds_bpermute_b32 v4, v5, v2
	ds_bpermute_b32 v5, v5, v3
	s_min_u32 s8, s11, 0x100
	v_and_b32_e32 v9, 0xc0, v0
	v_sub_u32_e64 v9, s8, v9 clamp
	v_add_u32_e32 v11, 1, v8
	v_cmp_lt_u32_e32 vcc, v11, v9
	s_and_saveexec_b64 s[4:5], vcc
	s_cbranch_execz .LBB190_27
; %bb.26:
	s_waitcnt lgkmcnt(0)
	v_and_b32_e32 v11, 1, v10
	v_cmp_lt_i64_e32 vcc, v[4:5], v[2:3]
	v_cmp_eq_u32_e64 s[0:1], 1, v11
	v_and_b32_e32 v6, 1, v7
	s_and_b64 vcc, s[0:1], vcc
	v_cndmask_b32_e64 v7, v7, 1, s[0:1]
	v_cndmask_b32_e32 v2, v2, v4, vcc
	v_cndmask_b32_e32 v3, v3, v5, vcc
	v_cmp_eq_u32_e32 vcc, 1, v6
	v_cndmask_b32_e32 v7, v10, v7, vcc
	v_cndmask_b32_e32 v3, v5, v3, vcc
	;; [unrolled: 1-line block ×3, first 2 shown]
	v_and_b32_e32 v6, 0xff, v7
.LBB190_27:
	s_or_b64 exec, exec, s[4:5]
	v_cmp_gt_u32_e32 vcc, 62, v8
	s_waitcnt lgkmcnt(0)
	v_cndmask_b32_e64 v4, 0, 1, vcc
	v_lshlrev_b32_e32 v4, 1, v4
	v_add_lshl_u32 v5, v4, v1, 2
	ds_bpermute_b32 v10, v5, v6
	ds_bpermute_b32 v4, v5, v2
	ds_bpermute_b32 v5, v5, v3
	v_add_u32_e32 v11, 2, v8
	v_cmp_lt_u32_e32 vcc, v11, v9
	s_and_saveexec_b64 s[4:5], vcc
	s_cbranch_execz .LBB190_29
; %bb.28:
	s_waitcnt lgkmcnt(2)
	v_and_b32_e32 v11, 1, v10
	s_waitcnt lgkmcnt(0)
	v_cmp_lt_i64_e32 vcc, v[4:5], v[2:3]
	v_cmp_eq_u32_e64 s[0:1], 1, v11
	v_and_b32_e32 v6, 1, v7
	s_and_b64 vcc, s[0:1], vcc
	v_cndmask_b32_e64 v7, v7, 1, s[0:1]
	v_cndmask_b32_e32 v2, v2, v4, vcc
	v_cndmask_b32_e32 v3, v3, v5, vcc
	v_cmp_eq_u32_e32 vcc, 1, v6
	v_cndmask_b32_e32 v7, v10, v7, vcc
	v_cndmask_b32_e32 v3, v5, v3, vcc
	v_cndmask_b32_e32 v2, v4, v2, vcc
	v_and_b32_e32 v6, 0xff, v7
.LBB190_29:
	s_or_b64 exec, exec, s[4:5]
	v_cmp_gt_u32_e32 vcc, 60, v8
	s_waitcnt lgkmcnt(1)
	v_cndmask_b32_e64 v4, 0, 1, vcc
	v_lshlrev_b32_e32 v4, 2, v4
	s_waitcnt lgkmcnt(0)
	v_add_lshl_u32 v5, v4, v1, 2
	ds_bpermute_b32 v10, v5, v6
	ds_bpermute_b32 v4, v5, v2
	ds_bpermute_b32 v5, v5, v3
	v_add_u32_e32 v11, 4, v8
	v_cmp_lt_u32_e32 vcc, v11, v9
	s_and_saveexec_b64 s[4:5], vcc
	s_cbranch_execz .LBB190_31
; %bb.30:
	s_waitcnt lgkmcnt(2)
	v_and_b32_e32 v11, 1, v10
	s_waitcnt lgkmcnt(0)
	v_cmp_lt_i64_e32 vcc, v[4:5], v[2:3]
	v_cmp_eq_u32_e64 s[0:1], 1, v11
	v_and_b32_e32 v6, 1, v7
	s_and_b64 vcc, s[0:1], vcc
	v_cndmask_b32_e64 v7, v7, 1, s[0:1]
	v_cndmask_b32_e32 v2, v2, v4, vcc
	v_cndmask_b32_e32 v3, v3, v5, vcc
	v_cmp_eq_u32_e32 vcc, 1, v6
	v_cndmask_b32_e32 v7, v10, v7, vcc
	v_cndmask_b32_e32 v3, v5, v3, vcc
	v_cndmask_b32_e32 v2, v4, v2, vcc
	v_and_b32_e32 v6, 0xff, v7
.LBB190_31:
	s_or_b64 exec, exec, s[4:5]
	v_cmp_gt_u32_e32 vcc, 56, v8
	s_waitcnt lgkmcnt(1)
	v_cndmask_b32_e64 v4, 0, 1, vcc
	v_lshlrev_b32_e32 v4, 3, v4
	s_waitcnt lgkmcnt(0)
	;; [unrolled: 31-line block ×4, first 2 shown]
	v_add_lshl_u32 v5, v4, v1, 2
	ds_bpermute_b32 v10, v5, v6
	ds_bpermute_b32 v4, v5, v2
	;; [unrolled: 1-line block ×3, first 2 shown]
	v_add_u32_e32 v8, 32, v8
	v_cmp_lt_u32_e32 vcc, v8, v9
	s_and_saveexec_b64 s[4:5], vcc
	s_cbranch_execz .LBB190_37
; %bb.36:
	s_waitcnt lgkmcnt(2)
	v_and_b32_e32 v8, 1, v10
	s_waitcnt lgkmcnt(0)
	v_cmp_lt_i64_e32 vcc, v[4:5], v[2:3]
	v_cmp_eq_u32_e64 s[0:1], 1, v8
	v_and_b32_e32 v6, 1, v7
	s_and_b64 vcc, s[0:1], vcc
	v_cndmask_b32_e64 v7, v7, 1, s[0:1]
	v_cndmask_b32_e32 v2, v2, v4, vcc
	v_cndmask_b32_e32 v3, v3, v5, vcc
	v_cmp_eq_u32_e32 vcc, 1, v6
	v_cndmask_b32_e32 v7, v10, v7, vcc
	v_cndmask_b32_e32 v3, v5, v3, vcc
	;; [unrolled: 1-line block ×3, first 2 shown]
	v_and_b32_e32 v6, 0xff, v7
.LBB190_37:
	s_or_b64 exec, exec, s[4:5]
	v_cmp_eq_u32_e32 vcc, 0, v1
	s_and_saveexec_b64 s[0:1], vcc
	s_cbranch_execz .LBB190_39
; %bb.38:
	s_waitcnt lgkmcnt(1)
	v_lshrrev_b32_e32 v4, 2, v0
	v_and_b32_e32 v4, 48, v4
	ds_write_b8 v4, v7 offset:64
	ds_write_b64 v4, v[2:3] offset:72
.LBB190_39:
	s_or_b64 exec, exec, s[0:1]
	v_cmp_gt_u32_e32 vcc, 4, v0
	s_waitcnt lgkmcnt(0)
	s_barrier
	s_and_saveexec_b64 s[4:5], vcc
	s_cbranch_execz .LBB190_45
; %bb.40:
	v_lshlrev_b32_e32 v2, 4, v1
	ds_read_u8 v7, v2 offset:64
	ds_read_b64 v[2:3], v2 offset:72
	v_and_b32_e32 v8, 3, v1
	v_cmp_ne_u32_e32 vcc, 3, v8
	v_addc_co_u32_e32 v4, vcc, 0, v1, vcc
	s_waitcnt lgkmcnt(1)
	v_and_b32_e32 v6, 0xff, v7
	v_lshlrev_b32_e32 v5, 2, v4
	ds_bpermute_b32 v9, v5, v6
	s_waitcnt lgkmcnt(1)
	ds_bpermute_b32 v4, v5, v2
	ds_bpermute_b32 v5, v5, v3
	s_add_i32 s8, s8, 63
	s_lshr_b32 s11, s8, 6
	v_add_u32_e32 v10, 1, v8
	v_cmp_gt_u32_e32 vcc, s11, v10
	s_and_saveexec_b64 s[8:9], vcc
	s_cbranch_execz .LBB190_42
; %bb.41:
	s_waitcnt lgkmcnt(2)
	v_and_b32_e32 v10, 1, v9
	s_waitcnt lgkmcnt(0)
	v_cmp_lt_i64_e32 vcc, v[4:5], v[2:3]
	v_cmp_eq_u32_e64 s[0:1], 1, v10
	v_and_b32_e32 v6, 1, v7
	s_and_b64 vcc, s[0:1], vcc
	v_cndmask_b32_e64 v7, v7, 1, s[0:1]
	v_cndmask_b32_e32 v2, v2, v4, vcc
	v_cndmask_b32_e32 v3, v3, v5, vcc
	v_cmp_eq_u32_e32 vcc, 1, v6
	v_cndmask_b32_e32 v7, v9, v7, vcc
	v_cndmask_b32_e32 v3, v5, v3, vcc
	;; [unrolled: 1-line block ×3, first 2 shown]
	v_and_b32_e32 v6, 0xff, v7
.LBB190_42:
	s_or_b64 exec, exec, s[8:9]
	v_cmp_gt_u32_e32 vcc, 2, v8
	s_waitcnt lgkmcnt(1)
	v_cndmask_b32_e64 v4, 0, 1, vcc
	v_lshlrev_b32_e32 v4, 1, v4
	s_waitcnt lgkmcnt(0)
	v_add_lshl_u32 v5, v4, v1, 2
	ds_bpermute_b32 v1, v5, v6
	ds_bpermute_b32 v4, v5, v2
	;; [unrolled: 1-line block ×3, first 2 shown]
	v_add_u32_e32 v8, 2, v8
	v_cmp_gt_u32_e32 vcc, s11, v8
	s_and_saveexec_b64 s[8:9], vcc
	s_cbranch_execz .LBB190_44
; %bb.43:
	s_waitcnt lgkmcnt(2)
	v_and_b32_e32 v8, 1, v1
	s_waitcnt lgkmcnt(0)
	v_cmp_lt_i64_e32 vcc, v[4:5], v[2:3]
	v_cmp_eq_u32_e64 s[0:1], 1, v8
	v_and_b32_e32 v6, 1, v7
	s_and_b64 vcc, s[0:1], vcc
	v_cndmask_b32_e64 v7, v7, 1, s[0:1]
	v_cndmask_b32_e32 v2, v2, v4, vcc
	v_cndmask_b32_e32 v3, v3, v5, vcc
	v_cmp_eq_u32_e32 vcc, 1, v6
	v_cndmask_b32_e32 v1, v1, v7, vcc
	v_cndmask_b32_e32 v3, v5, v3, vcc
	;; [unrolled: 1-line block ×3, first 2 shown]
	v_and_b32_e32 v6, 0xff, v1
.LBB190_44:
	s_or_b64 exec, exec, s[8:9]
.LBB190_45:
	s_or_b64 exec, exec, s[4:5]
.LBB190_46:
	v_cmp_eq_u32_e32 vcc, 0, v0
	s_and_saveexec_b64 s[0:1], vcc
	s_cbranch_execnz .LBB190_48
; %bb.47:
	s_endpgm
.LBB190_48:
	s_mul_i32 s0, s18, s17
	s_mul_hi_u32 s1, s18, s16
	s_add_i32 s0, s1, s0
	s_mul_i32 s1, s19, s16
	s_add_i32 s1, s0, s1
	s_mul_i32 s0, s18, s16
	s_lshl_b64 s[0:1], s[0:1], 4
	s_add_u32 s4, s14, s0
	s_addc_u32 s5, s15, s1
	s_cmp_eq_u64 s[12:13], 0
	s_waitcnt lgkmcnt(0)
	v_mov_b32_e32 v0, s3
	s_cselect_b64 vcc, -1, 0
	v_cndmask_b32_e32 v1, v3, v0, vcc
	v_mov_b32_e32 v0, s2
	s_lshl_b64 s[0:1], s[6:7], 4
	v_cndmask_b32_e32 v0, v2, v0, vcc
	v_mov_b32_e32 v2, s10
	s_add_u32 s0, s4, s0
	v_cndmask_b32_e32 v2, v6, v2, vcc
	s_addc_u32 s1, s5, s1
	v_mov_b32_e32 v3, 0
	global_store_byte v3, v2, s[0:1]
	global_store_dwordx2 v3, v[0:1], s[0:1] offset:8
	s_endpgm
	.section	.rodata,"a",@progbits
	.p2align	6, 0x0
	.amdhsa_kernel _ZN7rocprim17ROCPRIM_400000_NS6detail17trampoline_kernelINS0_14default_configENS1_22reduce_config_selectorIN6thrust23THRUST_200600_302600_NS5tupleIblNS6_9null_typeES8_S8_S8_S8_S8_S8_S8_EEEEZNS1_11reduce_implILb1ES3_NS6_12zip_iteratorINS7_INS6_11hip_rocprim26transform_input_iterator_tIbNSD_35transform_pair_of_input_iterators_tIbNS6_6detail15normal_iteratorINS6_10device_ptrIKtEEEESL_NS6_8equal_toItEEEENSG_9not_fun_tINSD_8identityEEEEENSD_19counting_iterator_tIlEES8_S8_S8_S8_S8_S8_S8_S8_EEEEPS9_S9_NSD_9__find_if7functorIS9_EEEE10hipError_tPvRmT1_T2_T3_mT4_P12ihipStream_tbEUlT_E0_NS1_11comp_targetILNS1_3genE4ELNS1_11target_archE910ELNS1_3gpuE8ELNS1_3repE0EEENS1_30default_config_static_selectorELNS0_4arch9wavefront6targetE1EEEvS14_
		.amdhsa_group_segment_fixed_size 128
		.amdhsa_private_segment_fixed_size 0
		.amdhsa_kernarg_size 104
		.amdhsa_user_sgpr_count 6
		.amdhsa_user_sgpr_private_segment_buffer 1
		.amdhsa_user_sgpr_dispatch_ptr 0
		.amdhsa_user_sgpr_queue_ptr 0
		.amdhsa_user_sgpr_kernarg_segment_ptr 1
		.amdhsa_user_sgpr_dispatch_id 0
		.amdhsa_user_sgpr_flat_scratch_init 0
		.amdhsa_user_sgpr_kernarg_preload_length 0
		.amdhsa_user_sgpr_kernarg_preload_offset 0
		.amdhsa_user_sgpr_private_segment_size 0
		.amdhsa_uses_dynamic_stack 0
		.amdhsa_system_sgpr_private_segment_wavefront_offset 0
		.amdhsa_system_sgpr_workgroup_id_x 1
		.amdhsa_system_sgpr_workgroup_id_y 0
		.amdhsa_system_sgpr_workgroup_id_z 0
		.amdhsa_system_sgpr_workgroup_info 0
		.amdhsa_system_vgpr_workitem_id 0
		.amdhsa_next_free_vgpr 12
		.amdhsa_next_free_sgpr 28
		.amdhsa_accum_offset 12
		.amdhsa_reserve_vcc 1
		.amdhsa_reserve_flat_scratch 0
		.amdhsa_float_round_mode_32 0
		.amdhsa_float_round_mode_16_64 0
		.amdhsa_float_denorm_mode_32 3
		.amdhsa_float_denorm_mode_16_64 3
		.amdhsa_dx10_clamp 1
		.amdhsa_ieee_mode 1
		.amdhsa_fp16_overflow 0
		.amdhsa_tg_split 0
		.amdhsa_exception_fp_ieee_invalid_op 0
		.amdhsa_exception_fp_denorm_src 0
		.amdhsa_exception_fp_ieee_div_zero 0
		.amdhsa_exception_fp_ieee_overflow 0
		.amdhsa_exception_fp_ieee_underflow 0
		.amdhsa_exception_fp_ieee_inexact 0
		.amdhsa_exception_int_div_zero 0
	.end_amdhsa_kernel
	.section	.text._ZN7rocprim17ROCPRIM_400000_NS6detail17trampoline_kernelINS0_14default_configENS1_22reduce_config_selectorIN6thrust23THRUST_200600_302600_NS5tupleIblNS6_9null_typeES8_S8_S8_S8_S8_S8_S8_EEEEZNS1_11reduce_implILb1ES3_NS6_12zip_iteratorINS7_INS6_11hip_rocprim26transform_input_iterator_tIbNSD_35transform_pair_of_input_iterators_tIbNS6_6detail15normal_iteratorINS6_10device_ptrIKtEEEESL_NS6_8equal_toItEEEENSG_9not_fun_tINSD_8identityEEEEENSD_19counting_iterator_tIlEES8_S8_S8_S8_S8_S8_S8_S8_EEEEPS9_S9_NSD_9__find_if7functorIS9_EEEE10hipError_tPvRmT1_T2_T3_mT4_P12ihipStream_tbEUlT_E0_NS1_11comp_targetILNS1_3genE4ELNS1_11target_archE910ELNS1_3gpuE8ELNS1_3repE0EEENS1_30default_config_static_selectorELNS0_4arch9wavefront6targetE1EEEvS14_,"axG",@progbits,_ZN7rocprim17ROCPRIM_400000_NS6detail17trampoline_kernelINS0_14default_configENS1_22reduce_config_selectorIN6thrust23THRUST_200600_302600_NS5tupleIblNS6_9null_typeES8_S8_S8_S8_S8_S8_S8_EEEEZNS1_11reduce_implILb1ES3_NS6_12zip_iteratorINS7_INS6_11hip_rocprim26transform_input_iterator_tIbNSD_35transform_pair_of_input_iterators_tIbNS6_6detail15normal_iteratorINS6_10device_ptrIKtEEEESL_NS6_8equal_toItEEEENSG_9not_fun_tINSD_8identityEEEEENSD_19counting_iterator_tIlEES8_S8_S8_S8_S8_S8_S8_S8_EEEEPS9_S9_NSD_9__find_if7functorIS9_EEEE10hipError_tPvRmT1_T2_T3_mT4_P12ihipStream_tbEUlT_E0_NS1_11comp_targetILNS1_3genE4ELNS1_11target_archE910ELNS1_3gpuE8ELNS1_3repE0EEENS1_30default_config_static_selectorELNS0_4arch9wavefront6targetE1EEEvS14_,comdat
.Lfunc_end190:
	.size	_ZN7rocprim17ROCPRIM_400000_NS6detail17trampoline_kernelINS0_14default_configENS1_22reduce_config_selectorIN6thrust23THRUST_200600_302600_NS5tupleIblNS6_9null_typeES8_S8_S8_S8_S8_S8_S8_EEEEZNS1_11reduce_implILb1ES3_NS6_12zip_iteratorINS7_INS6_11hip_rocprim26transform_input_iterator_tIbNSD_35transform_pair_of_input_iterators_tIbNS6_6detail15normal_iteratorINS6_10device_ptrIKtEEEESL_NS6_8equal_toItEEEENSG_9not_fun_tINSD_8identityEEEEENSD_19counting_iterator_tIlEES8_S8_S8_S8_S8_S8_S8_S8_EEEEPS9_S9_NSD_9__find_if7functorIS9_EEEE10hipError_tPvRmT1_T2_T3_mT4_P12ihipStream_tbEUlT_E0_NS1_11comp_targetILNS1_3genE4ELNS1_11target_archE910ELNS1_3gpuE8ELNS1_3repE0EEENS1_30default_config_static_selectorELNS0_4arch9wavefront6targetE1EEEvS14_, .Lfunc_end190-_ZN7rocprim17ROCPRIM_400000_NS6detail17trampoline_kernelINS0_14default_configENS1_22reduce_config_selectorIN6thrust23THRUST_200600_302600_NS5tupleIblNS6_9null_typeES8_S8_S8_S8_S8_S8_S8_EEEEZNS1_11reduce_implILb1ES3_NS6_12zip_iteratorINS7_INS6_11hip_rocprim26transform_input_iterator_tIbNSD_35transform_pair_of_input_iterators_tIbNS6_6detail15normal_iteratorINS6_10device_ptrIKtEEEESL_NS6_8equal_toItEEEENSG_9not_fun_tINSD_8identityEEEEENSD_19counting_iterator_tIlEES8_S8_S8_S8_S8_S8_S8_S8_EEEEPS9_S9_NSD_9__find_if7functorIS9_EEEE10hipError_tPvRmT1_T2_T3_mT4_P12ihipStream_tbEUlT_E0_NS1_11comp_targetILNS1_3genE4ELNS1_11target_archE910ELNS1_3gpuE8ELNS1_3repE0EEENS1_30default_config_static_selectorELNS0_4arch9wavefront6targetE1EEEvS14_
                                        ; -- End function
	.section	.AMDGPU.csdata,"",@progbits
; Kernel info:
; codeLenInByte = 2844
; NumSgprs: 32
; NumVgprs: 12
; NumAgprs: 0
; TotalNumVgprs: 12
; ScratchSize: 0
; MemoryBound: 0
; FloatMode: 240
; IeeeMode: 1
; LDSByteSize: 128 bytes/workgroup (compile time only)
; SGPRBlocks: 3
; VGPRBlocks: 1
; NumSGPRsForWavesPerEU: 32
; NumVGPRsForWavesPerEU: 12
; AccumOffset: 12
; Occupancy: 8
; WaveLimiterHint : 0
; COMPUTE_PGM_RSRC2:SCRATCH_EN: 0
; COMPUTE_PGM_RSRC2:USER_SGPR: 6
; COMPUTE_PGM_RSRC2:TRAP_HANDLER: 0
; COMPUTE_PGM_RSRC2:TGID_X_EN: 1
; COMPUTE_PGM_RSRC2:TGID_Y_EN: 0
; COMPUTE_PGM_RSRC2:TGID_Z_EN: 0
; COMPUTE_PGM_RSRC2:TIDIG_COMP_CNT: 0
; COMPUTE_PGM_RSRC3_GFX90A:ACCUM_OFFSET: 2
; COMPUTE_PGM_RSRC3_GFX90A:TG_SPLIT: 0
	.section	.text._ZN7rocprim17ROCPRIM_400000_NS6detail17trampoline_kernelINS0_14default_configENS1_22reduce_config_selectorIN6thrust23THRUST_200600_302600_NS5tupleIblNS6_9null_typeES8_S8_S8_S8_S8_S8_S8_EEEEZNS1_11reduce_implILb1ES3_NS6_12zip_iteratorINS7_INS6_11hip_rocprim26transform_input_iterator_tIbNSD_35transform_pair_of_input_iterators_tIbNS6_6detail15normal_iteratorINS6_10device_ptrIKtEEEESL_NS6_8equal_toItEEEENSG_9not_fun_tINSD_8identityEEEEENSD_19counting_iterator_tIlEES8_S8_S8_S8_S8_S8_S8_S8_EEEEPS9_S9_NSD_9__find_if7functorIS9_EEEE10hipError_tPvRmT1_T2_T3_mT4_P12ihipStream_tbEUlT_E0_NS1_11comp_targetILNS1_3genE3ELNS1_11target_archE908ELNS1_3gpuE7ELNS1_3repE0EEENS1_30default_config_static_selectorELNS0_4arch9wavefront6targetE1EEEvS14_,"axG",@progbits,_ZN7rocprim17ROCPRIM_400000_NS6detail17trampoline_kernelINS0_14default_configENS1_22reduce_config_selectorIN6thrust23THRUST_200600_302600_NS5tupleIblNS6_9null_typeES8_S8_S8_S8_S8_S8_S8_EEEEZNS1_11reduce_implILb1ES3_NS6_12zip_iteratorINS7_INS6_11hip_rocprim26transform_input_iterator_tIbNSD_35transform_pair_of_input_iterators_tIbNS6_6detail15normal_iteratorINS6_10device_ptrIKtEEEESL_NS6_8equal_toItEEEENSG_9not_fun_tINSD_8identityEEEEENSD_19counting_iterator_tIlEES8_S8_S8_S8_S8_S8_S8_S8_EEEEPS9_S9_NSD_9__find_if7functorIS9_EEEE10hipError_tPvRmT1_T2_T3_mT4_P12ihipStream_tbEUlT_E0_NS1_11comp_targetILNS1_3genE3ELNS1_11target_archE908ELNS1_3gpuE7ELNS1_3repE0EEENS1_30default_config_static_selectorELNS0_4arch9wavefront6targetE1EEEvS14_,comdat
	.protected	_ZN7rocprim17ROCPRIM_400000_NS6detail17trampoline_kernelINS0_14default_configENS1_22reduce_config_selectorIN6thrust23THRUST_200600_302600_NS5tupleIblNS6_9null_typeES8_S8_S8_S8_S8_S8_S8_EEEEZNS1_11reduce_implILb1ES3_NS6_12zip_iteratorINS7_INS6_11hip_rocprim26transform_input_iterator_tIbNSD_35transform_pair_of_input_iterators_tIbNS6_6detail15normal_iteratorINS6_10device_ptrIKtEEEESL_NS6_8equal_toItEEEENSG_9not_fun_tINSD_8identityEEEEENSD_19counting_iterator_tIlEES8_S8_S8_S8_S8_S8_S8_S8_EEEEPS9_S9_NSD_9__find_if7functorIS9_EEEE10hipError_tPvRmT1_T2_T3_mT4_P12ihipStream_tbEUlT_E0_NS1_11comp_targetILNS1_3genE3ELNS1_11target_archE908ELNS1_3gpuE7ELNS1_3repE0EEENS1_30default_config_static_selectorELNS0_4arch9wavefront6targetE1EEEvS14_ ; -- Begin function _ZN7rocprim17ROCPRIM_400000_NS6detail17trampoline_kernelINS0_14default_configENS1_22reduce_config_selectorIN6thrust23THRUST_200600_302600_NS5tupleIblNS6_9null_typeES8_S8_S8_S8_S8_S8_S8_EEEEZNS1_11reduce_implILb1ES3_NS6_12zip_iteratorINS7_INS6_11hip_rocprim26transform_input_iterator_tIbNSD_35transform_pair_of_input_iterators_tIbNS6_6detail15normal_iteratorINS6_10device_ptrIKtEEEESL_NS6_8equal_toItEEEENSG_9not_fun_tINSD_8identityEEEEENSD_19counting_iterator_tIlEES8_S8_S8_S8_S8_S8_S8_S8_EEEEPS9_S9_NSD_9__find_if7functorIS9_EEEE10hipError_tPvRmT1_T2_T3_mT4_P12ihipStream_tbEUlT_E0_NS1_11comp_targetILNS1_3genE3ELNS1_11target_archE908ELNS1_3gpuE7ELNS1_3repE0EEENS1_30default_config_static_selectorELNS0_4arch9wavefront6targetE1EEEvS14_
	.globl	_ZN7rocprim17ROCPRIM_400000_NS6detail17trampoline_kernelINS0_14default_configENS1_22reduce_config_selectorIN6thrust23THRUST_200600_302600_NS5tupleIblNS6_9null_typeES8_S8_S8_S8_S8_S8_S8_EEEEZNS1_11reduce_implILb1ES3_NS6_12zip_iteratorINS7_INS6_11hip_rocprim26transform_input_iterator_tIbNSD_35transform_pair_of_input_iterators_tIbNS6_6detail15normal_iteratorINS6_10device_ptrIKtEEEESL_NS6_8equal_toItEEEENSG_9not_fun_tINSD_8identityEEEEENSD_19counting_iterator_tIlEES8_S8_S8_S8_S8_S8_S8_S8_EEEEPS9_S9_NSD_9__find_if7functorIS9_EEEE10hipError_tPvRmT1_T2_T3_mT4_P12ihipStream_tbEUlT_E0_NS1_11comp_targetILNS1_3genE3ELNS1_11target_archE908ELNS1_3gpuE7ELNS1_3repE0EEENS1_30default_config_static_selectorELNS0_4arch9wavefront6targetE1EEEvS14_
	.p2align	8
	.type	_ZN7rocprim17ROCPRIM_400000_NS6detail17trampoline_kernelINS0_14default_configENS1_22reduce_config_selectorIN6thrust23THRUST_200600_302600_NS5tupleIblNS6_9null_typeES8_S8_S8_S8_S8_S8_S8_EEEEZNS1_11reduce_implILb1ES3_NS6_12zip_iteratorINS7_INS6_11hip_rocprim26transform_input_iterator_tIbNSD_35transform_pair_of_input_iterators_tIbNS6_6detail15normal_iteratorINS6_10device_ptrIKtEEEESL_NS6_8equal_toItEEEENSG_9not_fun_tINSD_8identityEEEEENSD_19counting_iterator_tIlEES8_S8_S8_S8_S8_S8_S8_S8_EEEEPS9_S9_NSD_9__find_if7functorIS9_EEEE10hipError_tPvRmT1_T2_T3_mT4_P12ihipStream_tbEUlT_E0_NS1_11comp_targetILNS1_3genE3ELNS1_11target_archE908ELNS1_3gpuE7ELNS1_3repE0EEENS1_30default_config_static_selectorELNS0_4arch9wavefront6targetE1EEEvS14_,@function
_ZN7rocprim17ROCPRIM_400000_NS6detail17trampoline_kernelINS0_14default_configENS1_22reduce_config_selectorIN6thrust23THRUST_200600_302600_NS5tupleIblNS6_9null_typeES8_S8_S8_S8_S8_S8_S8_EEEEZNS1_11reduce_implILb1ES3_NS6_12zip_iteratorINS7_INS6_11hip_rocprim26transform_input_iterator_tIbNSD_35transform_pair_of_input_iterators_tIbNS6_6detail15normal_iteratorINS6_10device_ptrIKtEEEESL_NS6_8equal_toItEEEENSG_9not_fun_tINSD_8identityEEEEENSD_19counting_iterator_tIlEES8_S8_S8_S8_S8_S8_S8_S8_EEEEPS9_S9_NSD_9__find_if7functorIS9_EEEE10hipError_tPvRmT1_T2_T3_mT4_P12ihipStream_tbEUlT_E0_NS1_11comp_targetILNS1_3genE3ELNS1_11target_archE908ELNS1_3gpuE7ELNS1_3repE0EEENS1_30default_config_static_selectorELNS0_4arch9wavefront6targetE1EEEvS14_: ; @_ZN7rocprim17ROCPRIM_400000_NS6detail17trampoline_kernelINS0_14default_configENS1_22reduce_config_selectorIN6thrust23THRUST_200600_302600_NS5tupleIblNS6_9null_typeES8_S8_S8_S8_S8_S8_S8_EEEEZNS1_11reduce_implILb1ES3_NS6_12zip_iteratorINS7_INS6_11hip_rocprim26transform_input_iterator_tIbNSD_35transform_pair_of_input_iterators_tIbNS6_6detail15normal_iteratorINS6_10device_ptrIKtEEEESL_NS6_8equal_toItEEEENSG_9not_fun_tINSD_8identityEEEEENSD_19counting_iterator_tIlEES8_S8_S8_S8_S8_S8_S8_S8_EEEEPS9_S9_NSD_9__find_if7functorIS9_EEEE10hipError_tPvRmT1_T2_T3_mT4_P12ihipStream_tbEUlT_E0_NS1_11comp_targetILNS1_3genE3ELNS1_11target_archE908ELNS1_3gpuE7ELNS1_3repE0EEENS1_30default_config_static_selectorELNS0_4arch9wavefront6targetE1EEEvS14_
; %bb.0:
	.section	.rodata,"a",@progbits
	.p2align	6, 0x0
	.amdhsa_kernel _ZN7rocprim17ROCPRIM_400000_NS6detail17trampoline_kernelINS0_14default_configENS1_22reduce_config_selectorIN6thrust23THRUST_200600_302600_NS5tupleIblNS6_9null_typeES8_S8_S8_S8_S8_S8_S8_EEEEZNS1_11reduce_implILb1ES3_NS6_12zip_iteratorINS7_INS6_11hip_rocprim26transform_input_iterator_tIbNSD_35transform_pair_of_input_iterators_tIbNS6_6detail15normal_iteratorINS6_10device_ptrIKtEEEESL_NS6_8equal_toItEEEENSG_9not_fun_tINSD_8identityEEEEENSD_19counting_iterator_tIlEES8_S8_S8_S8_S8_S8_S8_S8_EEEEPS9_S9_NSD_9__find_if7functorIS9_EEEE10hipError_tPvRmT1_T2_T3_mT4_P12ihipStream_tbEUlT_E0_NS1_11comp_targetILNS1_3genE3ELNS1_11target_archE908ELNS1_3gpuE7ELNS1_3repE0EEENS1_30default_config_static_selectorELNS0_4arch9wavefront6targetE1EEEvS14_
		.amdhsa_group_segment_fixed_size 0
		.amdhsa_private_segment_fixed_size 0
		.amdhsa_kernarg_size 104
		.amdhsa_user_sgpr_count 6
		.amdhsa_user_sgpr_private_segment_buffer 1
		.amdhsa_user_sgpr_dispatch_ptr 0
		.amdhsa_user_sgpr_queue_ptr 0
		.amdhsa_user_sgpr_kernarg_segment_ptr 1
		.amdhsa_user_sgpr_dispatch_id 0
		.amdhsa_user_sgpr_flat_scratch_init 0
		.amdhsa_user_sgpr_kernarg_preload_length 0
		.amdhsa_user_sgpr_kernarg_preload_offset 0
		.amdhsa_user_sgpr_private_segment_size 0
		.amdhsa_uses_dynamic_stack 0
		.amdhsa_system_sgpr_private_segment_wavefront_offset 0
		.amdhsa_system_sgpr_workgroup_id_x 1
		.amdhsa_system_sgpr_workgroup_id_y 0
		.amdhsa_system_sgpr_workgroup_id_z 0
		.amdhsa_system_sgpr_workgroup_info 0
		.amdhsa_system_vgpr_workitem_id 0
		.amdhsa_next_free_vgpr 1
		.amdhsa_next_free_sgpr 0
		.amdhsa_accum_offset 4
		.amdhsa_reserve_vcc 0
		.amdhsa_reserve_flat_scratch 0
		.amdhsa_float_round_mode_32 0
		.amdhsa_float_round_mode_16_64 0
		.amdhsa_float_denorm_mode_32 3
		.amdhsa_float_denorm_mode_16_64 3
		.amdhsa_dx10_clamp 1
		.amdhsa_ieee_mode 1
		.amdhsa_fp16_overflow 0
		.amdhsa_tg_split 0
		.amdhsa_exception_fp_ieee_invalid_op 0
		.amdhsa_exception_fp_denorm_src 0
		.amdhsa_exception_fp_ieee_div_zero 0
		.amdhsa_exception_fp_ieee_overflow 0
		.amdhsa_exception_fp_ieee_underflow 0
		.amdhsa_exception_fp_ieee_inexact 0
		.amdhsa_exception_int_div_zero 0
	.end_amdhsa_kernel
	.section	.text._ZN7rocprim17ROCPRIM_400000_NS6detail17trampoline_kernelINS0_14default_configENS1_22reduce_config_selectorIN6thrust23THRUST_200600_302600_NS5tupleIblNS6_9null_typeES8_S8_S8_S8_S8_S8_S8_EEEEZNS1_11reduce_implILb1ES3_NS6_12zip_iteratorINS7_INS6_11hip_rocprim26transform_input_iterator_tIbNSD_35transform_pair_of_input_iterators_tIbNS6_6detail15normal_iteratorINS6_10device_ptrIKtEEEESL_NS6_8equal_toItEEEENSG_9not_fun_tINSD_8identityEEEEENSD_19counting_iterator_tIlEES8_S8_S8_S8_S8_S8_S8_S8_EEEEPS9_S9_NSD_9__find_if7functorIS9_EEEE10hipError_tPvRmT1_T2_T3_mT4_P12ihipStream_tbEUlT_E0_NS1_11comp_targetILNS1_3genE3ELNS1_11target_archE908ELNS1_3gpuE7ELNS1_3repE0EEENS1_30default_config_static_selectorELNS0_4arch9wavefront6targetE1EEEvS14_,"axG",@progbits,_ZN7rocprim17ROCPRIM_400000_NS6detail17trampoline_kernelINS0_14default_configENS1_22reduce_config_selectorIN6thrust23THRUST_200600_302600_NS5tupleIblNS6_9null_typeES8_S8_S8_S8_S8_S8_S8_EEEEZNS1_11reduce_implILb1ES3_NS6_12zip_iteratorINS7_INS6_11hip_rocprim26transform_input_iterator_tIbNSD_35transform_pair_of_input_iterators_tIbNS6_6detail15normal_iteratorINS6_10device_ptrIKtEEEESL_NS6_8equal_toItEEEENSG_9not_fun_tINSD_8identityEEEEENSD_19counting_iterator_tIlEES8_S8_S8_S8_S8_S8_S8_S8_EEEEPS9_S9_NSD_9__find_if7functorIS9_EEEE10hipError_tPvRmT1_T2_T3_mT4_P12ihipStream_tbEUlT_E0_NS1_11comp_targetILNS1_3genE3ELNS1_11target_archE908ELNS1_3gpuE7ELNS1_3repE0EEENS1_30default_config_static_selectorELNS0_4arch9wavefront6targetE1EEEvS14_,comdat
.Lfunc_end191:
	.size	_ZN7rocprim17ROCPRIM_400000_NS6detail17trampoline_kernelINS0_14default_configENS1_22reduce_config_selectorIN6thrust23THRUST_200600_302600_NS5tupleIblNS6_9null_typeES8_S8_S8_S8_S8_S8_S8_EEEEZNS1_11reduce_implILb1ES3_NS6_12zip_iteratorINS7_INS6_11hip_rocprim26transform_input_iterator_tIbNSD_35transform_pair_of_input_iterators_tIbNS6_6detail15normal_iteratorINS6_10device_ptrIKtEEEESL_NS6_8equal_toItEEEENSG_9not_fun_tINSD_8identityEEEEENSD_19counting_iterator_tIlEES8_S8_S8_S8_S8_S8_S8_S8_EEEEPS9_S9_NSD_9__find_if7functorIS9_EEEE10hipError_tPvRmT1_T2_T3_mT4_P12ihipStream_tbEUlT_E0_NS1_11comp_targetILNS1_3genE3ELNS1_11target_archE908ELNS1_3gpuE7ELNS1_3repE0EEENS1_30default_config_static_selectorELNS0_4arch9wavefront6targetE1EEEvS14_, .Lfunc_end191-_ZN7rocprim17ROCPRIM_400000_NS6detail17trampoline_kernelINS0_14default_configENS1_22reduce_config_selectorIN6thrust23THRUST_200600_302600_NS5tupleIblNS6_9null_typeES8_S8_S8_S8_S8_S8_S8_EEEEZNS1_11reduce_implILb1ES3_NS6_12zip_iteratorINS7_INS6_11hip_rocprim26transform_input_iterator_tIbNSD_35transform_pair_of_input_iterators_tIbNS6_6detail15normal_iteratorINS6_10device_ptrIKtEEEESL_NS6_8equal_toItEEEENSG_9not_fun_tINSD_8identityEEEEENSD_19counting_iterator_tIlEES8_S8_S8_S8_S8_S8_S8_S8_EEEEPS9_S9_NSD_9__find_if7functorIS9_EEEE10hipError_tPvRmT1_T2_T3_mT4_P12ihipStream_tbEUlT_E0_NS1_11comp_targetILNS1_3genE3ELNS1_11target_archE908ELNS1_3gpuE7ELNS1_3repE0EEENS1_30default_config_static_selectorELNS0_4arch9wavefront6targetE1EEEvS14_
                                        ; -- End function
	.section	.AMDGPU.csdata,"",@progbits
; Kernel info:
; codeLenInByte = 0
; NumSgprs: 4
; NumVgprs: 0
; NumAgprs: 0
; TotalNumVgprs: 0
; ScratchSize: 0
; MemoryBound: 0
; FloatMode: 240
; IeeeMode: 1
; LDSByteSize: 0 bytes/workgroup (compile time only)
; SGPRBlocks: 0
; VGPRBlocks: 0
; NumSGPRsForWavesPerEU: 4
; NumVGPRsForWavesPerEU: 1
; AccumOffset: 4
; Occupancy: 8
; WaveLimiterHint : 0
; COMPUTE_PGM_RSRC2:SCRATCH_EN: 0
; COMPUTE_PGM_RSRC2:USER_SGPR: 6
; COMPUTE_PGM_RSRC2:TRAP_HANDLER: 0
; COMPUTE_PGM_RSRC2:TGID_X_EN: 1
; COMPUTE_PGM_RSRC2:TGID_Y_EN: 0
; COMPUTE_PGM_RSRC2:TGID_Z_EN: 0
; COMPUTE_PGM_RSRC2:TIDIG_COMP_CNT: 0
; COMPUTE_PGM_RSRC3_GFX90A:ACCUM_OFFSET: 0
; COMPUTE_PGM_RSRC3_GFX90A:TG_SPLIT: 0
	.section	.text._ZN7rocprim17ROCPRIM_400000_NS6detail17trampoline_kernelINS0_14default_configENS1_22reduce_config_selectorIN6thrust23THRUST_200600_302600_NS5tupleIblNS6_9null_typeES8_S8_S8_S8_S8_S8_S8_EEEEZNS1_11reduce_implILb1ES3_NS6_12zip_iteratorINS7_INS6_11hip_rocprim26transform_input_iterator_tIbNSD_35transform_pair_of_input_iterators_tIbNS6_6detail15normal_iteratorINS6_10device_ptrIKtEEEESL_NS6_8equal_toItEEEENSG_9not_fun_tINSD_8identityEEEEENSD_19counting_iterator_tIlEES8_S8_S8_S8_S8_S8_S8_S8_EEEEPS9_S9_NSD_9__find_if7functorIS9_EEEE10hipError_tPvRmT1_T2_T3_mT4_P12ihipStream_tbEUlT_E0_NS1_11comp_targetILNS1_3genE2ELNS1_11target_archE906ELNS1_3gpuE6ELNS1_3repE0EEENS1_30default_config_static_selectorELNS0_4arch9wavefront6targetE1EEEvS14_,"axG",@progbits,_ZN7rocprim17ROCPRIM_400000_NS6detail17trampoline_kernelINS0_14default_configENS1_22reduce_config_selectorIN6thrust23THRUST_200600_302600_NS5tupleIblNS6_9null_typeES8_S8_S8_S8_S8_S8_S8_EEEEZNS1_11reduce_implILb1ES3_NS6_12zip_iteratorINS7_INS6_11hip_rocprim26transform_input_iterator_tIbNSD_35transform_pair_of_input_iterators_tIbNS6_6detail15normal_iteratorINS6_10device_ptrIKtEEEESL_NS6_8equal_toItEEEENSG_9not_fun_tINSD_8identityEEEEENSD_19counting_iterator_tIlEES8_S8_S8_S8_S8_S8_S8_S8_EEEEPS9_S9_NSD_9__find_if7functorIS9_EEEE10hipError_tPvRmT1_T2_T3_mT4_P12ihipStream_tbEUlT_E0_NS1_11comp_targetILNS1_3genE2ELNS1_11target_archE906ELNS1_3gpuE6ELNS1_3repE0EEENS1_30default_config_static_selectorELNS0_4arch9wavefront6targetE1EEEvS14_,comdat
	.protected	_ZN7rocprim17ROCPRIM_400000_NS6detail17trampoline_kernelINS0_14default_configENS1_22reduce_config_selectorIN6thrust23THRUST_200600_302600_NS5tupleIblNS6_9null_typeES8_S8_S8_S8_S8_S8_S8_EEEEZNS1_11reduce_implILb1ES3_NS6_12zip_iteratorINS7_INS6_11hip_rocprim26transform_input_iterator_tIbNSD_35transform_pair_of_input_iterators_tIbNS6_6detail15normal_iteratorINS6_10device_ptrIKtEEEESL_NS6_8equal_toItEEEENSG_9not_fun_tINSD_8identityEEEEENSD_19counting_iterator_tIlEES8_S8_S8_S8_S8_S8_S8_S8_EEEEPS9_S9_NSD_9__find_if7functorIS9_EEEE10hipError_tPvRmT1_T2_T3_mT4_P12ihipStream_tbEUlT_E0_NS1_11comp_targetILNS1_3genE2ELNS1_11target_archE906ELNS1_3gpuE6ELNS1_3repE0EEENS1_30default_config_static_selectorELNS0_4arch9wavefront6targetE1EEEvS14_ ; -- Begin function _ZN7rocprim17ROCPRIM_400000_NS6detail17trampoline_kernelINS0_14default_configENS1_22reduce_config_selectorIN6thrust23THRUST_200600_302600_NS5tupleIblNS6_9null_typeES8_S8_S8_S8_S8_S8_S8_EEEEZNS1_11reduce_implILb1ES3_NS6_12zip_iteratorINS7_INS6_11hip_rocprim26transform_input_iterator_tIbNSD_35transform_pair_of_input_iterators_tIbNS6_6detail15normal_iteratorINS6_10device_ptrIKtEEEESL_NS6_8equal_toItEEEENSG_9not_fun_tINSD_8identityEEEEENSD_19counting_iterator_tIlEES8_S8_S8_S8_S8_S8_S8_S8_EEEEPS9_S9_NSD_9__find_if7functorIS9_EEEE10hipError_tPvRmT1_T2_T3_mT4_P12ihipStream_tbEUlT_E0_NS1_11comp_targetILNS1_3genE2ELNS1_11target_archE906ELNS1_3gpuE6ELNS1_3repE0EEENS1_30default_config_static_selectorELNS0_4arch9wavefront6targetE1EEEvS14_
	.globl	_ZN7rocprim17ROCPRIM_400000_NS6detail17trampoline_kernelINS0_14default_configENS1_22reduce_config_selectorIN6thrust23THRUST_200600_302600_NS5tupleIblNS6_9null_typeES8_S8_S8_S8_S8_S8_S8_EEEEZNS1_11reduce_implILb1ES3_NS6_12zip_iteratorINS7_INS6_11hip_rocprim26transform_input_iterator_tIbNSD_35transform_pair_of_input_iterators_tIbNS6_6detail15normal_iteratorINS6_10device_ptrIKtEEEESL_NS6_8equal_toItEEEENSG_9not_fun_tINSD_8identityEEEEENSD_19counting_iterator_tIlEES8_S8_S8_S8_S8_S8_S8_S8_EEEEPS9_S9_NSD_9__find_if7functorIS9_EEEE10hipError_tPvRmT1_T2_T3_mT4_P12ihipStream_tbEUlT_E0_NS1_11comp_targetILNS1_3genE2ELNS1_11target_archE906ELNS1_3gpuE6ELNS1_3repE0EEENS1_30default_config_static_selectorELNS0_4arch9wavefront6targetE1EEEvS14_
	.p2align	8
	.type	_ZN7rocprim17ROCPRIM_400000_NS6detail17trampoline_kernelINS0_14default_configENS1_22reduce_config_selectorIN6thrust23THRUST_200600_302600_NS5tupleIblNS6_9null_typeES8_S8_S8_S8_S8_S8_S8_EEEEZNS1_11reduce_implILb1ES3_NS6_12zip_iteratorINS7_INS6_11hip_rocprim26transform_input_iterator_tIbNSD_35transform_pair_of_input_iterators_tIbNS6_6detail15normal_iteratorINS6_10device_ptrIKtEEEESL_NS6_8equal_toItEEEENSG_9not_fun_tINSD_8identityEEEEENSD_19counting_iterator_tIlEES8_S8_S8_S8_S8_S8_S8_S8_EEEEPS9_S9_NSD_9__find_if7functorIS9_EEEE10hipError_tPvRmT1_T2_T3_mT4_P12ihipStream_tbEUlT_E0_NS1_11comp_targetILNS1_3genE2ELNS1_11target_archE906ELNS1_3gpuE6ELNS1_3repE0EEENS1_30default_config_static_selectorELNS0_4arch9wavefront6targetE1EEEvS14_,@function
_ZN7rocprim17ROCPRIM_400000_NS6detail17trampoline_kernelINS0_14default_configENS1_22reduce_config_selectorIN6thrust23THRUST_200600_302600_NS5tupleIblNS6_9null_typeES8_S8_S8_S8_S8_S8_S8_EEEEZNS1_11reduce_implILb1ES3_NS6_12zip_iteratorINS7_INS6_11hip_rocprim26transform_input_iterator_tIbNSD_35transform_pair_of_input_iterators_tIbNS6_6detail15normal_iteratorINS6_10device_ptrIKtEEEESL_NS6_8equal_toItEEEENSG_9not_fun_tINSD_8identityEEEEENSD_19counting_iterator_tIlEES8_S8_S8_S8_S8_S8_S8_S8_EEEEPS9_S9_NSD_9__find_if7functorIS9_EEEE10hipError_tPvRmT1_T2_T3_mT4_P12ihipStream_tbEUlT_E0_NS1_11comp_targetILNS1_3genE2ELNS1_11target_archE906ELNS1_3gpuE6ELNS1_3repE0EEENS1_30default_config_static_selectorELNS0_4arch9wavefront6targetE1EEEvS14_: ; @_ZN7rocprim17ROCPRIM_400000_NS6detail17trampoline_kernelINS0_14default_configENS1_22reduce_config_selectorIN6thrust23THRUST_200600_302600_NS5tupleIblNS6_9null_typeES8_S8_S8_S8_S8_S8_S8_EEEEZNS1_11reduce_implILb1ES3_NS6_12zip_iteratorINS7_INS6_11hip_rocprim26transform_input_iterator_tIbNSD_35transform_pair_of_input_iterators_tIbNS6_6detail15normal_iteratorINS6_10device_ptrIKtEEEESL_NS6_8equal_toItEEEENSG_9not_fun_tINSD_8identityEEEEENSD_19counting_iterator_tIlEES8_S8_S8_S8_S8_S8_S8_S8_EEEEPS9_S9_NSD_9__find_if7functorIS9_EEEE10hipError_tPvRmT1_T2_T3_mT4_P12ihipStream_tbEUlT_E0_NS1_11comp_targetILNS1_3genE2ELNS1_11target_archE906ELNS1_3gpuE6ELNS1_3repE0EEENS1_30default_config_static_selectorELNS0_4arch9wavefront6targetE1EEEvS14_
; %bb.0:
	.section	.rodata,"a",@progbits
	.p2align	6, 0x0
	.amdhsa_kernel _ZN7rocprim17ROCPRIM_400000_NS6detail17trampoline_kernelINS0_14default_configENS1_22reduce_config_selectorIN6thrust23THRUST_200600_302600_NS5tupleIblNS6_9null_typeES8_S8_S8_S8_S8_S8_S8_EEEEZNS1_11reduce_implILb1ES3_NS6_12zip_iteratorINS7_INS6_11hip_rocprim26transform_input_iterator_tIbNSD_35transform_pair_of_input_iterators_tIbNS6_6detail15normal_iteratorINS6_10device_ptrIKtEEEESL_NS6_8equal_toItEEEENSG_9not_fun_tINSD_8identityEEEEENSD_19counting_iterator_tIlEES8_S8_S8_S8_S8_S8_S8_S8_EEEEPS9_S9_NSD_9__find_if7functorIS9_EEEE10hipError_tPvRmT1_T2_T3_mT4_P12ihipStream_tbEUlT_E0_NS1_11comp_targetILNS1_3genE2ELNS1_11target_archE906ELNS1_3gpuE6ELNS1_3repE0EEENS1_30default_config_static_selectorELNS0_4arch9wavefront6targetE1EEEvS14_
		.amdhsa_group_segment_fixed_size 0
		.amdhsa_private_segment_fixed_size 0
		.amdhsa_kernarg_size 104
		.amdhsa_user_sgpr_count 6
		.amdhsa_user_sgpr_private_segment_buffer 1
		.amdhsa_user_sgpr_dispatch_ptr 0
		.amdhsa_user_sgpr_queue_ptr 0
		.amdhsa_user_sgpr_kernarg_segment_ptr 1
		.amdhsa_user_sgpr_dispatch_id 0
		.amdhsa_user_sgpr_flat_scratch_init 0
		.amdhsa_user_sgpr_kernarg_preload_length 0
		.amdhsa_user_sgpr_kernarg_preload_offset 0
		.amdhsa_user_sgpr_private_segment_size 0
		.amdhsa_uses_dynamic_stack 0
		.amdhsa_system_sgpr_private_segment_wavefront_offset 0
		.amdhsa_system_sgpr_workgroup_id_x 1
		.amdhsa_system_sgpr_workgroup_id_y 0
		.amdhsa_system_sgpr_workgroup_id_z 0
		.amdhsa_system_sgpr_workgroup_info 0
		.amdhsa_system_vgpr_workitem_id 0
		.amdhsa_next_free_vgpr 1
		.amdhsa_next_free_sgpr 0
		.amdhsa_accum_offset 4
		.amdhsa_reserve_vcc 0
		.amdhsa_reserve_flat_scratch 0
		.amdhsa_float_round_mode_32 0
		.amdhsa_float_round_mode_16_64 0
		.amdhsa_float_denorm_mode_32 3
		.amdhsa_float_denorm_mode_16_64 3
		.amdhsa_dx10_clamp 1
		.amdhsa_ieee_mode 1
		.amdhsa_fp16_overflow 0
		.amdhsa_tg_split 0
		.amdhsa_exception_fp_ieee_invalid_op 0
		.amdhsa_exception_fp_denorm_src 0
		.amdhsa_exception_fp_ieee_div_zero 0
		.amdhsa_exception_fp_ieee_overflow 0
		.amdhsa_exception_fp_ieee_underflow 0
		.amdhsa_exception_fp_ieee_inexact 0
		.amdhsa_exception_int_div_zero 0
	.end_amdhsa_kernel
	.section	.text._ZN7rocprim17ROCPRIM_400000_NS6detail17trampoline_kernelINS0_14default_configENS1_22reduce_config_selectorIN6thrust23THRUST_200600_302600_NS5tupleIblNS6_9null_typeES8_S8_S8_S8_S8_S8_S8_EEEEZNS1_11reduce_implILb1ES3_NS6_12zip_iteratorINS7_INS6_11hip_rocprim26transform_input_iterator_tIbNSD_35transform_pair_of_input_iterators_tIbNS6_6detail15normal_iteratorINS6_10device_ptrIKtEEEESL_NS6_8equal_toItEEEENSG_9not_fun_tINSD_8identityEEEEENSD_19counting_iterator_tIlEES8_S8_S8_S8_S8_S8_S8_S8_EEEEPS9_S9_NSD_9__find_if7functorIS9_EEEE10hipError_tPvRmT1_T2_T3_mT4_P12ihipStream_tbEUlT_E0_NS1_11comp_targetILNS1_3genE2ELNS1_11target_archE906ELNS1_3gpuE6ELNS1_3repE0EEENS1_30default_config_static_selectorELNS0_4arch9wavefront6targetE1EEEvS14_,"axG",@progbits,_ZN7rocprim17ROCPRIM_400000_NS6detail17trampoline_kernelINS0_14default_configENS1_22reduce_config_selectorIN6thrust23THRUST_200600_302600_NS5tupleIblNS6_9null_typeES8_S8_S8_S8_S8_S8_S8_EEEEZNS1_11reduce_implILb1ES3_NS6_12zip_iteratorINS7_INS6_11hip_rocprim26transform_input_iterator_tIbNSD_35transform_pair_of_input_iterators_tIbNS6_6detail15normal_iteratorINS6_10device_ptrIKtEEEESL_NS6_8equal_toItEEEENSG_9not_fun_tINSD_8identityEEEEENSD_19counting_iterator_tIlEES8_S8_S8_S8_S8_S8_S8_S8_EEEEPS9_S9_NSD_9__find_if7functorIS9_EEEE10hipError_tPvRmT1_T2_T3_mT4_P12ihipStream_tbEUlT_E0_NS1_11comp_targetILNS1_3genE2ELNS1_11target_archE906ELNS1_3gpuE6ELNS1_3repE0EEENS1_30default_config_static_selectorELNS0_4arch9wavefront6targetE1EEEvS14_,comdat
.Lfunc_end192:
	.size	_ZN7rocprim17ROCPRIM_400000_NS6detail17trampoline_kernelINS0_14default_configENS1_22reduce_config_selectorIN6thrust23THRUST_200600_302600_NS5tupleIblNS6_9null_typeES8_S8_S8_S8_S8_S8_S8_EEEEZNS1_11reduce_implILb1ES3_NS6_12zip_iteratorINS7_INS6_11hip_rocprim26transform_input_iterator_tIbNSD_35transform_pair_of_input_iterators_tIbNS6_6detail15normal_iteratorINS6_10device_ptrIKtEEEESL_NS6_8equal_toItEEEENSG_9not_fun_tINSD_8identityEEEEENSD_19counting_iterator_tIlEES8_S8_S8_S8_S8_S8_S8_S8_EEEEPS9_S9_NSD_9__find_if7functorIS9_EEEE10hipError_tPvRmT1_T2_T3_mT4_P12ihipStream_tbEUlT_E0_NS1_11comp_targetILNS1_3genE2ELNS1_11target_archE906ELNS1_3gpuE6ELNS1_3repE0EEENS1_30default_config_static_selectorELNS0_4arch9wavefront6targetE1EEEvS14_, .Lfunc_end192-_ZN7rocprim17ROCPRIM_400000_NS6detail17trampoline_kernelINS0_14default_configENS1_22reduce_config_selectorIN6thrust23THRUST_200600_302600_NS5tupleIblNS6_9null_typeES8_S8_S8_S8_S8_S8_S8_EEEEZNS1_11reduce_implILb1ES3_NS6_12zip_iteratorINS7_INS6_11hip_rocprim26transform_input_iterator_tIbNSD_35transform_pair_of_input_iterators_tIbNS6_6detail15normal_iteratorINS6_10device_ptrIKtEEEESL_NS6_8equal_toItEEEENSG_9not_fun_tINSD_8identityEEEEENSD_19counting_iterator_tIlEES8_S8_S8_S8_S8_S8_S8_S8_EEEEPS9_S9_NSD_9__find_if7functorIS9_EEEE10hipError_tPvRmT1_T2_T3_mT4_P12ihipStream_tbEUlT_E0_NS1_11comp_targetILNS1_3genE2ELNS1_11target_archE906ELNS1_3gpuE6ELNS1_3repE0EEENS1_30default_config_static_selectorELNS0_4arch9wavefront6targetE1EEEvS14_
                                        ; -- End function
	.section	.AMDGPU.csdata,"",@progbits
; Kernel info:
; codeLenInByte = 0
; NumSgprs: 4
; NumVgprs: 0
; NumAgprs: 0
; TotalNumVgprs: 0
; ScratchSize: 0
; MemoryBound: 0
; FloatMode: 240
; IeeeMode: 1
; LDSByteSize: 0 bytes/workgroup (compile time only)
; SGPRBlocks: 0
; VGPRBlocks: 0
; NumSGPRsForWavesPerEU: 4
; NumVGPRsForWavesPerEU: 1
; AccumOffset: 4
; Occupancy: 8
; WaveLimiterHint : 0
; COMPUTE_PGM_RSRC2:SCRATCH_EN: 0
; COMPUTE_PGM_RSRC2:USER_SGPR: 6
; COMPUTE_PGM_RSRC2:TRAP_HANDLER: 0
; COMPUTE_PGM_RSRC2:TGID_X_EN: 1
; COMPUTE_PGM_RSRC2:TGID_Y_EN: 0
; COMPUTE_PGM_RSRC2:TGID_Z_EN: 0
; COMPUTE_PGM_RSRC2:TIDIG_COMP_CNT: 0
; COMPUTE_PGM_RSRC3_GFX90A:ACCUM_OFFSET: 0
; COMPUTE_PGM_RSRC3_GFX90A:TG_SPLIT: 0
	.section	.text._ZN7rocprim17ROCPRIM_400000_NS6detail17trampoline_kernelINS0_14default_configENS1_22reduce_config_selectorIN6thrust23THRUST_200600_302600_NS5tupleIblNS6_9null_typeES8_S8_S8_S8_S8_S8_S8_EEEEZNS1_11reduce_implILb1ES3_NS6_12zip_iteratorINS7_INS6_11hip_rocprim26transform_input_iterator_tIbNSD_35transform_pair_of_input_iterators_tIbNS6_6detail15normal_iteratorINS6_10device_ptrIKtEEEESL_NS6_8equal_toItEEEENSG_9not_fun_tINSD_8identityEEEEENSD_19counting_iterator_tIlEES8_S8_S8_S8_S8_S8_S8_S8_EEEEPS9_S9_NSD_9__find_if7functorIS9_EEEE10hipError_tPvRmT1_T2_T3_mT4_P12ihipStream_tbEUlT_E0_NS1_11comp_targetILNS1_3genE10ELNS1_11target_archE1201ELNS1_3gpuE5ELNS1_3repE0EEENS1_30default_config_static_selectorELNS0_4arch9wavefront6targetE1EEEvS14_,"axG",@progbits,_ZN7rocprim17ROCPRIM_400000_NS6detail17trampoline_kernelINS0_14default_configENS1_22reduce_config_selectorIN6thrust23THRUST_200600_302600_NS5tupleIblNS6_9null_typeES8_S8_S8_S8_S8_S8_S8_EEEEZNS1_11reduce_implILb1ES3_NS6_12zip_iteratorINS7_INS6_11hip_rocprim26transform_input_iterator_tIbNSD_35transform_pair_of_input_iterators_tIbNS6_6detail15normal_iteratorINS6_10device_ptrIKtEEEESL_NS6_8equal_toItEEEENSG_9not_fun_tINSD_8identityEEEEENSD_19counting_iterator_tIlEES8_S8_S8_S8_S8_S8_S8_S8_EEEEPS9_S9_NSD_9__find_if7functorIS9_EEEE10hipError_tPvRmT1_T2_T3_mT4_P12ihipStream_tbEUlT_E0_NS1_11comp_targetILNS1_3genE10ELNS1_11target_archE1201ELNS1_3gpuE5ELNS1_3repE0EEENS1_30default_config_static_selectorELNS0_4arch9wavefront6targetE1EEEvS14_,comdat
	.protected	_ZN7rocprim17ROCPRIM_400000_NS6detail17trampoline_kernelINS0_14default_configENS1_22reduce_config_selectorIN6thrust23THRUST_200600_302600_NS5tupleIblNS6_9null_typeES8_S8_S8_S8_S8_S8_S8_EEEEZNS1_11reduce_implILb1ES3_NS6_12zip_iteratorINS7_INS6_11hip_rocprim26transform_input_iterator_tIbNSD_35transform_pair_of_input_iterators_tIbNS6_6detail15normal_iteratorINS6_10device_ptrIKtEEEESL_NS6_8equal_toItEEEENSG_9not_fun_tINSD_8identityEEEEENSD_19counting_iterator_tIlEES8_S8_S8_S8_S8_S8_S8_S8_EEEEPS9_S9_NSD_9__find_if7functorIS9_EEEE10hipError_tPvRmT1_T2_T3_mT4_P12ihipStream_tbEUlT_E0_NS1_11comp_targetILNS1_3genE10ELNS1_11target_archE1201ELNS1_3gpuE5ELNS1_3repE0EEENS1_30default_config_static_selectorELNS0_4arch9wavefront6targetE1EEEvS14_ ; -- Begin function _ZN7rocprim17ROCPRIM_400000_NS6detail17trampoline_kernelINS0_14default_configENS1_22reduce_config_selectorIN6thrust23THRUST_200600_302600_NS5tupleIblNS6_9null_typeES8_S8_S8_S8_S8_S8_S8_EEEEZNS1_11reduce_implILb1ES3_NS6_12zip_iteratorINS7_INS6_11hip_rocprim26transform_input_iterator_tIbNSD_35transform_pair_of_input_iterators_tIbNS6_6detail15normal_iteratorINS6_10device_ptrIKtEEEESL_NS6_8equal_toItEEEENSG_9not_fun_tINSD_8identityEEEEENSD_19counting_iterator_tIlEES8_S8_S8_S8_S8_S8_S8_S8_EEEEPS9_S9_NSD_9__find_if7functorIS9_EEEE10hipError_tPvRmT1_T2_T3_mT4_P12ihipStream_tbEUlT_E0_NS1_11comp_targetILNS1_3genE10ELNS1_11target_archE1201ELNS1_3gpuE5ELNS1_3repE0EEENS1_30default_config_static_selectorELNS0_4arch9wavefront6targetE1EEEvS14_
	.globl	_ZN7rocprim17ROCPRIM_400000_NS6detail17trampoline_kernelINS0_14default_configENS1_22reduce_config_selectorIN6thrust23THRUST_200600_302600_NS5tupleIblNS6_9null_typeES8_S8_S8_S8_S8_S8_S8_EEEEZNS1_11reduce_implILb1ES3_NS6_12zip_iteratorINS7_INS6_11hip_rocprim26transform_input_iterator_tIbNSD_35transform_pair_of_input_iterators_tIbNS6_6detail15normal_iteratorINS6_10device_ptrIKtEEEESL_NS6_8equal_toItEEEENSG_9not_fun_tINSD_8identityEEEEENSD_19counting_iterator_tIlEES8_S8_S8_S8_S8_S8_S8_S8_EEEEPS9_S9_NSD_9__find_if7functorIS9_EEEE10hipError_tPvRmT1_T2_T3_mT4_P12ihipStream_tbEUlT_E0_NS1_11comp_targetILNS1_3genE10ELNS1_11target_archE1201ELNS1_3gpuE5ELNS1_3repE0EEENS1_30default_config_static_selectorELNS0_4arch9wavefront6targetE1EEEvS14_
	.p2align	8
	.type	_ZN7rocprim17ROCPRIM_400000_NS6detail17trampoline_kernelINS0_14default_configENS1_22reduce_config_selectorIN6thrust23THRUST_200600_302600_NS5tupleIblNS6_9null_typeES8_S8_S8_S8_S8_S8_S8_EEEEZNS1_11reduce_implILb1ES3_NS6_12zip_iteratorINS7_INS6_11hip_rocprim26transform_input_iterator_tIbNSD_35transform_pair_of_input_iterators_tIbNS6_6detail15normal_iteratorINS6_10device_ptrIKtEEEESL_NS6_8equal_toItEEEENSG_9not_fun_tINSD_8identityEEEEENSD_19counting_iterator_tIlEES8_S8_S8_S8_S8_S8_S8_S8_EEEEPS9_S9_NSD_9__find_if7functorIS9_EEEE10hipError_tPvRmT1_T2_T3_mT4_P12ihipStream_tbEUlT_E0_NS1_11comp_targetILNS1_3genE10ELNS1_11target_archE1201ELNS1_3gpuE5ELNS1_3repE0EEENS1_30default_config_static_selectorELNS0_4arch9wavefront6targetE1EEEvS14_,@function
_ZN7rocprim17ROCPRIM_400000_NS6detail17trampoline_kernelINS0_14default_configENS1_22reduce_config_selectorIN6thrust23THRUST_200600_302600_NS5tupleIblNS6_9null_typeES8_S8_S8_S8_S8_S8_S8_EEEEZNS1_11reduce_implILb1ES3_NS6_12zip_iteratorINS7_INS6_11hip_rocprim26transform_input_iterator_tIbNSD_35transform_pair_of_input_iterators_tIbNS6_6detail15normal_iteratorINS6_10device_ptrIKtEEEESL_NS6_8equal_toItEEEENSG_9not_fun_tINSD_8identityEEEEENSD_19counting_iterator_tIlEES8_S8_S8_S8_S8_S8_S8_S8_EEEEPS9_S9_NSD_9__find_if7functorIS9_EEEE10hipError_tPvRmT1_T2_T3_mT4_P12ihipStream_tbEUlT_E0_NS1_11comp_targetILNS1_3genE10ELNS1_11target_archE1201ELNS1_3gpuE5ELNS1_3repE0EEENS1_30default_config_static_selectorELNS0_4arch9wavefront6targetE1EEEvS14_: ; @_ZN7rocprim17ROCPRIM_400000_NS6detail17trampoline_kernelINS0_14default_configENS1_22reduce_config_selectorIN6thrust23THRUST_200600_302600_NS5tupleIblNS6_9null_typeES8_S8_S8_S8_S8_S8_S8_EEEEZNS1_11reduce_implILb1ES3_NS6_12zip_iteratorINS7_INS6_11hip_rocprim26transform_input_iterator_tIbNSD_35transform_pair_of_input_iterators_tIbNS6_6detail15normal_iteratorINS6_10device_ptrIKtEEEESL_NS6_8equal_toItEEEENSG_9not_fun_tINSD_8identityEEEEENSD_19counting_iterator_tIlEES8_S8_S8_S8_S8_S8_S8_S8_EEEEPS9_S9_NSD_9__find_if7functorIS9_EEEE10hipError_tPvRmT1_T2_T3_mT4_P12ihipStream_tbEUlT_E0_NS1_11comp_targetILNS1_3genE10ELNS1_11target_archE1201ELNS1_3gpuE5ELNS1_3repE0EEENS1_30default_config_static_selectorELNS0_4arch9wavefront6targetE1EEEvS14_
; %bb.0:
	.section	.rodata,"a",@progbits
	.p2align	6, 0x0
	.amdhsa_kernel _ZN7rocprim17ROCPRIM_400000_NS6detail17trampoline_kernelINS0_14default_configENS1_22reduce_config_selectorIN6thrust23THRUST_200600_302600_NS5tupleIblNS6_9null_typeES8_S8_S8_S8_S8_S8_S8_EEEEZNS1_11reduce_implILb1ES3_NS6_12zip_iteratorINS7_INS6_11hip_rocprim26transform_input_iterator_tIbNSD_35transform_pair_of_input_iterators_tIbNS6_6detail15normal_iteratorINS6_10device_ptrIKtEEEESL_NS6_8equal_toItEEEENSG_9not_fun_tINSD_8identityEEEEENSD_19counting_iterator_tIlEES8_S8_S8_S8_S8_S8_S8_S8_EEEEPS9_S9_NSD_9__find_if7functorIS9_EEEE10hipError_tPvRmT1_T2_T3_mT4_P12ihipStream_tbEUlT_E0_NS1_11comp_targetILNS1_3genE10ELNS1_11target_archE1201ELNS1_3gpuE5ELNS1_3repE0EEENS1_30default_config_static_selectorELNS0_4arch9wavefront6targetE1EEEvS14_
		.amdhsa_group_segment_fixed_size 0
		.amdhsa_private_segment_fixed_size 0
		.amdhsa_kernarg_size 104
		.amdhsa_user_sgpr_count 6
		.amdhsa_user_sgpr_private_segment_buffer 1
		.amdhsa_user_sgpr_dispatch_ptr 0
		.amdhsa_user_sgpr_queue_ptr 0
		.amdhsa_user_sgpr_kernarg_segment_ptr 1
		.amdhsa_user_sgpr_dispatch_id 0
		.amdhsa_user_sgpr_flat_scratch_init 0
		.amdhsa_user_sgpr_kernarg_preload_length 0
		.amdhsa_user_sgpr_kernarg_preload_offset 0
		.amdhsa_user_sgpr_private_segment_size 0
		.amdhsa_uses_dynamic_stack 0
		.amdhsa_system_sgpr_private_segment_wavefront_offset 0
		.amdhsa_system_sgpr_workgroup_id_x 1
		.amdhsa_system_sgpr_workgroup_id_y 0
		.amdhsa_system_sgpr_workgroup_id_z 0
		.amdhsa_system_sgpr_workgroup_info 0
		.amdhsa_system_vgpr_workitem_id 0
		.amdhsa_next_free_vgpr 1
		.amdhsa_next_free_sgpr 0
		.amdhsa_accum_offset 4
		.amdhsa_reserve_vcc 0
		.amdhsa_reserve_flat_scratch 0
		.amdhsa_float_round_mode_32 0
		.amdhsa_float_round_mode_16_64 0
		.amdhsa_float_denorm_mode_32 3
		.amdhsa_float_denorm_mode_16_64 3
		.amdhsa_dx10_clamp 1
		.amdhsa_ieee_mode 1
		.amdhsa_fp16_overflow 0
		.amdhsa_tg_split 0
		.amdhsa_exception_fp_ieee_invalid_op 0
		.amdhsa_exception_fp_denorm_src 0
		.amdhsa_exception_fp_ieee_div_zero 0
		.amdhsa_exception_fp_ieee_overflow 0
		.amdhsa_exception_fp_ieee_underflow 0
		.amdhsa_exception_fp_ieee_inexact 0
		.amdhsa_exception_int_div_zero 0
	.end_amdhsa_kernel
	.section	.text._ZN7rocprim17ROCPRIM_400000_NS6detail17trampoline_kernelINS0_14default_configENS1_22reduce_config_selectorIN6thrust23THRUST_200600_302600_NS5tupleIblNS6_9null_typeES8_S8_S8_S8_S8_S8_S8_EEEEZNS1_11reduce_implILb1ES3_NS6_12zip_iteratorINS7_INS6_11hip_rocprim26transform_input_iterator_tIbNSD_35transform_pair_of_input_iterators_tIbNS6_6detail15normal_iteratorINS6_10device_ptrIKtEEEESL_NS6_8equal_toItEEEENSG_9not_fun_tINSD_8identityEEEEENSD_19counting_iterator_tIlEES8_S8_S8_S8_S8_S8_S8_S8_EEEEPS9_S9_NSD_9__find_if7functorIS9_EEEE10hipError_tPvRmT1_T2_T3_mT4_P12ihipStream_tbEUlT_E0_NS1_11comp_targetILNS1_3genE10ELNS1_11target_archE1201ELNS1_3gpuE5ELNS1_3repE0EEENS1_30default_config_static_selectorELNS0_4arch9wavefront6targetE1EEEvS14_,"axG",@progbits,_ZN7rocprim17ROCPRIM_400000_NS6detail17trampoline_kernelINS0_14default_configENS1_22reduce_config_selectorIN6thrust23THRUST_200600_302600_NS5tupleIblNS6_9null_typeES8_S8_S8_S8_S8_S8_S8_EEEEZNS1_11reduce_implILb1ES3_NS6_12zip_iteratorINS7_INS6_11hip_rocprim26transform_input_iterator_tIbNSD_35transform_pair_of_input_iterators_tIbNS6_6detail15normal_iteratorINS6_10device_ptrIKtEEEESL_NS6_8equal_toItEEEENSG_9not_fun_tINSD_8identityEEEEENSD_19counting_iterator_tIlEES8_S8_S8_S8_S8_S8_S8_S8_EEEEPS9_S9_NSD_9__find_if7functorIS9_EEEE10hipError_tPvRmT1_T2_T3_mT4_P12ihipStream_tbEUlT_E0_NS1_11comp_targetILNS1_3genE10ELNS1_11target_archE1201ELNS1_3gpuE5ELNS1_3repE0EEENS1_30default_config_static_selectorELNS0_4arch9wavefront6targetE1EEEvS14_,comdat
.Lfunc_end193:
	.size	_ZN7rocprim17ROCPRIM_400000_NS6detail17trampoline_kernelINS0_14default_configENS1_22reduce_config_selectorIN6thrust23THRUST_200600_302600_NS5tupleIblNS6_9null_typeES8_S8_S8_S8_S8_S8_S8_EEEEZNS1_11reduce_implILb1ES3_NS6_12zip_iteratorINS7_INS6_11hip_rocprim26transform_input_iterator_tIbNSD_35transform_pair_of_input_iterators_tIbNS6_6detail15normal_iteratorINS6_10device_ptrIKtEEEESL_NS6_8equal_toItEEEENSG_9not_fun_tINSD_8identityEEEEENSD_19counting_iterator_tIlEES8_S8_S8_S8_S8_S8_S8_S8_EEEEPS9_S9_NSD_9__find_if7functorIS9_EEEE10hipError_tPvRmT1_T2_T3_mT4_P12ihipStream_tbEUlT_E0_NS1_11comp_targetILNS1_3genE10ELNS1_11target_archE1201ELNS1_3gpuE5ELNS1_3repE0EEENS1_30default_config_static_selectorELNS0_4arch9wavefront6targetE1EEEvS14_, .Lfunc_end193-_ZN7rocprim17ROCPRIM_400000_NS6detail17trampoline_kernelINS0_14default_configENS1_22reduce_config_selectorIN6thrust23THRUST_200600_302600_NS5tupleIblNS6_9null_typeES8_S8_S8_S8_S8_S8_S8_EEEEZNS1_11reduce_implILb1ES3_NS6_12zip_iteratorINS7_INS6_11hip_rocprim26transform_input_iterator_tIbNSD_35transform_pair_of_input_iterators_tIbNS6_6detail15normal_iteratorINS6_10device_ptrIKtEEEESL_NS6_8equal_toItEEEENSG_9not_fun_tINSD_8identityEEEEENSD_19counting_iterator_tIlEES8_S8_S8_S8_S8_S8_S8_S8_EEEEPS9_S9_NSD_9__find_if7functorIS9_EEEE10hipError_tPvRmT1_T2_T3_mT4_P12ihipStream_tbEUlT_E0_NS1_11comp_targetILNS1_3genE10ELNS1_11target_archE1201ELNS1_3gpuE5ELNS1_3repE0EEENS1_30default_config_static_selectorELNS0_4arch9wavefront6targetE1EEEvS14_
                                        ; -- End function
	.section	.AMDGPU.csdata,"",@progbits
; Kernel info:
; codeLenInByte = 0
; NumSgprs: 4
; NumVgprs: 0
; NumAgprs: 0
; TotalNumVgprs: 0
; ScratchSize: 0
; MemoryBound: 0
; FloatMode: 240
; IeeeMode: 1
; LDSByteSize: 0 bytes/workgroup (compile time only)
; SGPRBlocks: 0
; VGPRBlocks: 0
; NumSGPRsForWavesPerEU: 4
; NumVGPRsForWavesPerEU: 1
; AccumOffset: 4
; Occupancy: 8
; WaveLimiterHint : 0
; COMPUTE_PGM_RSRC2:SCRATCH_EN: 0
; COMPUTE_PGM_RSRC2:USER_SGPR: 6
; COMPUTE_PGM_RSRC2:TRAP_HANDLER: 0
; COMPUTE_PGM_RSRC2:TGID_X_EN: 1
; COMPUTE_PGM_RSRC2:TGID_Y_EN: 0
; COMPUTE_PGM_RSRC2:TGID_Z_EN: 0
; COMPUTE_PGM_RSRC2:TIDIG_COMP_CNT: 0
; COMPUTE_PGM_RSRC3_GFX90A:ACCUM_OFFSET: 0
; COMPUTE_PGM_RSRC3_GFX90A:TG_SPLIT: 0
	.section	.text._ZN7rocprim17ROCPRIM_400000_NS6detail17trampoline_kernelINS0_14default_configENS1_22reduce_config_selectorIN6thrust23THRUST_200600_302600_NS5tupleIblNS6_9null_typeES8_S8_S8_S8_S8_S8_S8_EEEEZNS1_11reduce_implILb1ES3_NS6_12zip_iteratorINS7_INS6_11hip_rocprim26transform_input_iterator_tIbNSD_35transform_pair_of_input_iterators_tIbNS6_6detail15normal_iteratorINS6_10device_ptrIKtEEEESL_NS6_8equal_toItEEEENSG_9not_fun_tINSD_8identityEEEEENSD_19counting_iterator_tIlEES8_S8_S8_S8_S8_S8_S8_S8_EEEEPS9_S9_NSD_9__find_if7functorIS9_EEEE10hipError_tPvRmT1_T2_T3_mT4_P12ihipStream_tbEUlT_E0_NS1_11comp_targetILNS1_3genE10ELNS1_11target_archE1200ELNS1_3gpuE4ELNS1_3repE0EEENS1_30default_config_static_selectorELNS0_4arch9wavefront6targetE1EEEvS14_,"axG",@progbits,_ZN7rocprim17ROCPRIM_400000_NS6detail17trampoline_kernelINS0_14default_configENS1_22reduce_config_selectorIN6thrust23THRUST_200600_302600_NS5tupleIblNS6_9null_typeES8_S8_S8_S8_S8_S8_S8_EEEEZNS1_11reduce_implILb1ES3_NS6_12zip_iteratorINS7_INS6_11hip_rocprim26transform_input_iterator_tIbNSD_35transform_pair_of_input_iterators_tIbNS6_6detail15normal_iteratorINS6_10device_ptrIKtEEEESL_NS6_8equal_toItEEEENSG_9not_fun_tINSD_8identityEEEEENSD_19counting_iterator_tIlEES8_S8_S8_S8_S8_S8_S8_S8_EEEEPS9_S9_NSD_9__find_if7functorIS9_EEEE10hipError_tPvRmT1_T2_T3_mT4_P12ihipStream_tbEUlT_E0_NS1_11comp_targetILNS1_3genE10ELNS1_11target_archE1200ELNS1_3gpuE4ELNS1_3repE0EEENS1_30default_config_static_selectorELNS0_4arch9wavefront6targetE1EEEvS14_,comdat
	.protected	_ZN7rocprim17ROCPRIM_400000_NS6detail17trampoline_kernelINS0_14default_configENS1_22reduce_config_selectorIN6thrust23THRUST_200600_302600_NS5tupleIblNS6_9null_typeES8_S8_S8_S8_S8_S8_S8_EEEEZNS1_11reduce_implILb1ES3_NS6_12zip_iteratorINS7_INS6_11hip_rocprim26transform_input_iterator_tIbNSD_35transform_pair_of_input_iterators_tIbNS6_6detail15normal_iteratorINS6_10device_ptrIKtEEEESL_NS6_8equal_toItEEEENSG_9not_fun_tINSD_8identityEEEEENSD_19counting_iterator_tIlEES8_S8_S8_S8_S8_S8_S8_S8_EEEEPS9_S9_NSD_9__find_if7functorIS9_EEEE10hipError_tPvRmT1_T2_T3_mT4_P12ihipStream_tbEUlT_E0_NS1_11comp_targetILNS1_3genE10ELNS1_11target_archE1200ELNS1_3gpuE4ELNS1_3repE0EEENS1_30default_config_static_selectorELNS0_4arch9wavefront6targetE1EEEvS14_ ; -- Begin function _ZN7rocprim17ROCPRIM_400000_NS6detail17trampoline_kernelINS0_14default_configENS1_22reduce_config_selectorIN6thrust23THRUST_200600_302600_NS5tupleIblNS6_9null_typeES8_S8_S8_S8_S8_S8_S8_EEEEZNS1_11reduce_implILb1ES3_NS6_12zip_iteratorINS7_INS6_11hip_rocprim26transform_input_iterator_tIbNSD_35transform_pair_of_input_iterators_tIbNS6_6detail15normal_iteratorINS6_10device_ptrIKtEEEESL_NS6_8equal_toItEEEENSG_9not_fun_tINSD_8identityEEEEENSD_19counting_iterator_tIlEES8_S8_S8_S8_S8_S8_S8_S8_EEEEPS9_S9_NSD_9__find_if7functorIS9_EEEE10hipError_tPvRmT1_T2_T3_mT4_P12ihipStream_tbEUlT_E0_NS1_11comp_targetILNS1_3genE10ELNS1_11target_archE1200ELNS1_3gpuE4ELNS1_3repE0EEENS1_30default_config_static_selectorELNS0_4arch9wavefront6targetE1EEEvS14_
	.globl	_ZN7rocprim17ROCPRIM_400000_NS6detail17trampoline_kernelINS0_14default_configENS1_22reduce_config_selectorIN6thrust23THRUST_200600_302600_NS5tupleIblNS6_9null_typeES8_S8_S8_S8_S8_S8_S8_EEEEZNS1_11reduce_implILb1ES3_NS6_12zip_iteratorINS7_INS6_11hip_rocprim26transform_input_iterator_tIbNSD_35transform_pair_of_input_iterators_tIbNS6_6detail15normal_iteratorINS6_10device_ptrIKtEEEESL_NS6_8equal_toItEEEENSG_9not_fun_tINSD_8identityEEEEENSD_19counting_iterator_tIlEES8_S8_S8_S8_S8_S8_S8_S8_EEEEPS9_S9_NSD_9__find_if7functorIS9_EEEE10hipError_tPvRmT1_T2_T3_mT4_P12ihipStream_tbEUlT_E0_NS1_11comp_targetILNS1_3genE10ELNS1_11target_archE1200ELNS1_3gpuE4ELNS1_3repE0EEENS1_30default_config_static_selectorELNS0_4arch9wavefront6targetE1EEEvS14_
	.p2align	8
	.type	_ZN7rocprim17ROCPRIM_400000_NS6detail17trampoline_kernelINS0_14default_configENS1_22reduce_config_selectorIN6thrust23THRUST_200600_302600_NS5tupleIblNS6_9null_typeES8_S8_S8_S8_S8_S8_S8_EEEEZNS1_11reduce_implILb1ES3_NS6_12zip_iteratorINS7_INS6_11hip_rocprim26transform_input_iterator_tIbNSD_35transform_pair_of_input_iterators_tIbNS6_6detail15normal_iteratorINS6_10device_ptrIKtEEEESL_NS6_8equal_toItEEEENSG_9not_fun_tINSD_8identityEEEEENSD_19counting_iterator_tIlEES8_S8_S8_S8_S8_S8_S8_S8_EEEEPS9_S9_NSD_9__find_if7functorIS9_EEEE10hipError_tPvRmT1_T2_T3_mT4_P12ihipStream_tbEUlT_E0_NS1_11comp_targetILNS1_3genE10ELNS1_11target_archE1200ELNS1_3gpuE4ELNS1_3repE0EEENS1_30default_config_static_selectorELNS0_4arch9wavefront6targetE1EEEvS14_,@function
_ZN7rocprim17ROCPRIM_400000_NS6detail17trampoline_kernelINS0_14default_configENS1_22reduce_config_selectorIN6thrust23THRUST_200600_302600_NS5tupleIblNS6_9null_typeES8_S8_S8_S8_S8_S8_S8_EEEEZNS1_11reduce_implILb1ES3_NS6_12zip_iteratorINS7_INS6_11hip_rocprim26transform_input_iterator_tIbNSD_35transform_pair_of_input_iterators_tIbNS6_6detail15normal_iteratorINS6_10device_ptrIKtEEEESL_NS6_8equal_toItEEEENSG_9not_fun_tINSD_8identityEEEEENSD_19counting_iterator_tIlEES8_S8_S8_S8_S8_S8_S8_S8_EEEEPS9_S9_NSD_9__find_if7functorIS9_EEEE10hipError_tPvRmT1_T2_T3_mT4_P12ihipStream_tbEUlT_E0_NS1_11comp_targetILNS1_3genE10ELNS1_11target_archE1200ELNS1_3gpuE4ELNS1_3repE0EEENS1_30default_config_static_selectorELNS0_4arch9wavefront6targetE1EEEvS14_: ; @_ZN7rocprim17ROCPRIM_400000_NS6detail17trampoline_kernelINS0_14default_configENS1_22reduce_config_selectorIN6thrust23THRUST_200600_302600_NS5tupleIblNS6_9null_typeES8_S8_S8_S8_S8_S8_S8_EEEEZNS1_11reduce_implILb1ES3_NS6_12zip_iteratorINS7_INS6_11hip_rocprim26transform_input_iterator_tIbNSD_35transform_pair_of_input_iterators_tIbNS6_6detail15normal_iteratorINS6_10device_ptrIKtEEEESL_NS6_8equal_toItEEEENSG_9not_fun_tINSD_8identityEEEEENSD_19counting_iterator_tIlEES8_S8_S8_S8_S8_S8_S8_S8_EEEEPS9_S9_NSD_9__find_if7functorIS9_EEEE10hipError_tPvRmT1_T2_T3_mT4_P12ihipStream_tbEUlT_E0_NS1_11comp_targetILNS1_3genE10ELNS1_11target_archE1200ELNS1_3gpuE4ELNS1_3repE0EEENS1_30default_config_static_selectorELNS0_4arch9wavefront6targetE1EEEvS14_
; %bb.0:
	.section	.rodata,"a",@progbits
	.p2align	6, 0x0
	.amdhsa_kernel _ZN7rocprim17ROCPRIM_400000_NS6detail17trampoline_kernelINS0_14default_configENS1_22reduce_config_selectorIN6thrust23THRUST_200600_302600_NS5tupleIblNS6_9null_typeES8_S8_S8_S8_S8_S8_S8_EEEEZNS1_11reduce_implILb1ES3_NS6_12zip_iteratorINS7_INS6_11hip_rocprim26transform_input_iterator_tIbNSD_35transform_pair_of_input_iterators_tIbNS6_6detail15normal_iteratorINS6_10device_ptrIKtEEEESL_NS6_8equal_toItEEEENSG_9not_fun_tINSD_8identityEEEEENSD_19counting_iterator_tIlEES8_S8_S8_S8_S8_S8_S8_S8_EEEEPS9_S9_NSD_9__find_if7functorIS9_EEEE10hipError_tPvRmT1_T2_T3_mT4_P12ihipStream_tbEUlT_E0_NS1_11comp_targetILNS1_3genE10ELNS1_11target_archE1200ELNS1_3gpuE4ELNS1_3repE0EEENS1_30default_config_static_selectorELNS0_4arch9wavefront6targetE1EEEvS14_
		.amdhsa_group_segment_fixed_size 0
		.amdhsa_private_segment_fixed_size 0
		.amdhsa_kernarg_size 104
		.amdhsa_user_sgpr_count 6
		.amdhsa_user_sgpr_private_segment_buffer 1
		.amdhsa_user_sgpr_dispatch_ptr 0
		.amdhsa_user_sgpr_queue_ptr 0
		.amdhsa_user_sgpr_kernarg_segment_ptr 1
		.amdhsa_user_sgpr_dispatch_id 0
		.amdhsa_user_sgpr_flat_scratch_init 0
		.amdhsa_user_sgpr_kernarg_preload_length 0
		.amdhsa_user_sgpr_kernarg_preload_offset 0
		.amdhsa_user_sgpr_private_segment_size 0
		.amdhsa_uses_dynamic_stack 0
		.amdhsa_system_sgpr_private_segment_wavefront_offset 0
		.amdhsa_system_sgpr_workgroup_id_x 1
		.amdhsa_system_sgpr_workgroup_id_y 0
		.amdhsa_system_sgpr_workgroup_id_z 0
		.amdhsa_system_sgpr_workgroup_info 0
		.amdhsa_system_vgpr_workitem_id 0
		.amdhsa_next_free_vgpr 1
		.amdhsa_next_free_sgpr 0
		.amdhsa_accum_offset 4
		.amdhsa_reserve_vcc 0
		.amdhsa_reserve_flat_scratch 0
		.amdhsa_float_round_mode_32 0
		.amdhsa_float_round_mode_16_64 0
		.amdhsa_float_denorm_mode_32 3
		.amdhsa_float_denorm_mode_16_64 3
		.amdhsa_dx10_clamp 1
		.amdhsa_ieee_mode 1
		.amdhsa_fp16_overflow 0
		.amdhsa_tg_split 0
		.amdhsa_exception_fp_ieee_invalid_op 0
		.amdhsa_exception_fp_denorm_src 0
		.amdhsa_exception_fp_ieee_div_zero 0
		.amdhsa_exception_fp_ieee_overflow 0
		.amdhsa_exception_fp_ieee_underflow 0
		.amdhsa_exception_fp_ieee_inexact 0
		.amdhsa_exception_int_div_zero 0
	.end_amdhsa_kernel
	.section	.text._ZN7rocprim17ROCPRIM_400000_NS6detail17trampoline_kernelINS0_14default_configENS1_22reduce_config_selectorIN6thrust23THRUST_200600_302600_NS5tupleIblNS6_9null_typeES8_S8_S8_S8_S8_S8_S8_EEEEZNS1_11reduce_implILb1ES3_NS6_12zip_iteratorINS7_INS6_11hip_rocprim26transform_input_iterator_tIbNSD_35transform_pair_of_input_iterators_tIbNS6_6detail15normal_iteratorINS6_10device_ptrIKtEEEESL_NS6_8equal_toItEEEENSG_9not_fun_tINSD_8identityEEEEENSD_19counting_iterator_tIlEES8_S8_S8_S8_S8_S8_S8_S8_EEEEPS9_S9_NSD_9__find_if7functorIS9_EEEE10hipError_tPvRmT1_T2_T3_mT4_P12ihipStream_tbEUlT_E0_NS1_11comp_targetILNS1_3genE10ELNS1_11target_archE1200ELNS1_3gpuE4ELNS1_3repE0EEENS1_30default_config_static_selectorELNS0_4arch9wavefront6targetE1EEEvS14_,"axG",@progbits,_ZN7rocprim17ROCPRIM_400000_NS6detail17trampoline_kernelINS0_14default_configENS1_22reduce_config_selectorIN6thrust23THRUST_200600_302600_NS5tupleIblNS6_9null_typeES8_S8_S8_S8_S8_S8_S8_EEEEZNS1_11reduce_implILb1ES3_NS6_12zip_iteratorINS7_INS6_11hip_rocprim26transform_input_iterator_tIbNSD_35transform_pair_of_input_iterators_tIbNS6_6detail15normal_iteratorINS6_10device_ptrIKtEEEESL_NS6_8equal_toItEEEENSG_9not_fun_tINSD_8identityEEEEENSD_19counting_iterator_tIlEES8_S8_S8_S8_S8_S8_S8_S8_EEEEPS9_S9_NSD_9__find_if7functorIS9_EEEE10hipError_tPvRmT1_T2_T3_mT4_P12ihipStream_tbEUlT_E0_NS1_11comp_targetILNS1_3genE10ELNS1_11target_archE1200ELNS1_3gpuE4ELNS1_3repE0EEENS1_30default_config_static_selectorELNS0_4arch9wavefront6targetE1EEEvS14_,comdat
.Lfunc_end194:
	.size	_ZN7rocprim17ROCPRIM_400000_NS6detail17trampoline_kernelINS0_14default_configENS1_22reduce_config_selectorIN6thrust23THRUST_200600_302600_NS5tupleIblNS6_9null_typeES8_S8_S8_S8_S8_S8_S8_EEEEZNS1_11reduce_implILb1ES3_NS6_12zip_iteratorINS7_INS6_11hip_rocprim26transform_input_iterator_tIbNSD_35transform_pair_of_input_iterators_tIbNS6_6detail15normal_iteratorINS6_10device_ptrIKtEEEESL_NS6_8equal_toItEEEENSG_9not_fun_tINSD_8identityEEEEENSD_19counting_iterator_tIlEES8_S8_S8_S8_S8_S8_S8_S8_EEEEPS9_S9_NSD_9__find_if7functorIS9_EEEE10hipError_tPvRmT1_T2_T3_mT4_P12ihipStream_tbEUlT_E0_NS1_11comp_targetILNS1_3genE10ELNS1_11target_archE1200ELNS1_3gpuE4ELNS1_3repE0EEENS1_30default_config_static_selectorELNS0_4arch9wavefront6targetE1EEEvS14_, .Lfunc_end194-_ZN7rocprim17ROCPRIM_400000_NS6detail17trampoline_kernelINS0_14default_configENS1_22reduce_config_selectorIN6thrust23THRUST_200600_302600_NS5tupleIblNS6_9null_typeES8_S8_S8_S8_S8_S8_S8_EEEEZNS1_11reduce_implILb1ES3_NS6_12zip_iteratorINS7_INS6_11hip_rocprim26transform_input_iterator_tIbNSD_35transform_pair_of_input_iterators_tIbNS6_6detail15normal_iteratorINS6_10device_ptrIKtEEEESL_NS6_8equal_toItEEEENSG_9not_fun_tINSD_8identityEEEEENSD_19counting_iterator_tIlEES8_S8_S8_S8_S8_S8_S8_S8_EEEEPS9_S9_NSD_9__find_if7functorIS9_EEEE10hipError_tPvRmT1_T2_T3_mT4_P12ihipStream_tbEUlT_E0_NS1_11comp_targetILNS1_3genE10ELNS1_11target_archE1200ELNS1_3gpuE4ELNS1_3repE0EEENS1_30default_config_static_selectorELNS0_4arch9wavefront6targetE1EEEvS14_
                                        ; -- End function
	.section	.AMDGPU.csdata,"",@progbits
; Kernel info:
; codeLenInByte = 0
; NumSgprs: 4
; NumVgprs: 0
; NumAgprs: 0
; TotalNumVgprs: 0
; ScratchSize: 0
; MemoryBound: 0
; FloatMode: 240
; IeeeMode: 1
; LDSByteSize: 0 bytes/workgroup (compile time only)
; SGPRBlocks: 0
; VGPRBlocks: 0
; NumSGPRsForWavesPerEU: 4
; NumVGPRsForWavesPerEU: 1
; AccumOffset: 4
; Occupancy: 8
; WaveLimiterHint : 0
; COMPUTE_PGM_RSRC2:SCRATCH_EN: 0
; COMPUTE_PGM_RSRC2:USER_SGPR: 6
; COMPUTE_PGM_RSRC2:TRAP_HANDLER: 0
; COMPUTE_PGM_RSRC2:TGID_X_EN: 1
; COMPUTE_PGM_RSRC2:TGID_Y_EN: 0
; COMPUTE_PGM_RSRC2:TGID_Z_EN: 0
; COMPUTE_PGM_RSRC2:TIDIG_COMP_CNT: 0
; COMPUTE_PGM_RSRC3_GFX90A:ACCUM_OFFSET: 0
; COMPUTE_PGM_RSRC3_GFX90A:TG_SPLIT: 0
	.section	.text._ZN7rocprim17ROCPRIM_400000_NS6detail17trampoline_kernelINS0_14default_configENS1_22reduce_config_selectorIN6thrust23THRUST_200600_302600_NS5tupleIblNS6_9null_typeES8_S8_S8_S8_S8_S8_S8_EEEEZNS1_11reduce_implILb1ES3_NS6_12zip_iteratorINS7_INS6_11hip_rocprim26transform_input_iterator_tIbNSD_35transform_pair_of_input_iterators_tIbNS6_6detail15normal_iteratorINS6_10device_ptrIKtEEEESL_NS6_8equal_toItEEEENSG_9not_fun_tINSD_8identityEEEEENSD_19counting_iterator_tIlEES8_S8_S8_S8_S8_S8_S8_S8_EEEEPS9_S9_NSD_9__find_if7functorIS9_EEEE10hipError_tPvRmT1_T2_T3_mT4_P12ihipStream_tbEUlT_E0_NS1_11comp_targetILNS1_3genE9ELNS1_11target_archE1100ELNS1_3gpuE3ELNS1_3repE0EEENS1_30default_config_static_selectorELNS0_4arch9wavefront6targetE1EEEvS14_,"axG",@progbits,_ZN7rocprim17ROCPRIM_400000_NS6detail17trampoline_kernelINS0_14default_configENS1_22reduce_config_selectorIN6thrust23THRUST_200600_302600_NS5tupleIblNS6_9null_typeES8_S8_S8_S8_S8_S8_S8_EEEEZNS1_11reduce_implILb1ES3_NS6_12zip_iteratorINS7_INS6_11hip_rocprim26transform_input_iterator_tIbNSD_35transform_pair_of_input_iterators_tIbNS6_6detail15normal_iteratorINS6_10device_ptrIKtEEEESL_NS6_8equal_toItEEEENSG_9not_fun_tINSD_8identityEEEEENSD_19counting_iterator_tIlEES8_S8_S8_S8_S8_S8_S8_S8_EEEEPS9_S9_NSD_9__find_if7functorIS9_EEEE10hipError_tPvRmT1_T2_T3_mT4_P12ihipStream_tbEUlT_E0_NS1_11comp_targetILNS1_3genE9ELNS1_11target_archE1100ELNS1_3gpuE3ELNS1_3repE0EEENS1_30default_config_static_selectorELNS0_4arch9wavefront6targetE1EEEvS14_,comdat
	.protected	_ZN7rocprim17ROCPRIM_400000_NS6detail17trampoline_kernelINS0_14default_configENS1_22reduce_config_selectorIN6thrust23THRUST_200600_302600_NS5tupleIblNS6_9null_typeES8_S8_S8_S8_S8_S8_S8_EEEEZNS1_11reduce_implILb1ES3_NS6_12zip_iteratorINS7_INS6_11hip_rocprim26transform_input_iterator_tIbNSD_35transform_pair_of_input_iterators_tIbNS6_6detail15normal_iteratorINS6_10device_ptrIKtEEEESL_NS6_8equal_toItEEEENSG_9not_fun_tINSD_8identityEEEEENSD_19counting_iterator_tIlEES8_S8_S8_S8_S8_S8_S8_S8_EEEEPS9_S9_NSD_9__find_if7functorIS9_EEEE10hipError_tPvRmT1_T2_T3_mT4_P12ihipStream_tbEUlT_E0_NS1_11comp_targetILNS1_3genE9ELNS1_11target_archE1100ELNS1_3gpuE3ELNS1_3repE0EEENS1_30default_config_static_selectorELNS0_4arch9wavefront6targetE1EEEvS14_ ; -- Begin function _ZN7rocprim17ROCPRIM_400000_NS6detail17trampoline_kernelINS0_14default_configENS1_22reduce_config_selectorIN6thrust23THRUST_200600_302600_NS5tupleIblNS6_9null_typeES8_S8_S8_S8_S8_S8_S8_EEEEZNS1_11reduce_implILb1ES3_NS6_12zip_iteratorINS7_INS6_11hip_rocprim26transform_input_iterator_tIbNSD_35transform_pair_of_input_iterators_tIbNS6_6detail15normal_iteratorINS6_10device_ptrIKtEEEESL_NS6_8equal_toItEEEENSG_9not_fun_tINSD_8identityEEEEENSD_19counting_iterator_tIlEES8_S8_S8_S8_S8_S8_S8_S8_EEEEPS9_S9_NSD_9__find_if7functorIS9_EEEE10hipError_tPvRmT1_T2_T3_mT4_P12ihipStream_tbEUlT_E0_NS1_11comp_targetILNS1_3genE9ELNS1_11target_archE1100ELNS1_3gpuE3ELNS1_3repE0EEENS1_30default_config_static_selectorELNS0_4arch9wavefront6targetE1EEEvS14_
	.globl	_ZN7rocprim17ROCPRIM_400000_NS6detail17trampoline_kernelINS0_14default_configENS1_22reduce_config_selectorIN6thrust23THRUST_200600_302600_NS5tupleIblNS6_9null_typeES8_S8_S8_S8_S8_S8_S8_EEEEZNS1_11reduce_implILb1ES3_NS6_12zip_iteratorINS7_INS6_11hip_rocprim26transform_input_iterator_tIbNSD_35transform_pair_of_input_iterators_tIbNS6_6detail15normal_iteratorINS6_10device_ptrIKtEEEESL_NS6_8equal_toItEEEENSG_9not_fun_tINSD_8identityEEEEENSD_19counting_iterator_tIlEES8_S8_S8_S8_S8_S8_S8_S8_EEEEPS9_S9_NSD_9__find_if7functorIS9_EEEE10hipError_tPvRmT1_T2_T3_mT4_P12ihipStream_tbEUlT_E0_NS1_11comp_targetILNS1_3genE9ELNS1_11target_archE1100ELNS1_3gpuE3ELNS1_3repE0EEENS1_30default_config_static_selectorELNS0_4arch9wavefront6targetE1EEEvS14_
	.p2align	8
	.type	_ZN7rocprim17ROCPRIM_400000_NS6detail17trampoline_kernelINS0_14default_configENS1_22reduce_config_selectorIN6thrust23THRUST_200600_302600_NS5tupleIblNS6_9null_typeES8_S8_S8_S8_S8_S8_S8_EEEEZNS1_11reduce_implILb1ES3_NS6_12zip_iteratorINS7_INS6_11hip_rocprim26transform_input_iterator_tIbNSD_35transform_pair_of_input_iterators_tIbNS6_6detail15normal_iteratorINS6_10device_ptrIKtEEEESL_NS6_8equal_toItEEEENSG_9not_fun_tINSD_8identityEEEEENSD_19counting_iterator_tIlEES8_S8_S8_S8_S8_S8_S8_S8_EEEEPS9_S9_NSD_9__find_if7functorIS9_EEEE10hipError_tPvRmT1_T2_T3_mT4_P12ihipStream_tbEUlT_E0_NS1_11comp_targetILNS1_3genE9ELNS1_11target_archE1100ELNS1_3gpuE3ELNS1_3repE0EEENS1_30default_config_static_selectorELNS0_4arch9wavefront6targetE1EEEvS14_,@function
_ZN7rocprim17ROCPRIM_400000_NS6detail17trampoline_kernelINS0_14default_configENS1_22reduce_config_selectorIN6thrust23THRUST_200600_302600_NS5tupleIblNS6_9null_typeES8_S8_S8_S8_S8_S8_S8_EEEEZNS1_11reduce_implILb1ES3_NS6_12zip_iteratorINS7_INS6_11hip_rocprim26transform_input_iterator_tIbNSD_35transform_pair_of_input_iterators_tIbNS6_6detail15normal_iteratorINS6_10device_ptrIKtEEEESL_NS6_8equal_toItEEEENSG_9not_fun_tINSD_8identityEEEEENSD_19counting_iterator_tIlEES8_S8_S8_S8_S8_S8_S8_S8_EEEEPS9_S9_NSD_9__find_if7functorIS9_EEEE10hipError_tPvRmT1_T2_T3_mT4_P12ihipStream_tbEUlT_E0_NS1_11comp_targetILNS1_3genE9ELNS1_11target_archE1100ELNS1_3gpuE3ELNS1_3repE0EEENS1_30default_config_static_selectorELNS0_4arch9wavefront6targetE1EEEvS14_: ; @_ZN7rocprim17ROCPRIM_400000_NS6detail17trampoline_kernelINS0_14default_configENS1_22reduce_config_selectorIN6thrust23THRUST_200600_302600_NS5tupleIblNS6_9null_typeES8_S8_S8_S8_S8_S8_S8_EEEEZNS1_11reduce_implILb1ES3_NS6_12zip_iteratorINS7_INS6_11hip_rocprim26transform_input_iterator_tIbNSD_35transform_pair_of_input_iterators_tIbNS6_6detail15normal_iteratorINS6_10device_ptrIKtEEEESL_NS6_8equal_toItEEEENSG_9not_fun_tINSD_8identityEEEEENSD_19counting_iterator_tIlEES8_S8_S8_S8_S8_S8_S8_S8_EEEEPS9_S9_NSD_9__find_if7functorIS9_EEEE10hipError_tPvRmT1_T2_T3_mT4_P12ihipStream_tbEUlT_E0_NS1_11comp_targetILNS1_3genE9ELNS1_11target_archE1100ELNS1_3gpuE3ELNS1_3repE0EEENS1_30default_config_static_selectorELNS0_4arch9wavefront6targetE1EEEvS14_
; %bb.0:
	.section	.rodata,"a",@progbits
	.p2align	6, 0x0
	.amdhsa_kernel _ZN7rocprim17ROCPRIM_400000_NS6detail17trampoline_kernelINS0_14default_configENS1_22reduce_config_selectorIN6thrust23THRUST_200600_302600_NS5tupleIblNS6_9null_typeES8_S8_S8_S8_S8_S8_S8_EEEEZNS1_11reduce_implILb1ES3_NS6_12zip_iteratorINS7_INS6_11hip_rocprim26transform_input_iterator_tIbNSD_35transform_pair_of_input_iterators_tIbNS6_6detail15normal_iteratorINS6_10device_ptrIKtEEEESL_NS6_8equal_toItEEEENSG_9not_fun_tINSD_8identityEEEEENSD_19counting_iterator_tIlEES8_S8_S8_S8_S8_S8_S8_S8_EEEEPS9_S9_NSD_9__find_if7functorIS9_EEEE10hipError_tPvRmT1_T2_T3_mT4_P12ihipStream_tbEUlT_E0_NS1_11comp_targetILNS1_3genE9ELNS1_11target_archE1100ELNS1_3gpuE3ELNS1_3repE0EEENS1_30default_config_static_selectorELNS0_4arch9wavefront6targetE1EEEvS14_
		.amdhsa_group_segment_fixed_size 0
		.amdhsa_private_segment_fixed_size 0
		.amdhsa_kernarg_size 104
		.amdhsa_user_sgpr_count 6
		.amdhsa_user_sgpr_private_segment_buffer 1
		.amdhsa_user_sgpr_dispatch_ptr 0
		.amdhsa_user_sgpr_queue_ptr 0
		.amdhsa_user_sgpr_kernarg_segment_ptr 1
		.amdhsa_user_sgpr_dispatch_id 0
		.amdhsa_user_sgpr_flat_scratch_init 0
		.amdhsa_user_sgpr_kernarg_preload_length 0
		.amdhsa_user_sgpr_kernarg_preload_offset 0
		.amdhsa_user_sgpr_private_segment_size 0
		.amdhsa_uses_dynamic_stack 0
		.amdhsa_system_sgpr_private_segment_wavefront_offset 0
		.amdhsa_system_sgpr_workgroup_id_x 1
		.amdhsa_system_sgpr_workgroup_id_y 0
		.amdhsa_system_sgpr_workgroup_id_z 0
		.amdhsa_system_sgpr_workgroup_info 0
		.amdhsa_system_vgpr_workitem_id 0
		.amdhsa_next_free_vgpr 1
		.amdhsa_next_free_sgpr 0
		.amdhsa_accum_offset 4
		.amdhsa_reserve_vcc 0
		.amdhsa_reserve_flat_scratch 0
		.amdhsa_float_round_mode_32 0
		.amdhsa_float_round_mode_16_64 0
		.amdhsa_float_denorm_mode_32 3
		.amdhsa_float_denorm_mode_16_64 3
		.amdhsa_dx10_clamp 1
		.amdhsa_ieee_mode 1
		.amdhsa_fp16_overflow 0
		.amdhsa_tg_split 0
		.amdhsa_exception_fp_ieee_invalid_op 0
		.amdhsa_exception_fp_denorm_src 0
		.amdhsa_exception_fp_ieee_div_zero 0
		.amdhsa_exception_fp_ieee_overflow 0
		.amdhsa_exception_fp_ieee_underflow 0
		.amdhsa_exception_fp_ieee_inexact 0
		.amdhsa_exception_int_div_zero 0
	.end_amdhsa_kernel
	.section	.text._ZN7rocprim17ROCPRIM_400000_NS6detail17trampoline_kernelINS0_14default_configENS1_22reduce_config_selectorIN6thrust23THRUST_200600_302600_NS5tupleIblNS6_9null_typeES8_S8_S8_S8_S8_S8_S8_EEEEZNS1_11reduce_implILb1ES3_NS6_12zip_iteratorINS7_INS6_11hip_rocprim26transform_input_iterator_tIbNSD_35transform_pair_of_input_iterators_tIbNS6_6detail15normal_iteratorINS6_10device_ptrIKtEEEESL_NS6_8equal_toItEEEENSG_9not_fun_tINSD_8identityEEEEENSD_19counting_iterator_tIlEES8_S8_S8_S8_S8_S8_S8_S8_EEEEPS9_S9_NSD_9__find_if7functorIS9_EEEE10hipError_tPvRmT1_T2_T3_mT4_P12ihipStream_tbEUlT_E0_NS1_11comp_targetILNS1_3genE9ELNS1_11target_archE1100ELNS1_3gpuE3ELNS1_3repE0EEENS1_30default_config_static_selectorELNS0_4arch9wavefront6targetE1EEEvS14_,"axG",@progbits,_ZN7rocprim17ROCPRIM_400000_NS6detail17trampoline_kernelINS0_14default_configENS1_22reduce_config_selectorIN6thrust23THRUST_200600_302600_NS5tupleIblNS6_9null_typeES8_S8_S8_S8_S8_S8_S8_EEEEZNS1_11reduce_implILb1ES3_NS6_12zip_iteratorINS7_INS6_11hip_rocprim26transform_input_iterator_tIbNSD_35transform_pair_of_input_iterators_tIbNS6_6detail15normal_iteratorINS6_10device_ptrIKtEEEESL_NS6_8equal_toItEEEENSG_9not_fun_tINSD_8identityEEEEENSD_19counting_iterator_tIlEES8_S8_S8_S8_S8_S8_S8_S8_EEEEPS9_S9_NSD_9__find_if7functorIS9_EEEE10hipError_tPvRmT1_T2_T3_mT4_P12ihipStream_tbEUlT_E0_NS1_11comp_targetILNS1_3genE9ELNS1_11target_archE1100ELNS1_3gpuE3ELNS1_3repE0EEENS1_30default_config_static_selectorELNS0_4arch9wavefront6targetE1EEEvS14_,comdat
.Lfunc_end195:
	.size	_ZN7rocprim17ROCPRIM_400000_NS6detail17trampoline_kernelINS0_14default_configENS1_22reduce_config_selectorIN6thrust23THRUST_200600_302600_NS5tupleIblNS6_9null_typeES8_S8_S8_S8_S8_S8_S8_EEEEZNS1_11reduce_implILb1ES3_NS6_12zip_iteratorINS7_INS6_11hip_rocprim26transform_input_iterator_tIbNSD_35transform_pair_of_input_iterators_tIbNS6_6detail15normal_iteratorINS6_10device_ptrIKtEEEESL_NS6_8equal_toItEEEENSG_9not_fun_tINSD_8identityEEEEENSD_19counting_iterator_tIlEES8_S8_S8_S8_S8_S8_S8_S8_EEEEPS9_S9_NSD_9__find_if7functorIS9_EEEE10hipError_tPvRmT1_T2_T3_mT4_P12ihipStream_tbEUlT_E0_NS1_11comp_targetILNS1_3genE9ELNS1_11target_archE1100ELNS1_3gpuE3ELNS1_3repE0EEENS1_30default_config_static_selectorELNS0_4arch9wavefront6targetE1EEEvS14_, .Lfunc_end195-_ZN7rocprim17ROCPRIM_400000_NS6detail17trampoline_kernelINS0_14default_configENS1_22reduce_config_selectorIN6thrust23THRUST_200600_302600_NS5tupleIblNS6_9null_typeES8_S8_S8_S8_S8_S8_S8_EEEEZNS1_11reduce_implILb1ES3_NS6_12zip_iteratorINS7_INS6_11hip_rocprim26transform_input_iterator_tIbNSD_35transform_pair_of_input_iterators_tIbNS6_6detail15normal_iteratorINS6_10device_ptrIKtEEEESL_NS6_8equal_toItEEEENSG_9not_fun_tINSD_8identityEEEEENSD_19counting_iterator_tIlEES8_S8_S8_S8_S8_S8_S8_S8_EEEEPS9_S9_NSD_9__find_if7functorIS9_EEEE10hipError_tPvRmT1_T2_T3_mT4_P12ihipStream_tbEUlT_E0_NS1_11comp_targetILNS1_3genE9ELNS1_11target_archE1100ELNS1_3gpuE3ELNS1_3repE0EEENS1_30default_config_static_selectorELNS0_4arch9wavefront6targetE1EEEvS14_
                                        ; -- End function
	.section	.AMDGPU.csdata,"",@progbits
; Kernel info:
; codeLenInByte = 0
; NumSgprs: 4
; NumVgprs: 0
; NumAgprs: 0
; TotalNumVgprs: 0
; ScratchSize: 0
; MemoryBound: 0
; FloatMode: 240
; IeeeMode: 1
; LDSByteSize: 0 bytes/workgroup (compile time only)
; SGPRBlocks: 0
; VGPRBlocks: 0
; NumSGPRsForWavesPerEU: 4
; NumVGPRsForWavesPerEU: 1
; AccumOffset: 4
; Occupancy: 8
; WaveLimiterHint : 0
; COMPUTE_PGM_RSRC2:SCRATCH_EN: 0
; COMPUTE_PGM_RSRC2:USER_SGPR: 6
; COMPUTE_PGM_RSRC2:TRAP_HANDLER: 0
; COMPUTE_PGM_RSRC2:TGID_X_EN: 1
; COMPUTE_PGM_RSRC2:TGID_Y_EN: 0
; COMPUTE_PGM_RSRC2:TGID_Z_EN: 0
; COMPUTE_PGM_RSRC2:TIDIG_COMP_CNT: 0
; COMPUTE_PGM_RSRC3_GFX90A:ACCUM_OFFSET: 0
; COMPUTE_PGM_RSRC3_GFX90A:TG_SPLIT: 0
	.section	.text._ZN7rocprim17ROCPRIM_400000_NS6detail17trampoline_kernelINS0_14default_configENS1_22reduce_config_selectorIN6thrust23THRUST_200600_302600_NS5tupleIblNS6_9null_typeES8_S8_S8_S8_S8_S8_S8_EEEEZNS1_11reduce_implILb1ES3_NS6_12zip_iteratorINS7_INS6_11hip_rocprim26transform_input_iterator_tIbNSD_35transform_pair_of_input_iterators_tIbNS6_6detail15normal_iteratorINS6_10device_ptrIKtEEEESL_NS6_8equal_toItEEEENSG_9not_fun_tINSD_8identityEEEEENSD_19counting_iterator_tIlEES8_S8_S8_S8_S8_S8_S8_S8_EEEEPS9_S9_NSD_9__find_if7functorIS9_EEEE10hipError_tPvRmT1_T2_T3_mT4_P12ihipStream_tbEUlT_E0_NS1_11comp_targetILNS1_3genE8ELNS1_11target_archE1030ELNS1_3gpuE2ELNS1_3repE0EEENS1_30default_config_static_selectorELNS0_4arch9wavefront6targetE1EEEvS14_,"axG",@progbits,_ZN7rocprim17ROCPRIM_400000_NS6detail17trampoline_kernelINS0_14default_configENS1_22reduce_config_selectorIN6thrust23THRUST_200600_302600_NS5tupleIblNS6_9null_typeES8_S8_S8_S8_S8_S8_S8_EEEEZNS1_11reduce_implILb1ES3_NS6_12zip_iteratorINS7_INS6_11hip_rocprim26transform_input_iterator_tIbNSD_35transform_pair_of_input_iterators_tIbNS6_6detail15normal_iteratorINS6_10device_ptrIKtEEEESL_NS6_8equal_toItEEEENSG_9not_fun_tINSD_8identityEEEEENSD_19counting_iterator_tIlEES8_S8_S8_S8_S8_S8_S8_S8_EEEEPS9_S9_NSD_9__find_if7functorIS9_EEEE10hipError_tPvRmT1_T2_T3_mT4_P12ihipStream_tbEUlT_E0_NS1_11comp_targetILNS1_3genE8ELNS1_11target_archE1030ELNS1_3gpuE2ELNS1_3repE0EEENS1_30default_config_static_selectorELNS0_4arch9wavefront6targetE1EEEvS14_,comdat
	.protected	_ZN7rocprim17ROCPRIM_400000_NS6detail17trampoline_kernelINS0_14default_configENS1_22reduce_config_selectorIN6thrust23THRUST_200600_302600_NS5tupleIblNS6_9null_typeES8_S8_S8_S8_S8_S8_S8_EEEEZNS1_11reduce_implILb1ES3_NS6_12zip_iteratorINS7_INS6_11hip_rocprim26transform_input_iterator_tIbNSD_35transform_pair_of_input_iterators_tIbNS6_6detail15normal_iteratorINS6_10device_ptrIKtEEEESL_NS6_8equal_toItEEEENSG_9not_fun_tINSD_8identityEEEEENSD_19counting_iterator_tIlEES8_S8_S8_S8_S8_S8_S8_S8_EEEEPS9_S9_NSD_9__find_if7functorIS9_EEEE10hipError_tPvRmT1_T2_T3_mT4_P12ihipStream_tbEUlT_E0_NS1_11comp_targetILNS1_3genE8ELNS1_11target_archE1030ELNS1_3gpuE2ELNS1_3repE0EEENS1_30default_config_static_selectorELNS0_4arch9wavefront6targetE1EEEvS14_ ; -- Begin function _ZN7rocprim17ROCPRIM_400000_NS6detail17trampoline_kernelINS0_14default_configENS1_22reduce_config_selectorIN6thrust23THRUST_200600_302600_NS5tupleIblNS6_9null_typeES8_S8_S8_S8_S8_S8_S8_EEEEZNS1_11reduce_implILb1ES3_NS6_12zip_iteratorINS7_INS6_11hip_rocprim26transform_input_iterator_tIbNSD_35transform_pair_of_input_iterators_tIbNS6_6detail15normal_iteratorINS6_10device_ptrIKtEEEESL_NS6_8equal_toItEEEENSG_9not_fun_tINSD_8identityEEEEENSD_19counting_iterator_tIlEES8_S8_S8_S8_S8_S8_S8_S8_EEEEPS9_S9_NSD_9__find_if7functorIS9_EEEE10hipError_tPvRmT1_T2_T3_mT4_P12ihipStream_tbEUlT_E0_NS1_11comp_targetILNS1_3genE8ELNS1_11target_archE1030ELNS1_3gpuE2ELNS1_3repE0EEENS1_30default_config_static_selectorELNS0_4arch9wavefront6targetE1EEEvS14_
	.globl	_ZN7rocprim17ROCPRIM_400000_NS6detail17trampoline_kernelINS0_14default_configENS1_22reduce_config_selectorIN6thrust23THRUST_200600_302600_NS5tupleIblNS6_9null_typeES8_S8_S8_S8_S8_S8_S8_EEEEZNS1_11reduce_implILb1ES3_NS6_12zip_iteratorINS7_INS6_11hip_rocprim26transform_input_iterator_tIbNSD_35transform_pair_of_input_iterators_tIbNS6_6detail15normal_iteratorINS6_10device_ptrIKtEEEESL_NS6_8equal_toItEEEENSG_9not_fun_tINSD_8identityEEEEENSD_19counting_iterator_tIlEES8_S8_S8_S8_S8_S8_S8_S8_EEEEPS9_S9_NSD_9__find_if7functorIS9_EEEE10hipError_tPvRmT1_T2_T3_mT4_P12ihipStream_tbEUlT_E0_NS1_11comp_targetILNS1_3genE8ELNS1_11target_archE1030ELNS1_3gpuE2ELNS1_3repE0EEENS1_30default_config_static_selectorELNS0_4arch9wavefront6targetE1EEEvS14_
	.p2align	8
	.type	_ZN7rocprim17ROCPRIM_400000_NS6detail17trampoline_kernelINS0_14default_configENS1_22reduce_config_selectorIN6thrust23THRUST_200600_302600_NS5tupleIblNS6_9null_typeES8_S8_S8_S8_S8_S8_S8_EEEEZNS1_11reduce_implILb1ES3_NS6_12zip_iteratorINS7_INS6_11hip_rocprim26transform_input_iterator_tIbNSD_35transform_pair_of_input_iterators_tIbNS6_6detail15normal_iteratorINS6_10device_ptrIKtEEEESL_NS6_8equal_toItEEEENSG_9not_fun_tINSD_8identityEEEEENSD_19counting_iterator_tIlEES8_S8_S8_S8_S8_S8_S8_S8_EEEEPS9_S9_NSD_9__find_if7functorIS9_EEEE10hipError_tPvRmT1_T2_T3_mT4_P12ihipStream_tbEUlT_E0_NS1_11comp_targetILNS1_3genE8ELNS1_11target_archE1030ELNS1_3gpuE2ELNS1_3repE0EEENS1_30default_config_static_selectorELNS0_4arch9wavefront6targetE1EEEvS14_,@function
_ZN7rocprim17ROCPRIM_400000_NS6detail17trampoline_kernelINS0_14default_configENS1_22reduce_config_selectorIN6thrust23THRUST_200600_302600_NS5tupleIblNS6_9null_typeES8_S8_S8_S8_S8_S8_S8_EEEEZNS1_11reduce_implILb1ES3_NS6_12zip_iteratorINS7_INS6_11hip_rocprim26transform_input_iterator_tIbNSD_35transform_pair_of_input_iterators_tIbNS6_6detail15normal_iteratorINS6_10device_ptrIKtEEEESL_NS6_8equal_toItEEEENSG_9not_fun_tINSD_8identityEEEEENSD_19counting_iterator_tIlEES8_S8_S8_S8_S8_S8_S8_S8_EEEEPS9_S9_NSD_9__find_if7functorIS9_EEEE10hipError_tPvRmT1_T2_T3_mT4_P12ihipStream_tbEUlT_E0_NS1_11comp_targetILNS1_3genE8ELNS1_11target_archE1030ELNS1_3gpuE2ELNS1_3repE0EEENS1_30default_config_static_selectorELNS0_4arch9wavefront6targetE1EEEvS14_: ; @_ZN7rocprim17ROCPRIM_400000_NS6detail17trampoline_kernelINS0_14default_configENS1_22reduce_config_selectorIN6thrust23THRUST_200600_302600_NS5tupleIblNS6_9null_typeES8_S8_S8_S8_S8_S8_S8_EEEEZNS1_11reduce_implILb1ES3_NS6_12zip_iteratorINS7_INS6_11hip_rocprim26transform_input_iterator_tIbNSD_35transform_pair_of_input_iterators_tIbNS6_6detail15normal_iteratorINS6_10device_ptrIKtEEEESL_NS6_8equal_toItEEEENSG_9not_fun_tINSD_8identityEEEEENSD_19counting_iterator_tIlEES8_S8_S8_S8_S8_S8_S8_S8_EEEEPS9_S9_NSD_9__find_if7functorIS9_EEEE10hipError_tPvRmT1_T2_T3_mT4_P12ihipStream_tbEUlT_E0_NS1_11comp_targetILNS1_3genE8ELNS1_11target_archE1030ELNS1_3gpuE2ELNS1_3repE0EEENS1_30default_config_static_selectorELNS0_4arch9wavefront6targetE1EEEvS14_
; %bb.0:
	.section	.rodata,"a",@progbits
	.p2align	6, 0x0
	.amdhsa_kernel _ZN7rocprim17ROCPRIM_400000_NS6detail17trampoline_kernelINS0_14default_configENS1_22reduce_config_selectorIN6thrust23THRUST_200600_302600_NS5tupleIblNS6_9null_typeES8_S8_S8_S8_S8_S8_S8_EEEEZNS1_11reduce_implILb1ES3_NS6_12zip_iteratorINS7_INS6_11hip_rocprim26transform_input_iterator_tIbNSD_35transform_pair_of_input_iterators_tIbNS6_6detail15normal_iteratorINS6_10device_ptrIKtEEEESL_NS6_8equal_toItEEEENSG_9not_fun_tINSD_8identityEEEEENSD_19counting_iterator_tIlEES8_S8_S8_S8_S8_S8_S8_S8_EEEEPS9_S9_NSD_9__find_if7functorIS9_EEEE10hipError_tPvRmT1_T2_T3_mT4_P12ihipStream_tbEUlT_E0_NS1_11comp_targetILNS1_3genE8ELNS1_11target_archE1030ELNS1_3gpuE2ELNS1_3repE0EEENS1_30default_config_static_selectorELNS0_4arch9wavefront6targetE1EEEvS14_
		.amdhsa_group_segment_fixed_size 0
		.amdhsa_private_segment_fixed_size 0
		.amdhsa_kernarg_size 104
		.amdhsa_user_sgpr_count 6
		.amdhsa_user_sgpr_private_segment_buffer 1
		.amdhsa_user_sgpr_dispatch_ptr 0
		.amdhsa_user_sgpr_queue_ptr 0
		.amdhsa_user_sgpr_kernarg_segment_ptr 1
		.amdhsa_user_sgpr_dispatch_id 0
		.amdhsa_user_sgpr_flat_scratch_init 0
		.amdhsa_user_sgpr_kernarg_preload_length 0
		.amdhsa_user_sgpr_kernarg_preload_offset 0
		.amdhsa_user_sgpr_private_segment_size 0
		.amdhsa_uses_dynamic_stack 0
		.amdhsa_system_sgpr_private_segment_wavefront_offset 0
		.amdhsa_system_sgpr_workgroup_id_x 1
		.amdhsa_system_sgpr_workgroup_id_y 0
		.amdhsa_system_sgpr_workgroup_id_z 0
		.amdhsa_system_sgpr_workgroup_info 0
		.amdhsa_system_vgpr_workitem_id 0
		.amdhsa_next_free_vgpr 1
		.amdhsa_next_free_sgpr 0
		.amdhsa_accum_offset 4
		.amdhsa_reserve_vcc 0
		.amdhsa_reserve_flat_scratch 0
		.amdhsa_float_round_mode_32 0
		.amdhsa_float_round_mode_16_64 0
		.amdhsa_float_denorm_mode_32 3
		.amdhsa_float_denorm_mode_16_64 3
		.amdhsa_dx10_clamp 1
		.amdhsa_ieee_mode 1
		.amdhsa_fp16_overflow 0
		.amdhsa_tg_split 0
		.amdhsa_exception_fp_ieee_invalid_op 0
		.amdhsa_exception_fp_denorm_src 0
		.amdhsa_exception_fp_ieee_div_zero 0
		.amdhsa_exception_fp_ieee_overflow 0
		.amdhsa_exception_fp_ieee_underflow 0
		.amdhsa_exception_fp_ieee_inexact 0
		.amdhsa_exception_int_div_zero 0
	.end_amdhsa_kernel
	.section	.text._ZN7rocprim17ROCPRIM_400000_NS6detail17trampoline_kernelINS0_14default_configENS1_22reduce_config_selectorIN6thrust23THRUST_200600_302600_NS5tupleIblNS6_9null_typeES8_S8_S8_S8_S8_S8_S8_EEEEZNS1_11reduce_implILb1ES3_NS6_12zip_iteratorINS7_INS6_11hip_rocprim26transform_input_iterator_tIbNSD_35transform_pair_of_input_iterators_tIbNS6_6detail15normal_iteratorINS6_10device_ptrIKtEEEESL_NS6_8equal_toItEEEENSG_9not_fun_tINSD_8identityEEEEENSD_19counting_iterator_tIlEES8_S8_S8_S8_S8_S8_S8_S8_EEEEPS9_S9_NSD_9__find_if7functorIS9_EEEE10hipError_tPvRmT1_T2_T3_mT4_P12ihipStream_tbEUlT_E0_NS1_11comp_targetILNS1_3genE8ELNS1_11target_archE1030ELNS1_3gpuE2ELNS1_3repE0EEENS1_30default_config_static_selectorELNS0_4arch9wavefront6targetE1EEEvS14_,"axG",@progbits,_ZN7rocprim17ROCPRIM_400000_NS6detail17trampoline_kernelINS0_14default_configENS1_22reduce_config_selectorIN6thrust23THRUST_200600_302600_NS5tupleIblNS6_9null_typeES8_S8_S8_S8_S8_S8_S8_EEEEZNS1_11reduce_implILb1ES3_NS6_12zip_iteratorINS7_INS6_11hip_rocprim26transform_input_iterator_tIbNSD_35transform_pair_of_input_iterators_tIbNS6_6detail15normal_iteratorINS6_10device_ptrIKtEEEESL_NS6_8equal_toItEEEENSG_9not_fun_tINSD_8identityEEEEENSD_19counting_iterator_tIlEES8_S8_S8_S8_S8_S8_S8_S8_EEEEPS9_S9_NSD_9__find_if7functorIS9_EEEE10hipError_tPvRmT1_T2_T3_mT4_P12ihipStream_tbEUlT_E0_NS1_11comp_targetILNS1_3genE8ELNS1_11target_archE1030ELNS1_3gpuE2ELNS1_3repE0EEENS1_30default_config_static_selectorELNS0_4arch9wavefront6targetE1EEEvS14_,comdat
.Lfunc_end196:
	.size	_ZN7rocprim17ROCPRIM_400000_NS6detail17trampoline_kernelINS0_14default_configENS1_22reduce_config_selectorIN6thrust23THRUST_200600_302600_NS5tupleIblNS6_9null_typeES8_S8_S8_S8_S8_S8_S8_EEEEZNS1_11reduce_implILb1ES3_NS6_12zip_iteratorINS7_INS6_11hip_rocprim26transform_input_iterator_tIbNSD_35transform_pair_of_input_iterators_tIbNS6_6detail15normal_iteratorINS6_10device_ptrIKtEEEESL_NS6_8equal_toItEEEENSG_9not_fun_tINSD_8identityEEEEENSD_19counting_iterator_tIlEES8_S8_S8_S8_S8_S8_S8_S8_EEEEPS9_S9_NSD_9__find_if7functorIS9_EEEE10hipError_tPvRmT1_T2_T3_mT4_P12ihipStream_tbEUlT_E0_NS1_11comp_targetILNS1_3genE8ELNS1_11target_archE1030ELNS1_3gpuE2ELNS1_3repE0EEENS1_30default_config_static_selectorELNS0_4arch9wavefront6targetE1EEEvS14_, .Lfunc_end196-_ZN7rocprim17ROCPRIM_400000_NS6detail17trampoline_kernelINS0_14default_configENS1_22reduce_config_selectorIN6thrust23THRUST_200600_302600_NS5tupleIblNS6_9null_typeES8_S8_S8_S8_S8_S8_S8_EEEEZNS1_11reduce_implILb1ES3_NS6_12zip_iteratorINS7_INS6_11hip_rocprim26transform_input_iterator_tIbNSD_35transform_pair_of_input_iterators_tIbNS6_6detail15normal_iteratorINS6_10device_ptrIKtEEEESL_NS6_8equal_toItEEEENSG_9not_fun_tINSD_8identityEEEEENSD_19counting_iterator_tIlEES8_S8_S8_S8_S8_S8_S8_S8_EEEEPS9_S9_NSD_9__find_if7functorIS9_EEEE10hipError_tPvRmT1_T2_T3_mT4_P12ihipStream_tbEUlT_E0_NS1_11comp_targetILNS1_3genE8ELNS1_11target_archE1030ELNS1_3gpuE2ELNS1_3repE0EEENS1_30default_config_static_selectorELNS0_4arch9wavefront6targetE1EEEvS14_
                                        ; -- End function
	.section	.AMDGPU.csdata,"",@progbits
; Kernel info:
; codeLenInByte = 0
; NumSgprs: 4
; NumVgprs: 0
; NumAgprs: 0
; TotalNumVgprs: 0
; ScratchSize: 0
; MemoryBound: 0
; FloatMode: 240
; IeeeMode: 1
; LDSByteSize: 0 bytes/workgroup (compile time only)
; SGPRBlocks: 0
; VGPRBlocks: 0
; NumSGPRsForWavesPerEU: 4
; NumVGPRsForWavesPerEU: 1
; AccumOffset: 4
; Occupancy: 8
; WaveLimiterHint : 0
; COMPUTE_PGM_RSRC2:SCRATCH_EN: 0
; COMPUTE_PGM_RSRC2:USER_SGPR: 6
; COMPUTE_PGM_RSRC2:TRAP_HANDLER: 0
; COMPUTE_PGM_RSRC2:TGID_X_EN: 1
; COMPUTE_PGM_RSRC2:TGID_Y_EN: 0
; COMPUTE_PGM_RSRC2:TGID_Z_EN: 0
; COMPUTE_PGM_RSRC2:TIDIG_COMP_CNT: 0
; COMPUTE_PGM_RSRC3_GFX90A:ACCUM_OFFSET: 0
; COMPUTE_PGM_RSRC3_GFX90A:TG_SPLIT: 0
	.section	.text._ZN7rocprim17ROCPRIM_400000_NS6detail17trampoline_kernelINS0_14default_configENS1_22reduce_config_selectorIN6thrust23THRUST_200600_302600_NS5tupleIblNS6_9null_typeES8_S8_S8_S8_S8_S8_S8_EEEEZNS1_11reduce_implILb1ES3_NS6_12zip_iteratorINS7_INS6_11hip_rocprim26transform_input_iterator_tIbNSD_35transform_pair_of_input_iterators_tIbNS6_6detail15normal_iteratorINS6_10device_ptrIKtEEEESL_NS6_8equal_toItEEEENSG_9not_fun_tINSD_8identityEEEEENSD_19counting_iterator_tIlEES8_S8_S8_S8_S8_S8_S8_S8_EEEEPS9_S9_NSD_9__find_if7functorIS9_EEEE10hipError_tPvRmT1_T2_T3_mT4_P12ihipStream_tbEUlT_E1_NS1_11comp_targetILNS1_3genE0ELNS1_11target_archE4294967295ELNS1_3gpuE0ELNS1_3repE0EEENS1_30default_config_static_selectorELNS0_4arch9wavefront6targetE1EEEvS14_,"axG",@progbits,_ZN7rocprim17ROCPRIM_400000_NS6detail17trampoline_kernelINS0_14default_configENS1_22reduce_config_selectorIN6thrust23THRUST_200600_302600_NS5tupleIblNS6_9null_typeES8_S8_S8_S8_S8_S8_S8_EEEEZNS1_11reduce_implILb1ES3_NS6_12zip_iteratorINS7_INS6_11hip_rocprim26transform_input_iterator_tIbNSD_35transform_pair_of_input_iterators_tIbNS6_6detail15normal_iteratorINS6_10device_ptrIKtEEEESL_NS6_8equal_toItEEEENSG_9not_fun_tINSD_8identityEEEEENSD_19counting_iterator_tIlEES8_S8_S8_S8_S8_S8_S8_S8_EEEEPS9_S9_NSD_9__find_if7functorIS9_EEEE10hipError_tPvRmT1_T2_T3_mT4_P12ihipStream_tbEUlT_E1_NS1_11comp_targetILNS1_3genE0ELNS1_11target_archE4294967295ELNS1_3gpuE0ELNS1_3repE0EEENS1_30default_config_static_selectorELNS0_4arch9wavefront6targetE1EEEvS14_,comdat
	.protected	_ZN7rocprim17ROCPRIM_400000_NS6detail17trampoline_kernelINS0_14default_configENS1_22reduce_config_selectorIN6thrust23THRUST_200600_302600_NS5tupleIblNS6_9null_typeES8_S8_S8_S8_S8_S8_S8_EEEEZNS1_11reduce_implILb1ES3_NS6_12zip_iteratorINS7_INS6_11hip_rocprim26transform_input_iterator_tIbNSD_35transform_pair_of_input_iterators_tIbNS6_6detail15normal_iteratorINS6_10device_ptrIKtEEEESL_NS6_8equal_toItEEEENSG_9not_fun_tINSD_8identityEEEEENSD_19counting_iterator_tIlEES8_S8_S8_S8_S8_S8_S8_S8_EEEEPS9_S9_NSD_9__find_if7functorIS9_EEEE10hipError_tPvRmT1_T2_T3_mT4_P12ihipStream_tbEUlT_E1_NS1_11comp_targetILNS1_3genE0ELNS1_11target_archE4294967295ELNS1_3gpuE0ELNS1_3repE0EEENS1_30default_config_static_selectorELNS0_4arch9wavefront6targetE1EEEvS14_ ; -- Begin function _ZN7rocprim17ROCPRIM_400000_NS6detail17trampoline_kernelINS0_14default_configENS1_22reduce_config_selectorIN6thrust23THRUST_200600_302600_NS5tupleIblNS6_9null_typeES8_S8_S8_S8_S8_S8_S8_EEEEZNS1_11reduce_implILb1ES3_NS6_12zip_iteratorINS7_INS6_11hip_rocprim26transform_input_iterator_tIbNSD_35transform_pair_of_input_iterators_tIbNS6_6detail15normal_iteratorINS6_10device_ptrIKtEEEESL_NS6_8equal_toItEEEENSG_9not_fun_tINSD_8identityEEEEENSD_19counting_iterator_tIlEES8_S8_S8_S8_S8_S8_S8_S8_EEEEPS9_S9_NSD_9__find_if7functorIS9_EEEE10hipError_tPvRmT1_T2_T3_mT4_P12ihipStream_tbEUlT_E1_NS1_11comp_targetILNS1_3genE0ELNS1_11target_archE4294967295ELNS1_3gpuE0ELNS1_3repE0EEENS1_30default_config_static_selectorELNS0_4arch9wavefront6targetE1EEEvS14_
	.globl	_ZN7rocprim17ROCPRIM_400000_NS6detail17trampoline_kernelINS0_14default_configENS1_22reduce_config_selectorIN6thrust23THRUST_200600_302600_NS5tupleIblNS6_9null_typeES8_S8_S8_S8_S8_S8_S8_EEEEZNS1_11reduce_implILb1ES3_NS6_12zip_iteratorINS7_INS6_11hip_rocprim26transform_input_iterator_tIbNSD_35transform_pair_of_input_iterators_tIbNS6_6detail15normal_iteratorINS6_10device_ptrIKtEEEESL_NS6_8equal_toItEEEENSG_9not_fun_tINSD_8identityEEEEENSD_19counting_iterator_tIlEES8_S8_S8_S8_S8_S8_S8_S8_EEEEPS9_S9_NSD_9__find_if7functorIS9_EEEE10hipError_tPvRmT1_T2_T3_mT4_P12ihipStream_tbEUlT_E1_NS1_11comp_targetILNS1_3genE0ELNS1_11target_archE4294967295ELNS1_3gpuE0ELNS1_3repE0EEENS1_30default_config_static_selectorELNS0_4arch9wavefront6targetE1EEEvS14_
	.p2align	8
	.type	_ZN7rocprim17ROCPRIM_400000_NS6detail17trampoline_kernelINS0_14default_configENS1_22reduce_config_selectorIN6thrust23THRUST_200600_302600_NS5tupleIblNS6_9null_typeES8_S8_S8_S8_S8_S8_S8_EEEEZNS1_11reduce_implILb1ES3_NS6_12zip_iteratorINS7_INS6_11hip_rocprim26transform_input_iterator_tIbNSD_35transform_pair_of_input_iterators_tIbNS6_6detail15normal_iteratorINS6_10device_ptrIKtEEEESL_NS6_8equal_toItEEEENSG_9not_fun_tINSD_8identityEEEEENSD_19counting_iterator_tIlEES8_S8_S8_S8_S8_S8_S8_S8_EEEEPS9_S9_NSD_9__find_if7functorIS9_EEEE10hipError_tPvRmT1_T2_T3_mT4_P12ihipStream_tbEUlT_E1_NS1_11comp_targetILNS1_3genE0ELNS1_11target_archE4294967295ELNS1_3gpuE0ELNS1_3repE0EEENS1_30default_config_static_selectorELNS0_4arch9wavefront6targetE1EEEvS14_,@function
_ZN7rocprim17ROCPRIM_400000_NS6detail17trampoline_kernelINS0_14default_configENS1_22reduce_config_selectorIN6thrust23THRUST_200600_302600_NS5tupleIblNS6_9null_typeES8_S8_S8_S8_S8_S8_S8_EEEEZNS1_11reduce_implILb1ES3_NS6_12zip_iteratorINS7_INS6_11hip_rocprim26transform_input_iterator_tIbNSD_35transform_pair_of_input_iterators_tIbNS6_6detail15normal_iteratorINS6_10device_ptrIKtEEEESL_NS6_8equal_toItEEEENSG_9not_fun_tINSD_8identityEEEEENSD_19counting_iterator_tIlEES8_S8_S8_S8_S8_S8_S8_S8_EEEEPS9_S9_NSD_9__find_if7functorIS9_EEEE10hipError_tPvRmT1_T2_T3_mT4_P12ihipStream_tbEUlT_E1_NS1_11comp_targetILNS1_3genE0ELNS1_11target_archE4294967295ELNS1_3gpuE0ELNS1_3repE0EEENS1_30default_config_static_selectorELNS0_4arch9wavefront6targetE1EEEvS14_: ; @_ZN7rocprim17ROCPRIM_400000_NS6detail17trampoline_kernelINS0_14default_configENS1_22reduce_config_selectorIN6thrust23THRUST_200600_302600_NS5tupleIblNS6_9null_typeES8_S8_S8_S8_S8_S8_S8_EEEEZNS1_11reduce_implILb1ES3_NS6_12zip_iteratorINS7_INS6_11hip_rocprim26transform_input_iterator_tIbNSD_35transform_pair_of_input_iterators_tIbNS6_6detail15normal_iteratorINS6_10device_ptrIKtEEEESL_NS6_8equal_toItEEEENSG_9not_fun_tINSD_8identityEEEEENSD_19counting_iterator_tIlEES8_S8_S8_S8_S8_S8_S8_S8_EEEEPS9_S9_NSD_9__find_if7functorIS9_EEEE10hipError_tPvRmT1_T2_T3_mT4_P12ihipStream_tbEUlT_E1_NS1_11comp_targetILNS1_3genE0ELNS1_11target_archE4294967295ELNS1_3gpuE0ELNS1_3repE0EEENS1_30default_config_static_selectorELNS0_4arch9wavefront6targetE1EEEvS14_
; %bb.0:
	.section	.rodata,"a",@progbits
	.p2align	6, 0x0
	.amdhsa_kernel _ZN7rocprim17ROCPRIM_400000_NS6detail17trampoline_kernelINS0_14default_configENS1_22reduce_config_selectorIN6thrust23THRUST_200600_302600_NS5tupleIblNS6_9null_typeES8_S8_S8_S8_S8_S8_S8_EEEEZNS1_11reduce_implILb1ES3_NS6_12zip_iteratorINS7_INS6_11hip_rocprim26transform_input_iterator_tIbNSD_35transform_pair_of_input_iterators_tIbNS6_6detail15normal_iteratorINS6_10device_ptrIKtEEEESL_NS6_8equal_toItEEEENSG_9not_fun_tINSD_8identityEEEEENSD_19counting_iterator_tIlEES8_S8_S8_S8_S8_S8_S8_S8_EEEEPS9_S9_NSD_9__find_if7functorIS9_EEEE10hipError_tPvRmT1_T2_T3_mT4_P12ihipStream_tbEUlT_E1_NS1_11comp_targetILNS1_3genE0ELNS1_11target_archE4294967295ELNS1_3gpuE0ELNS1_3repE0EEENS1_30default_config_static_selectorELNS0_4arch9wavefront6targetE1EEEvS14_
		.amdhsa_group_segment_fixed_size 0
		.amdhsa_private_segment_fixed_size 0
		.amdhsa_kernarg_size 88
		.amdhsa_user_sgpr_count 6
		.amdhsa_user_sgpr_private_segment_buffer 1
		.amdhsa_user_sgpr_dispatch_ptr 0
		.amdhsa_user_sgpr_queue_ptr 0
		.amdhsa_user_sgpr_kernarg_segment_ptr 1
		.amdhsa_user_sgpr_dispatch_id 0
		.amdhsa_user_sgpr_flat_scratch_init 0
		.amdhsa_user_sgpr_kernarg_preload_length 0
		.amdhsa_user_sgpr_kernarg_preload_offset 0
		.amdhsa_user_sgpr_private_segment_size 0
		.amdhsa_uses_dynamic_stack 0
		.amdhsa_system_sgpr_private_segment_wavefront_offset 0
		.amdhsa_system_sgpr_workgroup_id_x 1
		.amdhsa_system_sgpr_workgroup_id_y 0
		.amdhsa_system_sgpr_workgroup_id_z 0
		.amdhsa_system_sgpr_workgroup_info 0
		.amdhsa_system_vgpr_workitem_id 0
		.amdhsa_next_free_vgpr 1
		.amdhsa_next_free_sgpr 0
		.amdhsa_accum_offset 4
		.amdhsa_reserve_vcc 0
		.amdhsa_reserve_flat_scratch 0
		.amdhsa_float_round_mode_32 0
		.amdhsa_float_round_mode_16_64 0
		.amdhsa_float_denorm_mode_32 3
		.amdhsa_float_denorm_mode_16_64 3
		.amdhsa_dx10_clamp 1
		.amdhsa_ieee_mode 1
		.amdhsa_fp16_overflow 0
		.amdhsa_tg_split 0
		.amdhsa_exception_fp_ieee_invalid_op 0
		.amdhsa_exception_fp_denorm_src 0
		.amdhsa_exception_fp_ieee_div_zero 0
		.amdhsa_exception_fp_ieee_overflow 0
		.amdhsa_exception_fp_ieee_underflow 0
		.amdhsa_exception_fp_ieee_inexact 0
		.amdhsa_exception_int_div_zero 0
	.end_amdhsa_kernel
	.section	.text._ZN7rocprim17ROCPRIM_400000_NS6detail17trampoline_kernelINS0_14default_configENS1_22reduce_config_selectorIN6thrust23THRUST_200600_302600_NS5tupleIblNS6_9null_typeES8_S8_S8_S8_S8_S8_S8_EEEEZNS1_11reduce_implILb1ES3_NS6_12zip_iteratorINS7_INS6_11hip_rocprim26transform_input_iterator_tIbNSD_35transform_pair_of_input_iterators_tIbNS6_6detail15normal_iteratorINS6_10device_ptrIKtEEEESL_NS6_8equal_toItEEEENSG_9not_fun_tINSD_8identityEEEEENSD_19counting_iterator_tIlEES8_S8_S8_S8_S8_S8_S8_S8_EEEEPS9_S9_NSD_9__find_if7functorIS9_EEEE10hipError_tPvRmT1_T2_T3_mT4_P12ihipStream_tbEUlT_E1_NS1_11comp_targetILNS1_3genE0ELNS1_11target_archE4294967295ELNS1_3gpuE0ELNS1_3repE0EEENS1_30default_config_static_selectorELNS0_4arch9wavefront6targetE1EEEvS14_,"axG",@progbits,_ZN7rocprim17ROCPRIM_400000_NS6detail17trampoline_kernelINS0_14default_configENS1_22reduce_config_selectorIN6thrust23THRUST_200600_302600_NS5tupleIblNS6_9null_typeES8_S8_S8_S8_S8_S8_S8_EEEEZNS1_11reduce_implILb1ES3_NS6_12zip_iteratorINS7_INS6_11hip_rocprim26transform_input_iterator_tIbNSD_35transform_pair_of_input_iterators_tIbNS6_6detail15normal_iteratorINS6_10device_ptrIKtEEEESL_NS6_8equal_toItEEEENSG_9not_fun_tINSD_8identityEEEEENSD_19counting_iterator_tIlEES8_S8_S8_S8_S8_S8_S8_S8_EEEEPS9_S9_NSD_9__find_if7functorIS9_EEEE10hipError_tPvRmT1_T2_T3_mT4_P12ihipStream_tbEUlT_E1_NS1_11comp_targetILNS1_3genE0ELNS1_11target_archE4294967295ELNS1_3gpuE0ELNS1_3repE0EEENS1_30default_config_static_selectorELNS0_4arch9wavefront6targetE1EEEvS14_,comdat
.Lfunc_end197:
	.size	_ZN7rocprim17ROCPRIM_400000_NS6detail17trampoline_kernelINS0_14default_configENS1_22reduce_config_selectorIN6thrust23THRUST_200600_302600_NS5tupleIblNS6_9null_typeES8_S8_S8_S8_S8_S8_S8_EEEEZNS1_11reduce_implILb1ES3_NS6_12zip_iteratorINS7_INS6_11hip_rocprim26transform_input_iterator_tIbNSD_35transform_pair_of_input_iterators_tIbNS6_6detail15normal_iteratorINS6_10device_ptrIKtEEEESL_NS6_8equal_toItEEEENSG_9not_fun_tINSD_8identityEEEEENSD_19counting_iterator_tIlEES8_S8_S8_S8_S8_S8_S8_S8_EEEEPS9_S9_NSD_9__find_if7functorIS9_EEEE10hipError_tPvRmT1_T2_T3_mT4_P12ihipStream_tbEUlT_E1_NS1_11comp_targetILNS1_3genE0ELNS1_11target_archE4294967295ELNS1_3gpuE0ELNS1_3repE0EEENS1_30default_config_static_selectorELNS0_4arch9wavefront6targetE1EEEvS14_, .Lfunc_end197-_ZN7rocprim17ROCPRIM_400000_NS6detail17trampoline_kernelINS0_14default_configENS1_22reduce_config_selectorIN6thrust23THRUST_200600_302600_NS5tupleIblNS6_9null_typeES8_S8_S8_S8_S8_S8_S8_EEEEZNS1_11reduce_implILb1ES3_NS6_12zip_iteratorINS7_INS6_11hip_rocprim26transform_input_iterator_tIbNSD_35transform_pair_of_input_iterators_tIbNS6_6detail15normal_iteratorINS6_10device_ptrIKtEEEESL_NS6_8equal_toItEEEENSG_9not_fun_tINSD_8identityEEEEENSD_19counting_iterator_tIlEES8_S8_S8_S8_S8_S8_S8_S8_EEEEPS9_S9_NSD_9__find_if7functorIS9_EEEE10hipError_tPvRmT1_T2_T3_mT4_P12ihipStream_tbEUlT_E1_NS1_11comp_targetILNS1_3genE0ELNS1_11target_archE4294967295ELNS1_3gpuE0ELNS1_3repE0EEENS1_30default_config_static_selectorELNS0_4arch9wavefront6targetE1EEEvS14_
                                        ; -- End function
	.section	.AMDGPU.csdata,"",@progbits
; Kernel info:
; codeLenInByte = 0
; NumSgprs: 4
; NumVgprs: 0
; NumAgprs: 0
; TotalNumVgprs: 0
; ScratchSize: 0
; MemoryBound: 0
; FloatMode: 240
; IeeeMode: 1
; LDSByteSize: 0 bytes/workgroup (compile time only)
; SGPRBlocks: 0
; VGPRBlocks: 0
; NumSGPRsForWavesPerEU: 4
; NumVGPRsForWavesPerEU: 1
; AccumOffset: 4
; Occupancy: 8
; WaveLimiterHint : 0
; COMPUTE_PGM_RSRC2:SCRATCH_EN: 0
; COMPUTE_PGM_RSRC2:USER_SGPR: 6
; COMPUTE_PGM_RSRC2:TRAP_HANDLER: 0
; COMPUTE_PGM_RSRC2:TGID_X_EN: 1
; COMPUTE_PGM_RSRC2:TGID_Y_EN: 0
; COMPUTE_PGM_RSRC2:TGID_Z_EN: 0
; COMPUTE_PGM_RSRC2:TIDIG_COMP_CNT: 0
; COMPUTE_PGM_RSRC3_GFX90A:ACCUM_OFFSET: 0
; COMPUTE_PGM_RSRC3_GFX90A:TG_SPLIT: 0
	.section	.text._ZN7rocprim17ROCPRIM_400000_NS6detail17trampoline_kernelINS0_14default_configENS1_22reduce_config_selectorIN6thrust23THRUST_200600_302600_NS5tupleIblNS6_9null_typeES8_S8_S8_S8_S8_S8_S8_EEEEZNS1_11reduce_implILb1ES3_NS6_12zip_iteratorINS7_INS6_11hip_rocprim26transform_input_iterator_tIbNSD_35transform_pair_of_input_iterators_tIbNS6_6detail15normal_iteratorINS6_10device_ptrIKtEEEESL_NS6_8equal_toItEEEENSG_9not_fun_tINSD_8identityEEEEENSD_19counting_iterator_tIlEES8_S8_S8_S8_S8_S8_S8_S8_EEEEPS9_S9_NSD_9__find_if7functorIS9_EEEE10hipError_tPvRmT1_T2_T3_mT4_P12ihipStream_tbEUlT_E1_NS1_11comp_targetILNS1_3genE5ELNS1_11target_archE942ELNS1_3gpuE9ELNS1_3repE0EEENS1_30default_config_static_selectorELNS0_4arch9wavefront6targetE1EEEvS14_,"axG",@progbits,_ZN7rocprim17ROCPRIM_400000_NS6detail17trampoline_kernelINS0_14default_configENS1_22reduce_config_selectorIN6thrust23THRUST_200600_302600_NS5tupleIblNS6_9null_typeES8_S8_S8_S8_S8_S8_S8_EEEEZNS1_11reduce_implILb1ES3_NS6_12zip_iteratorINS7_INS6_11hip_rocprim26transform_input_iterator_tIbNSD_35transform_pair_of_input_iterators_tIbNS6_6detail15normal_iteratorINS6_10device_ptrIKtEEEESL_NS6_8equal_toItEEEENSG_9not_fun_tINSD_8identityEEEEENSD_19counting_iterator_tIlEES8_S8_S8_S8_S8_S8_S8_S8_EEEEPS9_S9_NSD_9__find_if7functorIS9_EEEE10hipError_tPvRmT1_T2_T3_mT4_P12ihipStream_tbEUlT_E1_NS1_11comp_targetILNS1_3genE5ELNS1_11target_archE942ELNS1_3gpuE9ELNS1_3repE0EEENS1_30default_config_static_selectorELNS0_4arch9wavefront6targetE1EEEvS14_,comdat
	.protected	_ZN7rocprim17ROCPRIM_400000_NS6detail17trampoline_kernelINS0_14default_configENS1_22reduce_config_selectorIN6thrust23THRUST_200600_302600_NS5tupleIblNS6_9null_typeES8_S8_S8_S8_S8_S8_S8_EEEEZNS1_11reduce_implILb1ES3_NS6_12zip_iteratorINS7_INS6_11hip_rocprim26transform_input_iterator_tIbNSD_35transform_pair_of_input_iterators_tIbNS6_6detail15normal_iteratorINS6_10device_ptrIKtEEEESL_NS6_8equal_toItEEEENSG_9not_fun_tINSD_8identityEEEEENSD_19counting_iterator_tIlEES8_S8_S8_S8_S8_S8_S8_S8_EEEEPS9_S9_NSD_9__find_if7functorIS9_EEEE10hipError_tPvRmT1_T2_T3_mT4_P12ihipStream_tbEUlT_E1_NS1_11comp_targetILNS1_3genE5ELNS1_11target_archE942ELNS1_3gpuE9ELNS1_3repE0EEENS1_30default_config_static_selectorELNS0_4arch9wavefront6targetE1EEEvS14_ ; -- Begin function _ZN7rocprim17ROCPRIM_400000_NS6detail17trampoline_kernelINS0_14default_configENS1_22reduce_config_selectorIN6thrust23THRUST_200600_302600_NS5tupleIblNS6_9null_typeES8_S8_S8_S8_S8_S8_S8_EEEEZNS1_11reduce_implILb1ES3_NS6_12zip_iteratorINS7_INS6_11hip_rocprim26transform_input_iterator_tIbNSD_35transform_pair_of_input_iterators_tIbNS6_6detail15normal_iteratorINS6_10device_ptrIKtEEEESL_NS6_8equal_toItEEEENSG_9not_fun_tINSD_8identityEEEEENSD_19counting_iterator_tIlEES8_S8_S8_S8_S8_S8_S8_S8_EEEEPS9_S9_NSD_9__find_if7functorIS9_EEEE10hipError_tPvRmT1_T2_T3_mT4_P12ihipStream_tbEUlT_E1_NS1_11comp_targetILNS1_3genE5ELNS1_11target_archE942ELNS1_3gpuE9ELNS1_3repE0EEENS1_30default_config_static_selectorELNS0_4arch9wavefront6targetE1EEEvS14_
	.globl	_ZN7rocprim17ROCPRIM_400000_NS6detail17trampoline_kernelINS0_14default_configENS1_22reduce_config_selectorIN6thrust23THRUST_200600_302600_NS5tupleIblNS6_9null_typeES8_S8_S8_S8_S8_S8_S8_EEEEZNS1_11reduce_implILb1ES3_NS6_12zip_iteratorINS7_INS6_11hip_rocprim26transform_input_iterator_tIbNSD_35transform_pair_of_input_iterators_tIbNS6_6detail15normal_iteratorINS6_10device_ptrIKtEEEESL_NS6_8equal_toItEEEENSG_9not_fun_tINSD_8identityEEEEENSD_19counting_iterator_tIlEES8_S8_S8_S8_S8_S8_S8_S8_EEEEPS9_S9_NSD_9__find_if7functorIS9_EEEE10hipError_tPvRmT1_T2_T3_mT4_P12ihipStream_tbEUlT_E1_NS1_11comp_targetILNS1_3genE5ELNS1_11target_archE942ELNS1_3gpuE9ELNS1_3repE0EEENS1_30default_config_static_selectorELNS0_4arch9wavefront6targetE1EEEvS14_
	.p2align	8
	.type	_ZN7rocprim17ROCPRIM_400000_NS6detail17trampoline_kernelINS0_14default_configENS1_22reduce_config_selectorIN6thrust23THRUST_200600_302600_NS5tupleIblNS6_9null_typeES8_S8_S8_S8_S8_S8_S8_EEEEZNS1_11reduce_implILb1ES3_NS6_12zip_iteratorINS7_INS6_11hip_rocprim26transform_input_iterator_tIbNSD_35transform_pair_of_input_iterators_tIbNS6_6detail15normal_iteratorINS6_10device_ptrIKtEEEESL_NS6_8equal_toItEEEENSG_9not_fun_tINSD_8identityEEEEENSD_19counting_iterator_tIlEES8_S8_S8_S8_S8_S8_S8_S8_EEEEPS9_S9_NSD_9__find_if7functorIS9_EEEE10hipError_tPvRmT1_T2_T3_mT4_P12ihipStream_tbEUlT_E1_NS1_11comp_targetILNS1_3genE5ELNS1_11target_archE942ELNS1_3gpuE9ELNS1_3repE0EEENS1_30default_config_static_selectorELNS0_4arch9wavefront6targetE1EEEvS14_,@function
_ZN7rocprim17ROCPRIM_400000_NS6detail17trampoline_kernelINS0_14default_configENS1_22reduce_config_selectorIN6thrust23THRUST_200600_302600_NS5tupleIblNS6_9null_typeES8_S8_S8_S8_S8_S8_S8_EEEEZNS1_11reduce_implILb1ES3_NS6_12zip_iteratorINS7_INS6_11hip_rocprim26transform_input_iterator_tIbNSD_35transform_pair_of_input_iterators_tIbNS6_6detail15normal_iteratorINS6_10device_ptrIKtEEEESL_NS6_8equal_toItEEEENSG_9not_fun_tINSD_8identityEEEEENSD_19counting_iterator_tIlEES8_S8_S8_S8_S8_S8_S8_S8_EEEEPS9_S9_NSD_9__find_if7functorIS9_EEEE10hipError_tPvRmT1_T2_T3_mT4_P12ihipStream_tbEUlT_E1_NS1_11comp_targetILNS1_3genE5ELNS1_11target_archE942ELNS1_3gpuE9ELNS1_3repE0EEENS1_30default_config_static_selectorELNS0_4arch9wavefront6targetE1EEEvS14_: ; @_ZN7rocprim17ROCPRIM_400000_NS6detail17trampoline_kernelINS0_14default_configENS1_22reduce_config_selectorIN6thrust23THRUST_200600_302600_NS5tupleIblNS6_9null_typeES8_S8_S8_S8_S8_S8_S8_EEEEZNS1_11reduce_implILb1ES3_NS6_12zip_iteratorINS7_INS6_11hip_rocprim26transform_input_iterator_tIbNSD_35transform_pair_of_input_iterators_tIbNS6_6detail15normal_iteratorINS6_10device_ptrIKtEEEESL_NS6_8equal_toItEEEENSG_9not_fun_tINSD_8identityEEEEENSD_19counting_iterator_tIlEES8_S8_S8_S8_S8_S8_S8_S8_EEEEPS9_S9_NSD_9__find_if7functorIS9_EEEE10hipError_tPvRmT1_T2_T3_mT4_P12ihipStream_tbEUlT_E1_NS1_11comp_targetILNS1_3genE5ELNS1_11target_archE942ELNS1_3gpuE9ELNS1_3repE0EEENS1_30default_config_static_selectorELNS0_4arch9wavefront6targetE1EEEvS14_
; %bb.0:
	.section	.rodata,"a",@progbits
	.p2align	6, 0x0
	.amdhsa_kernel _ZN7rocprim17ROCPRIM_400000_NS6detail17trampoline_kernelINS0_14default_configENS1_22reduce_config_selectorIN6thrust23THRUST_200600_302600_NS5tupleIblNS6_9null_typeES8_S8_S8_S8_S8_S8_S8_EEEEZNS1_11reduce_implILb1ES3_NS6_12zip_iteratorINS7_INS6_11hip_rocprim26transform_input_iterator_tIbNSD_35transform_pair_of_input_iterators_tIbNS6_6detail15normal_iteratorINS6_10device_ptrIKtEEEESL_NS6_8equal_toItEEEENSG_9not_fun_tINSD_8identityEEEEENSD_19counting_iterator_tIlEES8_S8_S8_S8_S8_S8_S8_S8_EEEEPS9_S9_NSD_9__find_if7functorIS9_EEEE10hipError_tPvRmT1_T2_T3_mT4_P12ihipStream_tbEUlT_E1_NS1_11comp_targetILNS1_3genE5ELNS1_11target_archE942ELNS1_3gpuE9ELNS1_3repE0EEENS1_30default_config_static_selectorELNS0_4arch9wavefront6targetE1EEEvS14_
		.amdhsa_group_segment_fixed_size 0
		.amdhsa_private_segment_fixed_size 0
		.amdhsa_kernarg_size 88
		.amdhsa_user_sgpr_count 6
		.amdhsa_user_sgpr_private_segment_buffer 1
		.amdhsa_user_sgpr_dispatch_ptr 0
		.amdhsa_user_sgpr_queue_ptr 0
		.amdhsa_user_sgpr_kernarg_segment_ptr 1
		.amdhsa_user_sgpr_dispatch_id 0
		.amdhsa_user_sgpr_flat_scratch_init 0
		.amdhsa_user_sgpr_kernarg_preload_length 0
		.amdhsa_user_sgpr_kernarg_preload_offset 0
		.amdhsa_user_sgpr_private_segment_size 0
		.amdhsa_uses_dynamic_stack 0
		.amdhsa_system_sgpr_private_segment_wavefront_offset 0
		.amdhsa_system_sgpr_workgroup_id_x 1
		.amdhsa_system_sgpr_workgroup_id_y 0
		.amdhsa_system_sgpr_workgroup_id_z 0
		.amdhsa_system_sgpr_workgroup_info 0
		.amdhsa_system_vgpr_workitem_id 0
		.amdhsa_next_free_vgpr 1
		.amdhsa_next_free_sgpr 0
		.amdhsa_accum_offset 4
		.amdhsa_reserve_vcc 0
		.amdhsa_reserve_flat_scratch 0
		.amdhsa_float_round_mode_32 0
		.amdhsa_float_round_mode_16_64 0
		.amdhsa_float_denorm_mode_32 3
		.amdhsa_float_denorm_mode_16_64 3
		.amdhsa_dx10_clamp 1
		.amdhsa_ieee_mode 1
		.amdhsa_fp16_overflow 0
		.amdhsa_tg_split 0
		.amdhsa_exception_fp_ieee_invalid_op 0
		.amdhsa_exception_fp_denorm_src 0
		.amdhsa_exception_fp_ieee_div_zero 0
		.amdhsa_exception_fp_ieee_overflow 0
		.amdhsa_exception_fp_ieee_underflow 0
		.amdhsa_exception_fp_ieee_inexact 0
		.amdhsa_exception_int_div_zero 0
	.end_amdhsa_kernel
	.section	.text._ZN7rocprim17ROCPRIM_400000_NS6detail17trampoline_kernelINS0_14default_configENS1_22reduce_config_selectorIN6thrust23THRUST_200600_302600_NS5tupleIblNS6_9null_typeES8_S8_S8_S8_S8_S8_S8_EEEEZNS1_11reduce_implILb1ES3_NS6_12zip_iteratorINS7_INS6_11hip_rocprim26transform_input_iterator_tIbNSD_35transform_pair_of_input_iterators_tIbNS6_6detail15normal_iteratorINS6_10device_ptrIKtEEEESL_NS6_8equal_toItEEEENSG_9not_fun_tINSD_8identityEEEEENSD_19counting_iterator_tIlEES8_S8_S8_S8_S8_S8_S8_S8_EEEEPS9_S9_NSD_9__find_if7functorIS9_EEEE10hipError_tPvRmT1_T2_T3_mT4_P12ihipStream_tbEUlT_E1_NS1_11comp_targetILNS1_3genE5ELNS1_11target_archE942ELNS1_3gpuE9ELNS1_3repE0EEENS1_30default_config_static_selectorELNS0_4arch9wavefront6targetE1EEEvS14_,"axG",@progbits,_ZN7rocprim17ROCPRIM_400000_NS6detail17trampoline_kernelINS0_14default_configENS1_22reduce_config_selectorIN6thrust23THRUST_200600_302600_NS5tupleIblNS6_9null_typeES8_S8_S8_S8_S8_S8_S8_EEEEZNS1_11reduce_implILb1ES3_NS6_12zip_iteratorINS7_INS6_11hip_rocprim26transform_input_iterator_tIbNSD_35transform_pair_of_input_iterators_tIbNS6_6detail15normal_iteratorINS6_10device_ptrIKtEEEESL_NS6_8equal_toItEEEENSG_9not_fun_tINSD_8identityEEEEENSD_19counting_iterator_tIlEES8_S8_S8_S8_S8_S8_S8_S8_EEEEPS9_S9_NSD_9__find_if7functorIS9_EEEE10hipError_tPvRmT1_T2_T3_mT4_P12ihipStream_tbEUlT_E1_NS1_11comp_targetILNS1_3genE5ELNS1_11target_archE942ELNS1_3gpuE9ELNS1_3repE0EEENS1_30default_config_static_selectorELNS0_4arch9wavefront6targetE1EEEvS14_,comdat
.Lfunc_end198:
	.size	_ZN7rocprim17ROCPRIM_400000_NS6detail17trampoline_kernelINS0_14default_configENS1_22reduce_config_selectorIN6thrust23THRUST_200600_302600_NS5tupleIblNS6_9null_typeES8_S8_S8_S8_S8_S8_S8_EEEEZNS1_11reduce_implILb1ES3_NS6_12zip_iteratorINS7_INS6_11hip_rocprim26transform_input_iterator_tIbNSD_35transform_pair_of_input_iterators_tIbNS6_6detail15normal_iteratorINS6_10device_ptrIKtEEEESL_NS6_8equal_toItEEEENSG_9not_fun_tINSD_8identityEEEEENSD_19counting_iterator_tIlEES8_S8_S8_S8_S8_S8_S8_S8_EEEEPS9_S9_NSD_9__find_if7functorIS9_EEEE10hipError_tPvRmT1_T2_T3_mT4_P12ihipStream_tbEUlT_E1_NS1_11comp_targetILNS1_3genE5ELNS1_11target_archE942ELNS1_3gpuE9ELNS1_3repE0EEENS1_30default_config_static_selectorELNS0_4arch9wavefront6targetE1EEEvS14_, .Lfunc_end198-_ZN7rocprim17ROCPRIM_400000_NS6detail17trampoline_kernelINS0_14default_configENS1_22reduce_config_selectorIN6thrust23THRUST_200600_302600_NS5tupleIblNS6_9null_typeES8_S8_S8_S8_S8_S8_S8_EEEEZNS1_11reduce_implILb1ES3_NS6_12zip_iteratorINS7_INS6_11hip_rocprim26transform_input_iterator_tIbNSD_35transform_pair_of_input_iterators_tIbNS6_6detail15normal_iteratorINS6_10device_ptrIKtEEEESL_NS6_8equal_toItEEEENSG_9not_fun_tINSD_8identityEEEEENSD_19counting_iterator_tIlEES8_S8_S8_S8_S8_S8_S8_S8_EEEEPS9_S9_NSD_9__find_if7functorIS9_EEEE10hipError_tPvRmT1_T2_T3_mT4_P12ihipStream_tbEUlT_E1_NS1_11comp_targetILNS1_3genE5ELNS1_11target_archE942ELNS1_3gpuE9ELNS1_3repE0EEENS1_30default_config_static_selectorELNS0_4arch9wavefront6targetE1EEEvS14_
                                        ; -- End function
	.section	.AMDGPU.csdata,"",@progbits
; Kernel info:
; codeLenInByte = 0
; NumSgprs: 4
; NumVgprs: 0
; NumAgprs: 0
; TotalNumVgprs: 0
; ScratchSize: 0
; MemoryBound: 0
; FloatMode: 240
; IeeeMode: 1
; LDSByteSize: 0 bytes/workgroup (compile time only)
; SGPRBlocks: 0
; VGPRBlocks: 0
; NumSGPRsForWavesPerEU: 4
; NumVGPRsForWavesPerEU: 1
; AccumOffset: 4
; Occupancy: 8
; WaveLimiterHint : 0
; COMPUTE_PGM_RSRC2:SCRATCH_EN: 0
; COMPUTE_PGM_RSRC2:USER_SGPR: 6
; COMPUTE_PGM_RSRC2:TRAP_HANDLER: 0
; COMPUTE_PGM_RSRC2:TGID_X_EN: 1
; COMPUTE_PGM_RSRC2:TGID_Y_EN: 0
; COMPUTE_PGM_RSRC2:TGID_Z_EN: 0
; COMPUTE_PGM_RSRC2:TIDIG_COMP_CNT: 0
; COMPUTE_PGM_RSRC3_GFX90A:ACCUM_OFFSET: 0
; COMPUTE_PGM_RSRC3_GFX90A:TG_SPLIT: 0
	.section	.text._ZN7rocprim17ROCPRIM_400000_NS6detail17trampoline_kernelINS0_14default_configENS1_22reduce_config_selectorIN6thrust23THRUST_200600_302600_NS5tupleIblNS6_9null_typeES8_S8_S8_S8_S8_S8_S8_EEEEZNS1_11reduce_implILb1ES3_NS6_12zip_iteratorINS7_INS6_11hip_rocprim26transform_input_iterator_tIbNSD_35transform_pair_of_input_iterators_tIbNS6_6detail15normal_iteratorINS6_10device_ptrIKtEEEESL_NS6_8equal_toItEEEENSG_9not_fun_tINSD_8identityEEEEENSD_19counting_iterator_tIlEES8_S8_S8_S8_S8_S8_S8_S8_EEEEPS9_S9_NSD_9__find_if7functorIS9_EEEE10hipError_tPvRmT1_T2_T3_mT4_P12ihipStream_tbEUlT_E1_NS1_11comp_targetILNS1_3genE4ELNS1_11target_archE910ELNS1_3gpuE8ELNS1_3repE0EEENS1_30default_config_static_selectorELNS0_4arch9wavefront6targetE1EEEvS14_,"axG",@progbits,_ZN7rocprim17ROCPRIM_400000_NS6detail17trampoline_kernelINS0_14default_configENS1_22reduce_config_selectorIN6thrust23THRUST_200600_302600_NS5tupleIblNS6_9null_typeES8_S8_S8_S8_S8_S8_S8_EEEEZNS1_11reduce_implILb1ES3_NS6_12zip_iteratorINS7_INS6_11hip_rocprim26transform_input_iterator_tIbNSD_35transform_pair_of_input_iterators_tIbNS6_6detail15normal_iteratorINS6_10device_ptrIKtEEEESL_NS6_8equal_toItEEEENSG_9not_fun_tINSD_8identityEEEEENSD_19counting_iterator_tIlEES8_S8_S8_S8_S8_S8_S8_S8_EEEEPS9_S9_NSD_9__find_if7functorIS9_EEEE10hipError_tPvRmT1_T2_T3_mT4_P12ihipStream_tbEUlT_E1_NS1_11comp_targetILNS1_3genE4ELNS1_11target_archE910ELNS1_3gpuE8ELNS1_3repE0EEENS1_30default_config_static_selectorELNS0_4arch9wavefront6targetE1EEEvS14_,comdat
	.protected	_ZN7rocprim17ROCPRIM_400000_NS6detail17trampoline_kernelINS0_14default_configENS1_22reduce_config_selectorIN6thrust23THRUST_200600_302600_NS5tupleIblNS6_9null_typeES8_S8_S8_S8_S8_S8_S8_EEEEZNS1_11reduce_implILb1ES3_NS6_12zip_iteratorINS7_INS6_11hip_rocprim26transform_input_iterator_tIbNSD_35transform_pair_of_input_iterators_tIbNS6_6detail15normal_iteratorINS6_10device_ptrIKtEEEESL_NS6_8equal_toItEEEENSG_9not_fun_tINSD_8identityEEEEENSD_19counting_iterator_tIlEES8_S8_S8_S8_S8_S8_S8_S8_EEEEPS9_S9_NSD_9__find_if7functorIS9_EEEE10hipError_tPvRmT1_T2_T3_mT4_P12ihipStream_tbEUlT_E1_NS1_11comp_targetILNS1_3genE4ELNS1_11target_archE910ELNS1_3gpuE8ELNS1_3repE0EEENS1_30default_config_static_selectorELNS0_4arch9wavefront6targetE1EEEvS14_ ; -- Begin function _ZN7rocprim17ROCPRIM_400000_NS6detail17trampoline_kernelINS0_14default_configENS1_22reduce_config_selectorIN6thrust23THRUST_200600_302600_NS5tupleIblNS6_9null_typeES8_S8_S8_S8_S8_S8_S8_EEEEZNS1_11reduce_implILb1ES3_NS6_12zip_iteratorINS7_INS6_11hip_rocprim26transform_input_iterator_tIbNSD_35transform_pair_of_input_iterators_tIbNS6_6detail15normal_iteratorINS6_10device_ptrIKtEEEESL_NS6_8equal_toItEEEENSG_9not_fun_tINSD_8identityEEEEENSD_19counting_iterator_tIlEES8_S8_S8_S8_S8_S8_S8_S8_EEEEPS9_S9_NSD_9__find_if7functorIS9_EEEE10hipError_tPvRmT1_T2_T3_mT4_P12ihipStream_tbEUlT_E1_NS1_11comp_targetILNS1_3genE4ELNS1_11target_archE910ELNS1_3gpuE8ELNS1_3repE0EEENS1_30default_config_static_selectorELNS0_4arch9wavefront6targetE1EEEvS14_
	.globl	_ZN7rocprim17ROCPRIM_400000_NS6detail17trampoline_kernelINS0_14default_configENS1_22reduce_config_selectorIN6thrust23THRUST_200600_302600_NS5tupleIblNS6_9null_typeES8_S8_S8_S8_S8_S8_S8_EEEEZNS1_11reduce_implILb1ES3_NS6_12zip_iteratorINS7_INS6_11hip_rocprim26transform_input_iterator_tIbNSD_35transform_pair_of_input_iterators_tIbNS6_6detail15normal_iteratorINS6_10device_ptrIKtEEEESL_NS6_8equal_toItEEEENSG_9not_fun_tINSD_8identityEEEEENSD_19counting_iterator_tIlEES8_S8_S8_S8_S8_S8_S8_S8_EEEEPS9_S9_NSD_9__find_if7functorIS9_EEEE10hipError_tPvRmT1_T2_T3_mT4_P12ihipStream_tbEUlT_E1_NS1_11comp_targetILNS1_3genE4ELNS1_11target_archE910ELNS1_3gpuE8ELNS1_3repE0EEENS1_30default_config_static_selectorELNS0_4arch9wavefront6targetE1EEEvS14_
	.p2align	8
	.type	_ZN7rocprim17ROCPRIM_400000_NS6detail17trampoline_kernelINS0_14default_configENS1_22reduce_config_selectorIN6thrust23THRUST_200600_302600_NS5tupleIblNS6_9null_typeES8_S8_S8_S8_S8_S8_S8_EEEEZNS1_11reduce_implILb1ES3_NS6_12zip_iteratorINS7_INS6_11hip_rocprim26transform_input_iterator_tIbNSD_35transform_pair_of_input_iterators_tIbNS6_6detail15normal_iteratorINS6_10device_ptrIKtEEEESL_NS6_8equal_toItEEEENSG_9not_fun_tINSD_8identityEEEEENSD_19counting_iterator_tIlEES8_S8_S8_S8_S8_S8_S8_S8_EEEEPS9_S9_NSD_9__find_if7functorIS9_EEEE10hipError_tPvRmT1_T2_T3_mT4_P12ihipStream_tbEUlT_E1_NS1_11comp_targetILNS1_3genE4ELNS1_11target_archE910ELNS1_3gpuE8ELNS1_3repE0EEENS1_30default_config_static_selectorELNS0_4arch9wavefront6targetE1EEEvS14_,@function
_ZN7rocprim17ROCPRIM_400000_NS6detail17trampoline_kernelINS0_14default_configENS1_22reduce_config_selectorIN6thrust23THRUST_200600_302600_NS5tupleIblNS6_9null_typeES8_S8_S8_S8_S8_S8_S8_EEEEZNS1_11reduce_implILb1ES3_NS6_12zip_iteratorINS7_INS6_11hip_rocprim26transform_input_iterator_tIbNSD_35transform_pair_of_input_iterators_tIbNS6_6detail15normal_iteratorINS6_10device_ptrIKtEEEESL_NS6_8equal_toItEEEENSG_9not_fun_tINSD_8identityEEEEENSD_19counting_iterator_tIlEES8_S8_S8_S8_S8_S8_S8_S8_EEEEPS9_S9_NSD_9__find_if7functorIS9_EEEE10hipError_tPvRmT1_T2_T3_mT4_P12ihipStream_tbEUlT_E1_NS1_11comp_targetILNS1_3genE4ELNS1_11target_archE910ELNS1_3gpuE8ELNS1_3repE0EEENS1_30default_config_static_selectorELNS0_4arch9wavefront6targetE1EEEvS14_: ; @_ZN7rocprim17ROCPRIM_400000_NS6detail17trampoline_kernelINS0_14default_configENS1_22reduce_config_selectorIN6thrust23THRUST_200600_302600_NS5tupleIblNS6_9null_typeES8_S8_S8_S8_S8_S8_S8_EEEEZNS1_11reduce_implILb1ES3_NS6_12zip_iteratorINS7_INS6_11hip_rocprim26transform_input_iterator_tIbNSD_35transform_pair_of_input_iterators_tIbNS6_6detail15normal_iteratorINS6_10device_ptrIKtEEEESL_NS6_8equal_toItEEEENSG_9not_fun_tINSD_8identityEEEEENSD_19counting_iterator_tIlEES8_S8_S8_S8_S8_S8_S8_S8_EEEEPS9_S9_NSD_9__find_if7functorIS9_EEEE10hipError_tPvRmT1_T2_T3_mT4_P12ihipStream_tbEUlT_E1_NS1_11comp_targetILNS1_3genE4ELNS1_11target_archE910ELNS1_3gpuE8ELNS1_3repE0EEENS1_30default_config_static_selectorELNS0_4arch9wavefront6targetE1EEEvS14_
; %bb.0:
	s_load_dword s38, s[4:5], 0x4
	s_load_dwordx4 s[24:27], s[4:5], 0x8
	s_load_dwordx4 s[20:23], s[4:5], 0x28
	s_load_dword s33, s[4:5], 0x40
	s_load_dwordx2 s[18:19], s[4:5], 0x48
	s_waitcnt lgkmcnt(0)
	s_cmp_lt_i32 s38, 4
	s_cbranch_scc1 .LBB199_21
; %bb.1:
	s_cmp_gt_i32 s38, 7
	s_cbranch_scc0 .LBB199_22
; %bb.2:
	s_cmp_eq_u32 s38, 8
	s_mov_b64 s[28:29], 0
	s_cbranch_scc0 .LBB199_23
; %bb.3:
	s_mov_b32 s7, 0
	s_lshl_b32 s36, s6, 11
	s_mov_b32 s37, s7
	s_lshr_b64 s[0:1], s[22:23], 11
	s_lshl_b64 s[2:3], s[36:37], 1
	s_add_u32 s30, s24, s2
	s_addc_u32 s31, s25, s3
	s_add_u32 s34, s26, s2
	s_addc_u32 s35, s27, s3
	;; [unrolled: 2-line block ×3, first 2 shown]
	s_cmp_lg_u64 s[0:1], s[6:7]
	s_cbranch_scc0 .LBB199_44
; %bb.4:
	v_lshlrev_b32_e32 v1, 1, v0
	global_load_ushort v2, v1, s[30:31] offset:512
	global_load_ushort v3, v1, s[30:31] offset:1024
	;; [unrolled: 1-line block ×14, first 2 shown]
	global_load_ushort v16, v1, s[30:31]
	s_nop 0
	global_load_ushort v1, v1, s[34:35]
	v_mov_b32_e32 v17, s40
	v_add_co_u32_e32 v25, vcc, s39, v0
	v_mov_b32_e32 v18, 0x200
	v_mov_b32_e32 v19, 0x100
	v_addc_co_u32_e32 v17, vcc, 0, v17, vcc
	v_mov_b32_e32 v20, 0x400
	v_mov_b32_e32 v21, 0x300
	;; [unrolled: 1-line block ×5, first 2 shown]
	s_waitcnt vmcnt(13)
	v_cmp_ne_u16_e32 vcc, v3, v4
	s_waitcnt vmcnt(11)
	v_cmp_ne_u16_e64 s[0:1], v5, v6
	s_waitcnt vmcnt(8)
	v_cmp_ne_u16_e64 s[2:3], v7, v9
	;; [unrolled: 2-line block ×4, first 2 shown]
	v_cndmask_b32_e64 v2, v18, v19, s[10:11]
	s_waitcnt vmcnt(4)
	v_cmp_ne_u16_e64 s[12:13], v12, v13
	v_cndmask_b32_e64 v3, v20, v21, s[12:13]
	s_waitcnt vmcnt(2)
	v_cmp_ne_u16_e64 s[14:15], v14, v15
	v_cndmask_b32_e64 v4, v22, v23, s[14:15]
	s_waitcnt vmcnt(0)
	v_cmp_ne_u16_e64 s[16:17], v16, v1
	s_or_b64 s[10:11], s[16:17], s[10:11]
	s_or_b64 vcc, s[10:11], vcc
	v_cndmask_b32_e64 v1, v2, 0, s[16:17]
	s_or_b64 s[10:11], vcc, s[12:13]
	v_cndmask_b32_e32 v1, v3, v1, vcc
	s_or_b64 vcc, s[10:11], s[0:1]
	s_or_b64 s[0:1], vcc, s[14:15]
	v_cndmask_b32_e32 v1, v4, v1, vcc
	s_or_b64 vcc, s[0:1], s[2:3]
	v_cndmask_b32_e32 v1, v24, v1, vcc
	v_add_co_u32_e64 v2, s[0:1], v25, v1
	v_addc_co_u32_e64 v3, s[0:1], 0, v17, s[0:1]
	s_or_b64 s[0:1], vcc, s[8:9]
	v_cndmask_b32_e64 v1, 0, 1, s[0:1]
	v_mov_b32_dpp v4, v2 quad_perm:[1,0,3,2] row_mask:0xf bank_mask:0xf bound_ctrl:1
	v_mov_b32_dpp v5, v3 quad_perm:[1,0,3,2] row_mask:0xf bank_mask:0xf bound_ctrl:1
	;; [unrolled: 1-line block ×3, first 2 shown]
	v_and_b32_e32 v7, 1, v6
	v_cmp_eq_u32_e32 vcc, 1, v7
	s_and_saveexec_b64 s[2:3], vcc
; %bb.5:
	v_cmp_lt_i64_e32 vcc, v[2:3], v[4:5]
	v_cndmask_b32_e64 v6, v6, 1, s[0:1]
	s_and_b64 vcc, s[0:1], vcc
	v_cndmask_b32_e32 v2, v4, v2, vcc
	v_and_b32_e32 v4, 1, v6
	v_cndmask_b32_e32 v3, v5, v3, vcc
	v_cmp_eq_u32_e32 vcc, 1, v4
	s_andn2_b64 s[0:1], s[0:1], exec
	s_and_b64 s[8:9], vcc, exec
	v_and_b32_e32 v1, 0xff, v6
	s_or_b64 s[0:1], s[0:1], s[8:9]
; %bb.6:
	s_or_b64 exec, exec, s[2:3]
	v_mov_b32_dpp v6, v1 quad_perm:[2,3,0,1] row_mask:0xf bank_mask:0xf bound_ctrl:1
	v_and_b32_e32 v7, 1, v6
	v_mov_b32_dpp v4, v2 quad_perm:[2,3,0,1] row_mask:0xf bank_mask:0xf bound_ctrl:1
	v_mov_b32_dpp v5, v3 quad_perm:[2,3,0,1] row_mask:0xf bank_mask:0xf bound_ctrl:1
	v_cmp_eq_u32_e32 vcc, 1, v7
	s_and_saveexec_b64 s[2:3], vcc
; %bb.7:
	v_cmp_lt_i64_e32 vcc, v[2:3], v[4:5]
	v_cndmask_b32_e64 v6, v6, 1, s[0:1]
	s_and_b64 vcc, s[0:1], vcc
	v_cndmask_b32_e32 v2, v4, v2, vcc
	v_and_b32_e32 v4, 1, v6
	v_cndmask_b32_e32 v3, v5, v3, vcc
	v_cmp_eq_u32_e32 vcc, 1, v4
	s_andn2_b64 s[0:1], s[0:1], exec
	s_and_b64 s[8:9], vcc, exec
	v_and_b32_e32 v1, 0xff, v6
	s_or_b64 s[0:1], s[0:1], s[8:9]
; %bb.8:
	s_or_b64 exec, exec, s[2:3]
	v_mov_b32_dpp v6, v1 row_ror:4 row_mask:0xf bank_mask:0xf bound_ctrl:1
	v_and_b32_e32 v7, 1, v6
	v_mov_b32_dpp v4, v2 row_ror:4 row_mask:0xf bank_mask:0xf bound_ctrl:1
	v_mov_b32_dpp v5, v3 row_ror:4 row_mask:0xf bank_mask:0xf bound_ctrl:1
	v_cmp_eq_u32_e32 vcc, 1, v7
	s_and_saveexec_b64 s[2:3], vcc
; %bb.9:
	v_cmp_lt_i64_e32 vcc, v[2:3], v[4:5]
	v_cndmask_b32_e64 v6, v6, 1, s[0:1]
	s_and_b64 vcc, s[0:1], vcc
	v_cndmask_b32_e32 v2, v4, v2, vcc
	v_and_b32_e32 v4, 1, v6
	v_cndmask_b32_e32 v3, v5, v3, vcc
	v_cmp_eq_u32_e32 vcc, 1, v4
	s_andn2_b64 s[0:1], s[0:1], exec
	s_and_b64 s[8:9], vcc, exec
	v_and_b32_e32 v1, 0xff, v6
	s_or_b64 s[0:1], s[0:1], s[8:9]
; %bb.10:
	s_or_b64 exec, exec, s[2:3]
	v_mov_b32_dpp v6, v1 row_ror:8 row_mask:0xf bank_mask:0xf bound_ctrl:1
	v_and_b32_e32 v7, 1, v6
	v_mov_b32_dpp v4, v2 row_ror:8 row_mask:0xf bank_mask:0xf bound_ctrl:1
	v_mov_b32_dpp v5, v3 row_ror:8 row_mask:0xf bank_mask:0xf bound_ctrl:1
	v_cmp_eq_u32_e32 vcc, 1, v7
	s_and_saveexec_b64 s[2:3], vcc
; %bb.11:
	v_cmp_lt_i64_e32 vcc, v[2:3], v[4:5]
	v_cndmask_b32_e64 v6, v6, 1, s[0:1]
	s_and_b64 vcc, s[0:1], vcc
	v_cndmask_b32_e32 v2, v4, v2, vcc
	v_and_b32_e32 v4, 1, v6
	v_cndmask_b32_e32 v3, v5, v3, vcc
	v_cmp_eq_u32_e32 vcc, 1, v4
	s_andn2_b64 s[0:1], s[0:1], exec
	s_and_b64 s[8:9], vcc, exec
	v_and_b32_e32 v1, 0xff, v6
	s_or_b64 s[0:1], s[0:1], s[8:9]
; %bb.12:
	s_or_b64 exec, exec, s[2:3]
	v_mov_b32_dpp v6, v1 row_bcast:15 row_mask:0xf bank_mask:0xf bound_ctrl:1
	v_and_b32_e32 v7, 1, v6
	v_mov_b32_dpp v4, v2 row_bcast:15 row_mask:0xf bank_mask:0xf bound_ctrl:1
	v_mov_b32_dpp v5, v3 row_bcast:15 row_mask:0xf bank_mask:0xf bound_ctrl:1
	v_cmp_eq_u32_e32 vcc, 1, v7
	s_and_saveexec_b64 s[2:3], vcc
; %bb.13:
	v_cmp_lt_i64_e32 vcc, v[2:3], v[4:5]
	v_cndmask_b32_e64 v6, v6, 1, s[0:1]
	s_and_b64 vcc, s[0:1], vcc
	v_cndmask_b32_e32 v2, v4, v2, vcc
	v_and_b32_e32 v4, 1, v6
	v_cndmask_b32_e32 v3, v5, v3, vcc
	v_cmp_eq_u32_e32 vcc, 1, v4
	s_andn2_b64 s[0:1], s[0:1], exec
	s_and_b64 s[8:9], vcc, exec
	v_and_b32_e32 v1, 0xff, v6
	s_or_b64 s[0:1], s[0:1], s[8:9]
; %bb.14:
	s_or_b64 exec, exec, s[2:3]
	v_mov_b32_dpp v6, v1 row_bcast:31 row_mask:0xf bank_mask:0xf bound_ctrl:1
	v_and_b32_e32 v7, 1, v6
	v_mov_b32_dpp v4, v2 row_bcast:31 row_mask:0xf bank_mask:0xf bound_ctrl:1
	v_mov_b32_dpp v5, v3 row_bcast:31 row_mask:0xf bank_mask:0xf bound_ctrl:1
	v_cmp_eq_u32_e32 vcc, 1, v7
	s_and_saveexec_b64 s[2:3], vcc
; %bb.15:
	v_cmp_lt_i64_e32 vcc, v[2:3], v[4:5]
	v_and_b32_e32 v1, 0xff, v6
	s_and_b64 vcc, s[0:1], vcc
	v_cndmask_b32_e32 v2, v4, v2, vcc
	v_cndmask_b32_e32 v3, v5, v3, vcc
	v_cndmask_b32_e64 v1, v1, 1, s[0:1]
; %bb.16:
	s_or_b64 exec, exec, s[2:3]
	v_mbcnt_lo_u32_b32 v4, -1, 0
	v_mbcnt_hi_u32_b32 v4, -1, v4
	v_bfrev_b32_e32 v5, 0.5
	v_lshl_or_b32 v5, v4, 2, v5
	ds_bpermute_b32 v7, v5, v1
	ds_bpermute_b32 v2, v5, v2
	;; [unrolled: 1-line block ×3, first 2 shown]
	v_cmp_eq_u32_e32 vcc, 0, v4
	s_and_saveexec_b64 s[0:1], vcc
	s_cbranch_execz .LBB199_18
; %bb.17:
	v_lshrrev_b32_e32 v1, 2, v0
	v_and_b32_e32 v1, 48, v1
	s_waitcnt lgkmcnt(2)
	ds_write_b8 v1, v7 offset:192
	s_waitcnt lgkmcnt(1)
	ds_write_b64 v1, v[2:3] offset:200
.LBB199_18:
	s_or_b64 exec, exec, s[0:1]
	v_cmp_gt_u32_e32 vcc, 64, v0
	s_waitcnt lgkmcnt(0)
	s_barrier
	s_and_saveexec_b64 s[2:3], vcc
	s_cbranch_execz .LBB199_20
; %bb.19:
	v_and_b32_e32 v1, 3, v4
	v_lshlrev_b32_e32 v2, 4, v1
	ds_read_u8 v5, v2 offset:192
	ds_read_b64 v[2:3], v2 offset:200
	v_cmp_ne_u32_e32 vcc, 3, v1
	v_addc_co_u32_e32 v6, vcc, 0, v4, vcc
	s_waitcnt lgkmcnt(1)
	v_and_b32_e32 v7, 0xff, v5
	v_lshlrev_b32_e32 v8, 2, v6
	ds_bpermute_b32 v9, v8, v7
	s_waitcnt lgkmcnt(1)
	ds_bpermute_b32 v6, v8, v2
	ds_bpermute_b32 v7, v8, v3
	v_and_b32_e32 v8, 1, v5
	s_waitcnt lgkmcnt(2)
	v_and_b32_e32 v10, 1, v9
	v_cmp_eq_u32_e64 s[0:1], 1, v10
	s_waitcnt lgkmcnt(0)
	v_cmp_lt_i64_e32 vcc, v[6:7], v[2:3]
	s_and_b64 vcc, s[0:1], vcc
	v_cndmask_b32_e64 v5, v5, 1, s[0:1]
	v_cndmask_b32_e32 v2, v2, v6, vcc
	v_cndmask_b32_e32 v3, v3, v7, vcc
	v_cmp_eq_u32_e32 vcc, 1, v8
	v_cndmask_b32_e32 v8, v9, v5, vcc
	v_cndmask_b32_e32 v3, v7, v3, vcc
	;; [unrolled: 1-line block ×3, first 2 shown]
	v_cmp_gt_u32_e32 vcc, 2, v1
	v_cndmask_b32_e64 v1, 0, 1, vcc
	v_lshlrev_b32_e32 v1, 1, v1
	v_and_b32_e32 v5, 0xff, v8
	v_add_lshl_u32 v1, v1, v4, 2
	ds_bpermute_b32 v6, v1, v5
	ds_bpermute_b32 v4, v1, v2
	;; [unrolled: 1-line block ×3, first 2 shown]
	v_and_b32_e32 v1, 1, v8
	s_waitcnt lgkmcnt(2)
	v_and_b32_e32 v7, 1, v6
	v_cmp_eq_u32_e64 s[0:1], 1, v7
	s_waitcnt lgkmcnt(0)
	v_cmp_lt_i64_e32 vcc, v[4:5], v[2:3]
	s_and_b64 vcc, s[0:1], vcc
	v_cndmask_b32_e64 v7, v8, 1, s[0:1]
	v_cndmask_b32_e32 v2, v2, v4, vcc
	v_cndmask_b32_e32 v3, v3, v5, vcc
	v_cmp_eq_u32_e32 vcc, 1, v1
	v_cndmask_b32_e32 v1, v6, v7, vcc
	v_cndmask_b32_e32 v3, v5, v3, vcc
	;; [unrolled: 1-line block ×3, first 2 shown]
	v_and_b32_e32 v7, 0xff, v1
.LBB199_20:
	s_or_b64 exec, exec, s[2:3]
	s_branch .LBB199_89
.LBB199_21:
	s_mov_b64 s[10:11], 0
                                        ; implicit-def: $vgpr4_vgpr5
                                        ; implicit-def: $vgpr1
	s_cbranch_execnz .LBB199_133
	s_branch .LBB199_208
.LBB199_22:
	s_mov_b64 s[28:29], -1
.LBB199_23:
	s_mov_b64 s[10:11], 0
                                        ; implicit-def: $vgpr4_vgpr5
                                        ; implicit-def: $vgpr1
	s_and_b64 vcc, exec, s[28:29]
	s_cbranch_vccz .LBB199_94
.LBB199_24:
	s_cmp_eq_u32 s38, 4
	s_cbranch_scc0 .LBB199_43
; %bb.25:
	s_mov_b32 s7, 0
	s_lshl_b32 s16, s6, 10
	s_mov_b32 s17, s7
	s_lshr_b64 s[0:1], s[22:23], 10
	s_lshl_b64 s[2:3], s[16:17], 1
	s_add_u32 s12, s24, s2
	s_addc_u32 s13, s25, s3
	s_add_u32 s14, s26, s2
	s_addc_u32 s15, s27, s3
	;; [unrolled: 2-line block ×3, first 2 shown]
	s_cmp_lg_u64 s[0:1], s[6:7]
	s_cbranch_scc0 .LBB199_95
; %bb.26:
	v_lshlrev_b32_e32 v1, 1, v0
	global_load_ushort v2, v1, s[12:13] offset:1024
	global_load_ushort v3, v1, s[14:15] offset:512
	s_waitcnt lgkmcnt(1)
	global_load_ushort v4, v1, s[14:15] offset:1024
	s_waitcnt lgkmcnt(0)
	global_load_ushort v5, v1, s[14:15] offset:1536
	global_load_ushort v6, v1, s[12:13] offset:1536
	global_load_ushort v7, v1, s[12:13] offset:512
	global_load_ushort v8, v1, s[14:15]
	global_load_ushort v9, v1, s[12:13]
	v_mov_b32_e32 v1, s29
	v_add_co_u32_e32 v13, vcc, s28, v0
	v_mov_b32_e32 v10, 0x200
	v_mov_b32_e32 v11, 0x100
	v_addc_co_u32_e32 v1, vcc, 0, v1, vcc
	v_mov_b32_e32 v12, 0x300
	s_waitcnt vmcnt(5)
	v_cmp_ne_u16_e32 vcc, v2, v4
	s_waitcnt vmcnt(3)
	v_cmp_ne_u16_e64 s[0:1], v6, v5
	s_waitcnt vmcnt(2)
	v_cmp_ne_u16_e64 s[2:3], v7, v3
	v_cndmask_b32_e64 v2, v10, v11, s[2:3]
	s_waitcnt vmcnt(0)
	v_cmp_ne_u16_e64 s[8:9], v9, v8
	s_or_b64 s[2:3], s[8:9], s[2:3]
	v_cndmask_b32_e64 v2, v2, 0, s[8:9]
	s_or_b64 vcc, s[2:3], vcc
	v_cndmask_b32_e32 v2, v12, v2, vcc
	v_add_co_u32_e64 v2, s[2:3], v13, v2
	s_or_b64 s[0:1], vcc, s[0:1]
	v_addc_co_u32_e64 v3, s[2:3], 0, v1, s[2:3]
	v_cndmask_b32_e64 v1, 0, 1, s[0:1]
	v_mov_b32_dpp v4, v2 quad_perm:[1,0,3,2] row_mask:0xf bank_mask:0xf bound_ctrl:1
	v_mov_b32_dpp v5, v3 quad_perm:[1,0,3,2] row_mask:0xf bank_mask:0xf bound_ctrl:1
	;; [unrolled: 1-line block ×3, first 2 shown]
	v_and_b32_e32 v7, 1, v6
	v_cmp_eq_u32_e32 vcc, 1, v7
	s_and_saveexec_b64 s[2:3], vcc
; %bb.27:
	v_cmp_lt_i64_e32 vcc, v[2:3], v[4:5]
	v_cndmask_b32_e64 v6, v6, 1, s[0:1]
	s_and_b64 vcc, s[0:1], vcc
	v_cndmask_b32_e32 v2, v4, v2, vcc
	v_and_b32_e32 v4, 1, v6
	v_cndmask_b32_e32 v3, v5, v3, vcc
	v_cmp_eq_u32_e32 vcc, 1, v4
	s_andn2_b64 s[0:1], s[0:1], exec
	s_and_b64 s[8:9], vcc, exec
	v_and_b32_e32 v1, 0xff, v6
	s_or_b64 s[0:1], s[0:1], s[8:9]
; %bb.28:
	s_or_b64 exec, exec, s[2:3]
	v_mov_b32_dpp v6, v1 quad_perm:[2,3,0,1] row_mask:0xf bank_mask:0xf bound_ctrl:1
	v_and_b32_e32 v7, 1, v6
	v_mov_b32_dpp v4, v2 quad_perm:[2,3,0,1] row_mask:0xf bank_mask:0xf bound_ctrl:1
	v_mov_b32_dpp v5, v3 quad_perm:[2,3,0,1] row_mask:0xf bank_mask:0xf bound_ctrl:1
	v_cmp_eq_u32_e32 vcc, 1, v7
	s_and_saveexec_b64 s[2:3], vcc
; %bb.29:
	v_cmp_lt_i64_e32 vcc, v[2:3], v[4:5]
	v_cndmask_b32_e64 v6, v6, 1, s[0:1]
	s_and_b64 vcc, s[0:1], vcc
	v_cndmask_b32_e32 v2, v4, v2, vcc
	v_and_b32_e32 v4, 1, v6
	v_cndmask_b32_e32 v3, v5, v3, vcc
	v_cmp_eq_u32_e32 vcc, 1, v4
	s_andn2_b64 s[0:1], s[0:1], exec
	s_and_b64 s[8:9], vcc, exec
	v_and_b32_e32 v1, 0xff, v6
	s_or_b64 s[0:1], s[0:1], s[8:9]
; %bb.30:
	s_or_b64 exec, exec, s[2:3]
	v_mov_b32_dpp v6, v1 row_ror:4 row_mask:0xf bank_mask:0xf bound_ctrl:1
	v_and_b32_e32 v7, 1, v6
	v_mov_b32_dpp v4, v2 row_ror:4 row_mask:0xf bank_mask:0xf bound_ctrl:1
	v_mov_b32_dpp v5, v3 row_ror:4 row_mask:0xf bank_mask:0xf bound_ctrl:1
	v_cmp_eq_u32_e32 vcc, 1, v7
	s_and_saveexec_b64 s[2:3], vcc
; %bb.31:
	v_cmp_lt_i64_e32 vcc, v[2:3], v[4:5]
	v_cndmask_b32_e64 v6, v6, 1, s[0:1]
	s_and_b64 vcc, s[0:1], vcc
	v_cndmask_b32_e32 v2, v4, v2, vcc
	v_and_b32_e32 v4, 1, v6
	v_cndmask_b32_e32 v3, v5, v3, vcc
	v_cmp_eq_u32_e32 vcc, 1, v4
	s_andn2_b64 s[0:1], s[0:1], exec
	s_and_b64 s[8:9], vcc, exec
	v_and_b32_e32 v1, 0xff, v6
	s_or_b64 s[0:1], s[0:1], s[8:9]
; %bb.32:
	s_or_b64 exec, exec, s[2:3]
	v_mov_b32_dpp v6, v1 row_ror:8 row_mask:0xf bank_mask:0xf bound_ctrl:1
	v_and_b32_e32 v7, 1, v6
	v_mov_b32_dpp v4, v2 row_ror:8 row_mask:0xf bank_mask:0xf bound_ctrl:1
	v_mov_b32_dpp v5, v3 row_ror:8 row_mask:0xf bank_mask:0xf bound_ctrl:1
	v_cmp_eq_u32_e32 vcc, 1, v7
	s_and_saveexec_b64 s[2:3], vcc
; %bb.33:
	v_cmp_lt_i64_e32 vcc, v[2:3], v[4:5]
	v_cndmask_b32_e64 v6, v6, 1, s[0:1]
	s_and_b64 vcc, s[0:1], vcc
	v_cndmask_b32_e32 v2, v4, v2, vcc
	v_and_b32_e32 v4, 1, v6
	v_cndmask_b32_e32 v3, v5, v3, vcc
	v_cmp_eq_u32_e32 vcc, 1, v4
	s_andn2_b64 s[0:1], s[0:1], exec
	s_and_b64 s[8:9], vcc, exec
	v_and_b32_e32 v1, 0xff, v6
	s_or_b64 s[0:1], s[0:1], s[8:9]
; %bb.34:
	s_or_b64 exec, exec, s[2:3]
	v_mov_b32_dpp v6, v1 row_bcast:15 row_mask:0xf bank_mask:0xf bound_ctrl:1
	v_and_b32_e32 v7, 1, v6
	v_mov_b32_dpp v4, v2 row_bcast:15 row_mask:0xf bank_mask:0xf bound_ctrl:1
	v_mov_b32_dpp v5, v3 row_bcast:15 row_mask:0xf bank_mask:0xf bound_ctrl:1
	v_cmp_eq_u32_e32 vcc, 1, v7
	s_and_saveexec_b64 s[2:3], vcc
; %bb.35:
	v_cmp_lt_i64_e32 vcc, v[2:3], v[4:5]
	v_cndmask_b32_e64 v6, v6, 1, s[0:1]
	s_and_b64 vcc, s[0:1], vcc
	v_cndmask_b32_e32 v2, v4, v2, vcc
	v_and_b32_e32 v4, 1, v6
	v_cndmask_b32_e32 v3, v5, v3, vcc
	v_cmp_eq_u32_e32 vcc, 1, v4
	s_andn2_b64 s[0:1], s[0:1], exec
	s_and_b64 s[8:9], vcc, exec
	v_and_b32_e32 v1, 0xff, v6
	s_or_b64 s[0:1], s[0:1], s[8:9]
; %bb.36:
	s_or_b64 exec, exec, s[2:3]
	v_mov_b32_dpp v6, v1 row_bcast:31 row_mask:0xf bank_mask:0xf bound_ctrl:1
	v_and_b32_e32 v7, 1, v6
	v_mov_b32_dpp v4, v2 row_bcast:31 row_mask:0xf bank_mask:0xf bound_ctrl:1
	v_mov_b32_dpp v5, v3 row_bcast:31 row_mask:0xf bank_mask:0xf bound_ctrl:1
	v_cmp_eq_u32_e32 vcc, 1, v7
	s_and_saveexec_b64 s[2:3], vcc
; %bb.37:
	v_cmp_lt_i64_e32 vcc, v[2:3], v[4:5]
	v_and_b32_e32 v1, 0xff, v6
	s_and_b64 vcc, s[0:1], vcc
	v_cndmask_b32_e32 v2, v4, v2, vcc
	v_cndmask_b32_e32 v3, v5, v3, vcc
	v_cndmask_b32_e64 v1, v1, 1, s[0:1]
; %bb.38:
	s_or_b64 exec, exec, s[2:3]
	v_mbcnt_lo_u32_b32 v4, -1, 0
	v_mbcnt_hi_u32_b32 v4, -1, v4
	v_bfrev_b32_e32 v5, 0.5
	v_lshl_or_b32 v5, v4, 2, v5
	ds_bpermute_b32 v6, v5, v1
	ds_bpermute_b32 v2, v5, v2
	;; [unrolled: 1-line block ×3, first 2 shown]
	v_cmp_eq_u32_e32 vcc, 0, v4
	s_and_saveexec_b64 s[0:1], vcc
	s_cbranch_execz .LBB199_40
; %bb.39:
	v_lshrrev_b32_e32 v1, 2, v0
	v_and_b32_e32 v1, 48, v1
	s_waitcnt lgkmcnt(2)
	ds_write_b8 v1, v6 offset:128
	s_waitcnt lgkmcnt(1)
	ds_write_b64 v1, v[2:3] offset:136
.LBB199_40:
	s_or_b64 exec, exec, s[0:1]
	v_cmp_gt_u32_e32 vcc, 64, v0
	s_waitcnt lgkmcnt(0)
	s_barrier
	s_and_saveexec_b64 s[2:3], vcc
	s_cbranch_execz .LBB199_42
; %bb.41:
	v_and_b32_e32 v1, 3, v4
	v_lshlrev_b32_e32 v2, 4, v1
	ds_read_u8 v5, v2 offset:128
	ds_read_b64 v[2:3], v2 offset:136
	v_cmp_ne_u32_e32 vcc, 3, v1
	v_addc_co_u32_e32 v6, vcc, 0, v4, vcc
	s_waitcnt lgkmcnt(1)
	v_and_b32_e32 v7, 0xff, v5
	v_lshlrev_b32_e32 v8, 2, v6
	ds_bpermute_b32 v9, v8, v7
	s_waitcnt lgkmcnt(1)
	ds_bpermute_b32 v6, v8, v2
	ds_bpermute_b32 v7, v8, v3
	v_and_b32_e32 v8, 1, v5
	s_waitcnt lgkmcnt(2)
	v_and_b32_e32 v10, 1, v9
	v_cmp_eq_u32_e64 s[0:1], 1, v10
	s_waitcnt lgkmcnt(0)
	v_cmp_lt_i64_e32 vcc, v[6:7], v[2:3]
	s_and_b64 vcc, s[0:1], vcc
	v_cndmask_b32_e64 v5, v5, 1, s[0:1]
	v_cndmask_b32_e32 v2, v2, v6, vcc
	v_cndmask_b32_e32 v3, v3, v7, vcc
	v_cmp_eq_u32_e32 vcc, 1, v8
	v_cndmask_b32_e32 v8, v9, v5, vcc
	v_cndmask_b32_e32 v3, v7, v3, vcc
	;; [unrolled: 1-line block ×3, first 2 shown]
	v_cmp_gt_u32_e32 vcc, 2, v1
	v_cndmask_b32_e64 v1, 0, 1, vcc
	v_lshlrev_b32_e32 v1, 1, v1
	v_and_b32_e32 v5, 0xff, v8
	v_add_lshl_u32 v1, v1, v4, 2
	ds_bpermute_b32 v6, v1, v5
	ds_bpermute_b32 v4, v1, v2
	;; [unrolled: 1-line block ×3, first 2 shown]
	v_and_b32_e32 v1, 1, v8
	s_waitcnt lgkmcnt(2)
	v_and_b32_e32 v7, 1, v6
	v_cmp_eq_u32_e64 s[0:1], 1, v7
	s_waitcnt lgkmcnt(0)
	v_cmp_lt_i64_e32 vcc, v[4:5], v[2:3]
	s_and_b64 vcc, s[0:1], vcc
	v_cndmask_b32_e64 v7, v8, 1, s[0:1]
	v_cndmask_b32_e32 v2, v2, v4, vcc
	v_cndmask_b32_e32 v3, v3, v5, vcc
	v_cmp_eq_u32_e32 vcc, 1, v1
	v_cndmask_b32_e32 v1, v6, v7, vcc
	v_cndmask_b32_e32 v3, v5, v3, vcc
	;; [unrolled: 1-line block ×3, first 2 shown]
	v_and_b32_e32 v6, 0xff, v1
.LBB199_42:
	s_or_b64 exec, exec, s[2:3]
	s_branch .LBB199_128
.LBB199_43:
                                        ; implicit-def: $vgpr4_vgpr5
                                        ; implicit-def: $vgpr1
	s_branch .LBB199_208
.LBB199_44:
                                        ; implicit-def: $vgpr2_vgpr3
                                        ; implicit-def: $vgpr7
	s_cbranch_execz .LBB199_89
; %bb.45:
	s_sub_i32 s41, s22, s36
	v_pk_mov_b32 v[4:5], 0, 0
	v_cmp_gt_u32_e32 vcc, s41, v0
	v_mov_b32_e32 v18, 0
	v_pk_mov_b32 v[2:3], v[4:5], v[4:5] op_sel:[0,1]
	v_mov_b32_e32 v1, 0
	s_and_saveexec_b64 s[0:1], vcc
	s_cbranch_execz .LBB199_47
; %bb.46:
	v_lshlrev_b32_e32 v1, 1, v0
	global_load_ushort v6, v1, s[30:31]
	global_load_ushort v7, v1, s[34:35]
	v_mov_b32_e32 v1, s40
	v_add_co_u32_e32 v2, vcc, s39, v0
	v_addc_co_u32_e32 v3, vcc, 0, v1, vcc
	s_waitcnt vmcnt(0)
	v_cmp_ne_u16_e32 vcc, v6, v7
	v_cndmask_b32_e64 v1, 0, 1, vcc
.LBB199_47:
	s_or_b64 exec, exec, s[0:1]
	v_or_b32_e32 v6, 0x100, v0
	v_cmp_gt_u32_e64 s[8:9], s41, v6
	s_and_saveexec_b64 s[0:1], s[8:9]
	s_cbranch_execz .LBB199_49
; %bb.48:
	v_lshlrev_b32_e32 v4, 1, v0
	global_load_ushort v7, v4, s[30:31] offset:512
	global_load_ushort v8, v4, s[34:35] offset:512
	v_mov_b32_e32 v5, s40
	v_add_co_u32_e32 v4, vcc, s39, v6
	v_addc_co_u32_e32 v5, vcc, 0, v5, vcc
	s_waitcnt vmcnt(0)
	v_cmp_ne_u16_e32 vcc, v7, v8
	v_cndmask_b32_e64 v18, 0, 1, vcc
.LBB199_49:
	s_or_b64 exec, exec, s[0:1]
	v_or_b32_e32 v8, 0x200, v0
	v_pk_mov_b32 v[6:7], 0, 0
	v_cmp_gt_u32_e32 vcc, s41, v8
	v_mov_b32_e32 v19, 0
	v_pk_mov_b32 v[12:13], v[6:7], v[6:7] op_sel:[0,1]
	v_mov_b32_e32 v23, 0
	s_and_saveexec_b64 s[2:3], vcc
	s_cbranch_execz .LBB199_51
; %bb.50:
	v_lshlrev_b32_e32 v9, 1, v0
	global_load_ushort v10, v9, s[30:31] offset:1024
	global_load_ushort v11, v9, s[34:35] offset:1024
	v_mov_b32_e32 v9, s40
	v_add_co_u32_e64 v12, s[0:1], s39, v8
	v_addc_co_u32_e64 v13, s[0:1], 0, v9, s[0:1]
	s_waitcnt vmcnt(0)
	v_cmp_ne_u16_e64 s[0:1], v10, v11
	v_cndmask_b32_e64 v23, 0, 1, s[0:1]
.LBB199_51:
	s_or_b64 exec, exec, s[2:3]
	v_or_b32_e32 v8, 0x300, v0
	v_cmp_gt_u32_e64 s[10:11], s41, v8
	s_and_saveexec_b64 s[2:3], s[10:11]
	s_cbranch_execz .LBB199_53
; %bb.52:
	v_lshlrev_b32_e32 v6, 1, v0
	global_load_ushort v9, v6, s[30:31] offset:1536
	global_load_ushort v10, v6, s[34:35] offset:1536
	v_mov_b32_e32 v7, s40
	v_add_co_u32_e64 v6, s[0:1], s39, v8
	v_addc_co_u32_e64 v7, s[0:1], 0, v7, s[0:1]
	s_waitcnt vmcnt(0)
	v_cmp_ne_u16_e64 s[0:1], v9, v10
	v_cndmask_b32_e64 v19, 0, 1, s[0:1]
.LBB199_53:
	s_or_b64 exec, exec, s[2:3]
	v_or_b32_e32 v10, 0x400, v0
	v_pk_mov_b32 v[8:9], 0, 0
	v_cmp_gt_u32_e64 s[0:1], s41, v10
	v_mov_b32_e32 v20, 0
	v_pk_mov_b32 v[14:15], v[8:9], v[8:9] op_sel:[0,1]
	v_mov_b32_e32 v24, 0
	s_and_saveexec_b64 s[12:13], s[0:1]
	s_cbranch_execz .LBB199_55
; %bb.54:
	v_lshlrev_b32_e32 v11, 1, v0
	global_load_ushort v16, v11, s[30:31] offset:2048
	global_load_ushort v17, v11, s[34:35] offset:2048
	v_mov_b32_e32 v11, s40
	v_add_co_u32_e64 v14, s[2:3], s39, v10
	v_addc_co_u32_e64 v15, s[2:3], 0, v11, s[2:3]
	s_waitcnt vmcnt(0)
	v_cmp_ne_u16_e64 s[2:3], v16, v17
	v_cndmask_b32_e64 v24, 0, 1, s[2:3]
.LBB199_55:
	s_or_b64 exec, exec, s[12:13]
	v_or_b32_e32 v10, 0x500, v0
	v_cmp_gt_u32_e64 s[12:13], s41, v10
	s_and_saveexec_b64 s[14:15], s[12:13]
	s_cbranch_execz .LBB199_57
; %bb.56:
	v_lshlrev_b32_e32 v8, 1, v0
	global_load_ushort v11, v8, s[30:31] offset:2560
	global_load_ushort v16, v8, s[34:35] offset:2560
	v_mov_b32_e32 v9, s40
	v_add_co_u32_e64 v8, s[2:3], s39, v10
	v_addc_co_u32_e64 v9, s[2:3], 0, v9, s[2:3]
	s_waitcnt vmcnt(0)
	v_cmp_ne_u16_e64 s[2:3], v11, v16
	v_cndmask_b32_e64 v20, 0, 1, s[2:3]
.LBB199_57:
	s_or_b64 exec, exec, s[14:15]
	v_or_b32_e32 v25, 0x600, v0
	v_pk_mov_b32 v[10:11], 0, 0
	v_cmp_gt_u32_e64 s[2:3], s41, v25
	v_mov_b32_e32 v21, 0
	v_mov_b32_e32 v22, 0
	v_pk_mov_b32 v[16:17], v[10:11], v[10:11] op_sel:[0,1]
	s_and_saveexec_b64 s[16:17], s[2:3]
	s_cbranch_execz .LBB199_59
; %bb.58:
	v_lshlrev_b32_e32 v16, 1, v0
	global_load_ushort v22, v16, s[30:31] offset:3072
	global_load_ushort v26, v16, s[34:35] offset:3072
	v_mov_b32_e32 v17, s40
	v_add_co_u32_e64 v16, s[14:15], s39, v25
	v_addc_co_u32_e64 v17, s[14:15], 0, v17, s[14:15]
	s_waitcnt vmcnt(0)
	v_cmp_ne_u16_e64 s[14:15], v22, v26
	v_cndmask_b32_e64 v22, 0, 1, s[14:15]
.LBB199_59:
	s_or_b64 exec, exec, s[16:17]
	v_or_b32_e32 v25, 0x700, v0
	v_cmp_gt_u32_e64 s[14:15], s41, v25
	s_and_saveexec_b64 s[36:37], s[14:15]
	s_cbranch_execnz .LBB199_240
; %bb.60:
	s_or_b64 exec, exec, s[36:37]
	s_and_saveexec_b64 s[30:31], s[8:9]
	s_cbranch_execnz .LBB199_241
.LBB199_61:
	s_or_b64 exec, exec, s[30:31]
	s_and_saveexec_b64 s[16:17], vcc
	s_cbranch_execnz .LBB199_242
.LBB199_62:
	s_or_b64 exec, exec, s[16:17]
	s_and_saveexec_b64 s[16:17], s[10:11]
	s_cbranch_execnz .LBB199_243
.LBB199_63:
	s_or_b64 exec, exec, s[16:17]
	s_and_saveexec_b64 s[8:9], s[0:1]
	s_cbranch_execnz .LBB199_244
.LBB199_64:
	s_or_b64 exec, exec, s[8:9]
	s_and_saveexec_b64 s[8:9], s[12:13]
	s_cbranch_execnz .LBB199_245
.LBB199_65:
	s_or_b64 exec, exec, s[8:9]
	s_and_saveexec_b64 s[8:9], s[2:3]
	s_cbranch_execnz .LBB199_246
.LBB199_66:
	s_or_b64 exec, exec, s[8:9]
	s_and_saveexec_b64 s[2:3], s[14:15]
	s_cbranch_execz .LBB199_68
.LBB199_67:
	v_and_b32_e32 v5, 1, v21
	v_cmp_lt_i64_e32 vcc, v[10:11], v[2:3]
	v_cmp_eq_u32_e64 s[0:1], 1, v5
	v_and_b32_e32 v4, 1, v1
	s_and_b64 vcc, s[0:1], vcc
	v_cndmask_b32_e64 v1, v1, 1, s[0:1]
	v_cndmask_b32_e32 v2, v2, v10, vcc
	v_cndmask_b32_e32 v3, v3, v11, vcc
	v_cmp_eq_u32_e32 vcc, 1, v4
	v_cndmask_b32_e32 v1, v21, v1, vcc
	v_cndmask_b32_e32 v3, v11, v3, vcc
	;; [unrolled: 1-line block ×3, first 2 shown]
.LBB199_68:
	s_or_b64 exec, exec, s[2:3]
	v_mbcnt_lo_u32_b32 v4, -1, 0
	v_mbcnt_hi_u32_b32 v6, -1, v4
	v_and_b32_e32 v8, 63, v6
	v_cmp_ne_u32_e32 vcc, 63, v8
	v_addc_co_u32_e32 v4, vcc, 0, v6, vcc
	v_and_b32_e32 v7, 0xffff, v1
	v_lshlrev_b32_e32 v5, 2, v4
	ds_bpermute_b32 v11, v5, v7
	ds_bpermute_b32 v4, v5, v2
	;; [unrolled: 1-line block ×3, first 2 shown]
	s_min_u32 s8, s41, 0x100
	v_and_b32_e32 v9, 0xc0, v0
	v_sub_u32_e64 v10, s8, v9 clamp
	v_add_u32_e32 v9, 1, v8
	v_cmp_lt_u32_e32 vcc, v9, v10
	v_mov_b32_e32 v9, v7
	s_and_saveexec_b64 s[0:1], vcc
	s_xor_b64 s[2:3], exec, s[0:1]
	s_cbranch_execz .LBB199_70
; %bb.69:
	s_waitcnt lgkmcnt(2)
	v_and_b32_e32 v9, 1, v11
	s_waitcnt lgkmcnt(0)
	v_cmp_lt_i64_e32 vcc, v[4:5], v[2:3]
	v_cmp_eq_u32_e64 s[0:1], 1, v9
	v_and_b32_e32 v1, 1, v1
	s_and_b64 vcc, s[0:1], vcc
	v_cndmask_b32_e64 v7, v7, 1, s[0:1]
	v_cndmask_b32_e32 v2, v2, v4, vcc
	v_cndmask_b32_e32 v3, v3, v5, vcc
	v_cmp_eq_u32_e32 vcc, 1, v1
	v_cndmask_b32_e32 v9, v11, v7, vcc
	v_cndmask_b32_e32 v3, v5, v3, vcc
	;; [unrolled: 1-line block ×3, first 2 shown]
	v_and_b32_e32 v7, 0xff, v9
.LBB199_70:
	s_or_b64 exec, exec, s[2:3]
	v_cmp_gt_u32_e32 vcc, 62, v8
	v_cndmask_b32_e64 v1, 0, 1, vcc
	v_lshlrev_b32_e32 v1, 1, v1
	s_waitcnt lgkmcnt(0)
	v_add_lshl_u32 v5, v1, v6, 2
	ds_bpermute_b32 v1, v5, v7
	ds_bpermute_b32 v4, v5, v2
	ds_bpermute_b32 v5, v5, v3
	v_add_u32_e32 v11, 2, v8
	v_cmp_lt_u32_e32 vcc, v11, v10
	s_and_saveexec_b64 s[2:3], vcc
	s_cbranch_execz .LBB199_72
; %bb.71:
	s_waitcnt lgkmcnt(2)
	v_and_b32_e32 v11, 1, v1
	s_waitcnt lgkmcnt(0)
	v_cmp_lt_i64_e32 vcc, v[4:5], v[2:3]
	v_cmp_eq_u32_e64 s[0:1], 1, v11
	v_and_b32_e32 v7, 1, v9
	s_and_b64 vcc, s[0:1], vcc
	v_cndmask_b32_e64 v9, v9, 1, s[0:1]
	v_cndmask_b32_e32 v2, v2, v4, vcc
	v_cndmask_b32_e32 v3, v3, v5, vcc
	v_cmp_eq_u32_e32 vcc, 1, v7
	v_cndmask_b32_e32 v9, v1, v9, vcc
	v_cndmask_b32_e32 v3, v5, v3, vcc
	v_cndmask_b32_e32 v2, v4, v2, vcc
	v_and_b32_e32 v7, 0xff, v9
.LBB199_72:
	s_or_b64 exec, exec, s[2:3]
	v_cmp_gt_u32_e32 vcc, 60, v8
	s_waitcnt lgkmcnt(2)
	v_cndmask_b32_e64 v1, 0, 1, vcc
	v_lshlrev_b32_e32 v1, 2, v1
	s_waitcnt lgkmcnt(0)
	v_add_lshl_u32 v5, v1, v6, 2
	ds_bpermute_b32 v1, v5, v7
	ds_bpermute_b32 v4, v5, v2
	ds_bpermute_b32 v5, v5, v3
	v_add_u32_e32 v11, 4, v8
	v_cmp_lt_u32_e32 vcc, v11, v10
	s_and_saveexec_b64 s[2:3], vcc
	s_cbranch_execz .LBB199_74
; %bb.73:
	s_waitcnt lgkmcnt(2)
	v_and_b32_e32 v11, 1, v1
	s_waitcnt lgkmcnt(0)
	v_cmp_lt_i64_e32 vcc, v[4:5], v[2:3]
	v_cmp_eq_u32_e64 s[0:1], 1, v11
	v_and_b32_e32 v7, 1, v9
	s_and_b64 vcc, s[0:1], vcc
	v_cndmask_b32_e64 v9, v9, 1, s[0:1]
	v_cndmask_b32_e32 v2, v2, v4, vcc
	v_cndmask_b32_e32 v3, v3, v5, vcc
	v_cmp_eq_u32_e32 vcc, 1, v7
	v_cndmask_b32_e32 v9, v1, v9, vcc
	v_cndmask_b32_e32 v3, v5, v3, vcc
	v_cndmask_b32_e32 v2, v4, v2, vcc
	v_and_b32_e32 v7, 0xff, v9
.LBB199_74:
	s_or_b64 exec, exec, s[2:3]
	v_cmp_gt_u32_e32 vcc, 56, v8
	s_waitcnt lgkmcnt(2)
	v_cndmask_b32_e64 v1, 0, 1, vcc
	v_lshlrev_b32_e32 v1, 3, v1
	s_waitcnt lgkmcnt(0)
	v_add_lshl_u32 v5, v1, v6, 2
	ds_bpermute_b32 v1, v5, v7
	ds_bpermute_b32 v4, v5, v2
	ds_bpermute_b32 v5, v5, v3
	v_add_u32_e32 v11, 8, v8
	v_cmp_lt_u32_e32 vcc, v11, v10
	s_and_saveexec_b64 s[2:3], vcc
	s_cbranch_execz .LBB199_76
; %bb.75:
	s_waitcnt lgkmcnt(2)
	v_and_b32_e32 v11, 1, v1
	s_waitcnt lgkmcnt(0)
	v_cmp_lt_i64_e32 vcc, v[4:5], v[2:3]
	v_cmp_eq_u32_e64 s[0:1], 1, v11
	v_and_b32_e32 v7, 1, v9
	s_and_b64 vcc, s[0:1], vcc
	v_cndmask_b32_e64 v9, v9, 1, s[0:1]
	v_cndmask_b32_e32 v2, v2, v4, vcc
	v_cndmask_b32_e32 v3, v3, v5, vcc
	v_cmp_eq_u32_e32 vcc, 1, v7
	v_cndmask_b32_e32 v9, v1, v9, vcc
	v_cndmask_b32_e32 v3, v5, v3, vcc
	v_cndmask_b32_e32 v2, v4, v2, vcc
	v_and_b32_e32 v7, 0xff, v9
.LBB199_76:
	s_or_b64 exec, exec, s[2:3]
	v_cmp_gt_u32_e32 vcc, 48, v8
	s_waitcnt lgkmcnt(2)
	v_cndmask_b32_e64 v1, 0, 1, vcc
	v_lshlrev_b32_e32 v1, 4, v1
	s_waitcnt lgkmcnt(0)
	v_add_lshl_u32 v5, v1, v6, 2
	ds_bpermute_b32 v1, v5, v7
	ds_bpermute_b32 v4, v5, v2
	ds_bpermute_b32 v5, v5, v3
	v_add_u32_e32 v11, 16, v8
	v_cmp_lt_u32_e32 vcc, v11, v10
	s_and_saveexec_b64 s[2:3], vcc
	s_cbranch_execz .LBB199_78
; %bb.77:
	s_waitcnt lgkmcnt(2)
	v_and_b32_e32 v11, 1, v1
	s_waitcnt lgkmcnt(0)
	v_cmp_lt_i64_e32 vcc, v[4:5], v[2:3]
	v_cmp_eq_u32_e64 s[0:1], 1, v11
	v_and_b32_e32 v7, 1, v9
	s_and_b64 vcc, s[0:1], vcc
	v_cndmask_b32_e64 v9, v9, 1, s[0:1]
	v_cndmask_b32_e32 v2, v2, v4, vcc
	v_cndmask_b32_e32 v3, v3, v5, vcc
	v_cmp_eq_u32_e32 vcc, 1, v7
	v_cndmask_b32_e32 v9, v1, v9, vcc
	v_cndmask_b32_e32 v3, v5, v3, vcc
	v_cndmask_b32_e32 v2, v4, v2, vcc
	v_and_b32_e32 v7, 0xff, v9
.LBB199_78:
	s_or_b64 exec, exec, s[2:3]
	v_cmp_gt_u32_e32 vcc, 32, v8
	s_waitcnt lgkmcnt(2)
	v_cndmask_b32_e64 v1, 0, 1, vcc
	v_lshlrev_b32_e32 v1, 5, v1
	s_waitcnt lgkmcnt(0)
	v_add_lshl_u32 v5, v1, v6, 2
	ds_bpermute_b32 v1, v5, v7
	ds_bpermute_b32 v4, v5, v2
	;; [unrolled: 1-line block ×3, first 2 shown]
	v_add_u32_e32 v8, 32, v8
	v_cmp_lt_u32_e32 vcc, v8, v10
	s_and_saveexec_b64 s[2:3], vcc
	s_cbranch_execz .LBB199_80
; %bb.79:
	s_waitcnt lgkmcnt(2)
	v_and_b32_e32 v8, 1, v1
	s_waitcnt lgkmcnt(0)
	v_cmp_lt_i64_e32 vcc, v[4:5], v[2:3]
	v_cmp_eq_u32_e64 s[0:1], 1, v8
	v_and_b32_e32 v7, 1, v9
	s_and_b64 vcc, s[0:1], vcc
	v_cndmask_b32_e64 v8, v9, 1, s[0:1]
	v_cndmask_b32_e32 v2, v2, v4, vcc
	v_cndmask_b32_e32 v3, v3, v5, vcc
	v_cmp_eq_u32_e32 vcc, 1, v7
	v_cndmask_b32_e32 v9, v1, v8, vcc
	v_cndmask_b32_e32 v3, v5, v3, vcc
	;; [unrolled: 1-line block ×3, first 2 shown]
	v_and_b32_e32 v7, 0xff, v9
.LBB199_80:
	s_or_b64 exec, exec, s[2:3]
	v_cmp_eq_u32_e32 vcc, 0, v6
	s_and_saveexec_b64 s[0:1], vcc
	s_cbranch_execz .LBB199_82
; %bb.81:
	s_waitcnt lgkmcnt(2)
	v_lshrrev_b32_e32 v1, 2, v0
	v_and_b32_e32 v1, 48, v1
	ds_write_b8 v1, v9 offset:256
	ds_write_b64 v1, v[2:3] offset:264
.LBB199_82:
	s_or_b64 exec, exec, s[0:1]
	v_cmp_gt_u32_e32 vcc, 4, v0
	s_waitcnt lgkmcnt(0)
	s_barrier
	s_and_saveexec_b64 s[2:3], vcc
	s_cbranch_execz .LBB199_88
; %bb.83:
	v_lshlrev_b32_e32 v2, 4, v6
	ds_read_u8 v1, v2 offset:256
	ds_read_b64 v[2:3], v2 offset:264
	v_and_b32_e32 v8, 3, v6
	v_cmp_ne_u32_e32 vcc, 3, v8
	v_addc_co_u32_e32 v4, vcc, 0, v6, vcc
	s_waitcnt lgkmcnt(1)
	v_and_b32_e32 v7, 0xff, v1
	v_lshlrev_b32_e32 v5, 2, v4
	ds_bpermute_b32 v9, v5, v7
	s_waitcnt lgkmcnt(1)
	ds_bpermute_b32 v4, v5, v2
	ds_bpermute_b32 v5, v5, v3
	s_add_i32 s8, s8, 63
	s_lshr_b32 s10, s8, 6
	v_add_u32_e32 v10, 1, v8
	v_cmp_gt_u32_e32 vcc, s10, v10
	s_and_saveexec_b64 s[8:9], vcc
	s_cbranch_execz .LBB199_85
; %bb.84:
	s_waitcnt lgkmcnt(2)
	v_and_b32_e32 v10, 1, v9
	s_waitcnt lgkmcnt(0)
	v_cmp_lt_i64_e32 vcc, v[4:5], v[2:3]
	v_cmp_eq_u32_e64 s[0:1], 1, v10
	v_and_b32_e32 v7, 1, v1
	s_and_b64 vcc, s[0:1], vcc
	v_cndmask_b32_e64 v1, v1, 1, s[0:1]
	v_cndmask_b32_e32 v2, v2, v4, vcc
	v_cndmask_b32_e32 v3, v3, v5, vcc
	v_cmp_eq_u32_e32 vcc, 1, v7
	v_cndmask_b32_e32 v1, v9, v1, vcc
	v_cndmask_b32_e32 v3, v5, v3, vcc
	v_cndmask_b32_e32 v2, v4, v2, vcc
	v_and_b32_e32 v7, 0xff, v1
.LBB199_85:
	s_or_b64 exec, exec, s[8:9]
	v_cmp_gt_u32_e32 vcc, 2, v8
	s_waitcnt lgkmcnt(1)
	v_cndmask_b32_e64 v4, 0, 1, vcc
	v_lshlrev_b32_e32 v4, 1, v4
	s_waitcnt lgkmcnt(0)
	v_add_lshl_u32 v5, v4, v6, 2
	ds_bpermute_b32 v6, v5, v7
	ds_bpermute_b32 v4, v5, v2
	;; [unrolled: 1-line block ×3, first 2 shown]
	v_add_u32_e32 v8, 2, v8
	v_cmp_gt_u32_e32 vcc, s10, v8
	s_and_saveexec_b64 s[8:9], vcc
	s_cbranch_execz .LBB199_87
; %bb.86:
	s_waitcnt lgkmcnt(2)
	v_and_b32_e32 v8, 1, v6
	s_waitcnt lgkmcnt(0)
	v_cmp_lt_i64_e32 vcc, v[4:5], v[2:3]
	v_cmp_eq_u32_e64 s[0:1], 1, v8
	v_and_b32_e32 v7, 1, v1
	s_and_b64 vcc, s[0:1], vcc
	v_cndmask_b32_e64 v1, v1, 1, s[0:1]
	v_cndmask_b32_e32 v2, v2, v4, vcc
	v_cndmask_b32_e32 v3, v3, v5, vcc
	v_cmp_eq_u32_e32 vcc, 1, v7
	v_cndmask_b32_e32 v1, v6, v1, vcc
	v_cndmask_b32_e32 v3, v5, v3, vcc
	;; [unrolled: 1-line block ×3, first 2 shown]
	v_and_b32_e32 v7, 0xff, v1
.LBB199_87:
	s_or_b64 exec, exec, s[8:9]
.LBB199_88:
	s_or_b64 exec, exec, s[2:3]
.LBB199_89:
	v_cmp_eq_u32_e32 vcc, 0, v0
	s_mov_b64 s[10:11], 0
                                        ; implicit-def: $vgpr4_vgpr5
                                        ; implicit-def: $vgpr1
	s_and_saveexec_b64 s[0:1], vcc
	s_xor_b64 s[8:9], exec, s[0:1]
	s_cbranch_execz .LBB199_93
; %bb.90:
	s_cmp_eq_u64 s[22:23], 0
	s_waitcnt lgkmcnt(0)
	v_pk_mov_b32 v[4:5], s[18:19], s[18:19] op_sel:[0,1]
	v_mov_b32_e32 v1, s33
	s_cbranch_scc1 .LBB199_92
; %bb.91:
	v_and_b32_e32 v1, 1, v7
	s_bitcmp1_b32 s33, 0
	v_mov_b32_e32 v4, s33
	v_cmp_eq_u32_e32 vcc, 1, v1
	v_cmp_gt_i64_e64 s[2:3], s[18:19], v[2:3]
	v_cndmask_b32_e64 v1, v4, 1, vcc
	s_cselect_b64 s[0:1], -1, 0
	v_mov_b32_e32 v4, s18
	s_and_b64 vcc, vcc, s[2:3]
	v_mov_b32_e32 v5, s19
	v_cndmask_b32_e32 v4, v4, v2, vcc
	v_cndmask_b32_e32 v5, v5, v3, vcc
	v_cndmask_b32_e64 v1, v7, v1, s[0:1]
	v_cndmask_b32_e64 v5, v3, v5, s[0:1]
	;; [unrolled: 1-line block ×3, first 2 shown]
.LBB199_92:
	s_mov_b64 s[10:11], exec
.LBB199_93:
	s_or_b64 exec, exec, s[8:9]
	s_and_b64 vcc, exec, s[28:29]
	s_cbranch_vccnz .LBB199_24
.LBB199_94:
	s_branch .LBB199_208
.LBB199_95:
                                        ; implicit-def: $vgpr2_vgpr3
                                        ; implicit-def: $vgpr6
	s_cbranch_execz .LBB199_128
; %bb.96:
	s_sub_i32 s30, s22, s16
	s_waitcnt lgkmcnt(0)
	v_pk_mov_b32 v[4:5], 0, 0
	v_cmp_gt_u32_e32 vcc, s30, v0
	v_mov_b32_e32 v1, 0
	v_pk_mov_b32 v[2:3], v[4:5], v[4:5] op_sel:[0,1]
	v_mov_b32_e32 v10, 0
	s_and_saveexec_b64 s[0:1], vcc
	s_cbranch_execz .LBB199_98
; %bb.97:
	v_lshlrev_b32_e32 v2, 1, v0
	global_load_ushort v6, v2, s[12:13]
	global_load_ushort v7, v2, s[14:15]
	v_mov_b32_e32 v3, s29
	v_add_co_u32_e32 v2, vcc, s28, v0
	v_addc_co_u32_e32 v3, vcc, 0, v3, vcc
	s_waitcnt vmcnt(0)
	v_cmp_ne_u16_e32 vcc, v6, v7
	v_cndmask_b32_e64 v10, 0, 1, vcc
.LBB199_98:
	s_or_b64 exec, exec, s[0:1]
	v_or_b32_e32 v6, 0x100, v0
	v_cmp_gt_u32_e64 s[0:1], s30, v6
	s_and_saveexec_b64 s[2:3], s[0:1]
	s_cbranch_execz .LBB199_100
; %bb.99:
	v_lshlrev_b32_e32 v1, 1, v0
	global_load_ushort v7, v1, s[12:13] offset:512
	global_load_ushort v8, v1, s[14:15] offset:512
	v_mov_b32_e32 v1, s29
	v_add_co_u32_e32 v4, vcc, s28, v6
	v_addc_co_u32_e32 v5, vcc, 0, v1, vcc
	s_waitcnt vmcnt(0)
	v_cmp_ne_u16_e32 vcc, v7, v8
	v_cndmask_b32_e64 v1, 0, 1, vcc
.LBB199_100:
	s_or_b64 exec, exec, s[2:3]
	v_or_b32_e32 v13, 0x200, v0
	v_pk_mov_b32 v[6:7], 0, 0
	v_cmp_gt_u32_e32 vcc, s30, v13
	v_mov_b32_e32 v11, 0
	v_pk_mov_b32 v[8:9], v[6:7], v[6:7] op_sel:[0,1]
	v_mov_b32_e32 v12, 0
	s_and_saveexec_b64 s[8:9], vcc
	s_cbranch_execz .LBB199_102
; %bb.101:
	v_lshlrev_b32_e32 v8, 1, v0
	global_load_ushort v12, v8, s[12:13] offset:1024
	global_load_ushort v14, v8, s[14:15] offset:1024
	v_mov_b32_e32 v9, s29
	v_add_co_u32_e64 v8, s[2:3], s28, v13
	v_addc_co_u32_e64 v9, s[2:3], 0, v9, s[2:3]
	s_waitcnt vmcnt(0)
	v_cmp_ne_u16_e64 s[2:3], v12, v14
	v_cndmask_b32_e64 v12, 0, 1, s[2:3]
.LBB199_102:
	s_or_b64 exec, exec, s[8:9]
	v_or_b32_e32 v13, 0x300, v0
	v_cmp_gt_u32_e64 s[2:3], s30, v13
	s_and_saveexec_b64 s[16:17], s[2:3]
	s_cbranch_execnz .LBB199_247
; %bb.103:
	s_or_b64 exec, exec, s[16:17]
	s_and_saveexec_b64 s[12:13], s[0:1]
	s_cbranch_execnz .LBB199_248
.LBB199_104:
	s_or_b64 exec, exec, s[12:13]
	s_and_saveexec_b64 s[8:9], vcc
	s_cbranch_execnz .LBB199_249
.LBB199_105:
	s_or_b64 exec, exec, s[8:9]
	s_and_saveexec_b64 s[8:9], s[2:3]
	s_cbranch_execz .LBB199_107
.LBB199_106:
	v_and_b32_e32 v4, 1, v11
	v_cmp_lt_i64_e32 vcc, v[6:7], v[2:3]
	v_cmp_eq_u32_e64 s[0:1], 1, v4
	v_and_b32_e32 v1, 1, v10
	s_and_b64 vcc, s[0:1], vcc
	v_cndmask_b32_e64 v4, v10, 1, s[0:1]
	v_cndmask_b32_e32 v2, v2, v6, vcc
	v_cndmask_b32_e32 v3, v3, v7, vcc
	v_cmp_eq_u32_e32 vcc, 1, v1
	v_cndmask_b32_e32 v10, v11, v4, vcc
	v_cndmask_b32_e32 v3, v7, v3, vcc
	;; [unrolled: 1-line block ×3, first 2 shown]
.LBB199_107:
	s_or_b64 exec, exec, s[8:9]
	v_mbcnt_lo_u32_b32 v1, -1, 0
	v_mbcnt_hi_u32_b32 v1, -1, v1
	v_and_b32_e32 v7, 63, v1
	v_cmp_ne_u32_e32 vcc, 63, v7
	v_addc_co_u32_e32 v4, vcc, 0, v1, vcc
	v_and_b32_e32 v6, 0xffff, v10
	v_lshlrev_b32_e32 v5, 2, v4
	ds_bpermute_b32 v11, v5, v6
	ds_bpermute_b32 v4, v5, v2
	;; [unrolled: 1-line block ×3, first 2 shown]
	s_min_u32 s8, s30, 0x100
	v_and_b32_e32 v8, 0xc0, v0
	v_sub_u32_e64 v9, s8, v8 clamp
	v_add_u32_e32 v8, 1, v7
	v_cmp_lt_u32_e32 vcc, v8, v9
	v_mov_b32_e32 v8, v6
	s_and_saveexec_b64 s[0:1], vcc
	s_xor_b64 s[2:3], exec, s[0:1]
	s_cbranch_execz .LBB199_109
; %bb.108:
	v_and_b32_e32 v8, 1, v10
	s_waitcnt lgkmcnt(2)
	v_and_b32_e32 v10, 1, v11
	s_waitcnt lgkmcnt(0)
	v_cmp_lt_i64_e32 vcc, v[4:5], v[2:3]
	v_cmp_eq_u32_e64 s[0:1], 1, v10
	s_and_b64 vcc, s[0:1], vcc
	v_cndmask_b32_e64 v6, v6, 1, s[0:1]
	v_cndmask_b32_e32 v2, v2, v4, vcc
	v_cndmask_b32_e32 v3, v3, v5, vcc
	v_cmp_eq_u32_e32 vcc, 1, v8
	v_cndmask_b32_e32 v8, v11, v6, vcc
	v_cndmask_b32_e32 v3, v5, v3, vcc
	;; [unrolled: 1-line block ×3, first 2 shown]
	v_and_b32_e32 v6, 0xff, v8
.LBB199_109:
	s_or_b64 exec, exec, s[2:3]
	v_cmp_gt_u32_e32 vcc, 62, v7
	s_waitcnt lgkmcnt(1)
	v_cndmask_b32_e64 v4, 0, 1, vcc
	v_lshlrev_b32_e32 v4, 1, v4
	s_waitcnt lgkmcnt(0)
	v_add_lshl_u32 v5, v4, v1, 2
	ds_bpermute_b32 v10, v5, v6
	ds_bpermute_b32 v4, v5, v2
	ds_bpermute_b32 v5, v5, v3
	v_add_u32_e32 v11, 2, v7
	v_cmp_lt_u32_e32 vcc, v11, v9
	s_and_saveexec_b64 s[2:3], vcc
	s_cbranch_execz .LBB199_111
; %bb.110:
	s_waitcnt lgkmcnt(2)
	v_and_b32_e32 v11, 1, v10
	s_waitcnt lgkmcnt(0)
	v_cmp_lt_i64_e32 vcc, v[4:5], v[2:3]
	v_cmp_eq_u32_e64 s[0:1], 1, v11
	v_and_b32_e32 v6, 1, v8
	s_and_b64 vcc, s[0:1], vcc
	v_cndmask_b32_e64 v8, v8, 1, s[0:1]
	v_cndmask_b32_e32 v2, v2, v4, vcc
	v_cndmask_b32_e32 v3, v3, v5, vcc
	v_cmp_eq_u32_e32 vcc, 1, v6
	v_cndmask_b32_e32 v8, v10, v8, vcc
	v_cndmask_b32_e32 v3, v5, v3, vcc
	v_cndmask_b32_e32 v2, v4, v2, vcc
	v_and_b32_e32 v6, 0xff, v8
.LBB199_111:
	s_or_b64 exec, exec, s[2:3]
	v_cmp_gt_u32_e32 vcc, 60, v7
	s_waitcnt lgkmcnt(1)
	v_cndmask_b32_e64 v4, 0, 1, vcc
	v_lshlrev_b32_e32 v4, 2, v4
	s_waitcnt lgkmcnt(0)
	v_add_lshl_u32 v5, v4, v1, 2
	ds_bpermute_b32 v10, v5, v6
	ds_bpermute_b32 v4, v5, v2
	ds_bpermute_b32 v5, v5, v3
	v_add_u32_e32 v11, 4, v7
	v_cmp_lt_u32_e32 vcc, v11, v9
	s_and_saveexec_b64 s[2:3], vcc
	s_cbranch_execz .LBB199_113
; %bb.112:
	s_waitcnt lgkmcnt(2)
	v_and_b32_e32 v11, 1, v10
	s_waitcnt lgkmcnt(0)
	v_cmp_lt_i64_e32 vcc, v[4:5], v[2:3]
	v_cmp_eq_u32_e64 s[0:1], 1, v11
	v_and_b32_e32 v6, 1, v8
	s_and_b64 vcc, s[0:1], vcc
	v_cndmask_b32_e64 v8, v8, 1, s[0:1]
	v_cndmask_b32_e32 v2, v2, v4, vcc
	v_cndmask_b32_e32 v3, v3, v5, vcc
	v_cmp_eq_u32_e32 vcc, 1, v6
	v_cndmask_b32_e32 v8, v10, v8, vcc
	v_cndmask_b32_e32 v3, v5, v3, vcc
	v_cndmask_b32_e32 v2, v4, v2, vcc
	v_and_b32_e32 v6, 0xff, v8
.LBB199_113:
	;; [unrolled: 31-line block ×5, first 2 shown]
	s_or_b64 exec, exec, s[2:3]
	v_cmp_eq_u32_e32 vcc, 0, v1
	s_and_saveexec_b64 s[0:1], vcc
	s_cbranch_execz .LBB199_121
; %bb.120:
	s_waitcnt lgkmcnt(1)
	v_lshrrev_b32_e32 v4, 2, v0
	v_and_b32_e32 v4, 48, v4
	ds_write_b8 v4, v8 offset:256
	ds_write_b64 v4, v[2:3] offset:264
.LBB199_121:
	s_or_b64 exec, exec, s[0:1]
	v_cmp_gt_u32_e32 vcc, 4, v0
	s_waitcnt lgkmcnt(0)
	s_barrier
	s_and_saveexec_b64 s[2:3], vcc
	s_cbranch_execz .LBB199_127
; %bb.122:
	v_lshlrev_b32_e32 v2, 4, v1
	ds_read_u8 v7, v2 offset:256
	ds_read_b64 v[2:3], v2 offset:264
	v_and_b32_e32 v8, 3, v1
	v_cmp_ne_u32_e32 vcc, 3, v8
	v_addc_co_u32_e32 v4, vcc, 0, v1, vcc
	s_waitcnt lgkmcnt(1)
	v_and_b32_e32 v6, 0xff, v7
	v_lshlrev_b32_e32 v5, 2, v4
	ds_bpermute_b32 v9, v5, v6
	s_waitcnt lgkmcnt(1)
	ds_bpermute_b32 v4, v5, v2
	ds_bpermute_b32 v5, v5, v3
	s_add_i32 s8, s8, 63
	s_lshr_b32 s12, s8, 6
	v_add_u32_e32 v10, 1, v8
	v_cmp_gt_u32_e32 vcc, s12, v10
	s_and_saveexec_b64 s[8:9], vcc
	s_cbranch_execz .LBB199_124
; %bb.123:
	s_waitcnt lgkmcnt(2)
	v_and_b32_e32 v10, 1, v9
	s_waitcnt lgkmcnt(0)
	v_cmp_lt_i64_e32 vcc, v[4:5], v[2:3]
	v_cmp_eq_u32_e64 s[0:1], 1, v10
	v_and_b32_e32 v6, 1, v7
	s_and_b64 vcc, s[0:1], vcc
	v_cndmask_b32_e64 v7, v7, 1, s[0:1]
	v_cndmask_b32_e32 v2, v2, v4, vcc
	v_cndmask_b32_e32 v3, v3, v5, vcc
	v_cmp_eq_u32_e32 vcc, 1, v6
	v_cndmask_b32_e32 v7, v9, v7, vcc
	v_cndmask_b32_e32 v3, v5, v3, vcc
	;; [unrolled: 1-line block ×3, first 2 shown]
	v_and_b32_e32 v6, 0xff, v7
.LBB199_124:
	s_or_b64 exec, exec, s[8:9]
	v_cmp_gt_u32_e32 vcc, 2, v8
	s_waitcnt lgkmcnt(1)
	v_cndmask_b32_e64 v4, 0, 1, vcc
	v_lshlrev_b32_e32 v4, 1, v4
	s_waitcnt lgkmcnt(0)
	v_add_lshl_u32 v5, v4, v1, 2
	ds_bpermute_b32 v1, v5, v6
	ds_bpermute_b32 v4, v5, v2
	;; [unrolled: 1-line block ×3, first 2 shown]
	v_add_u32_e32 v8, 2, v8
	v_cmp_gt_u32_e32 vcc, s12, v8
	s_and_saveexec_b64 s[8:9], vcc
	s_cbranch_execz .LBB199_126
; %bb.125:
	s_waitcnt lgkmcnt(2)
	v_and_b32_e32 v8, 1, v1
	s_waitcnt lgkmcnt(0)
	v_cmp_lt_i64_e32 vcc, v[4:5], v[2:3]
	v_cmp_eq_u32_e64 s[0:1], 1, v8
	v_and_b32_e32 v6, 1, v7
	s_and_b64 vcc, s[0:1], vcc
	v_cndmask_b32_e64 v7, v7, 1, s[0:1]
	v_cndmask_b32_e32 v2, v2, v4, vcc
	v_cndmask_b32_e32 v3, v3, v5, vcc
	v_cmp_eq_u32_e32 vcc, 1, v6
	v_cndmask_b32_e32 v1, v1, v7, vcc
	v_cndmask_b32_e32 v3, v5, v3, vcc
	;; [unrolled: 1-line block ×3, first 2 shown]
	v_and_b32_e32 v6, 0xff, v1
.LBB199_126:
	s_or_b64 exec, exec, s[8:9]
.LBB199_127:
	s_or_b64 exec, exec, s[2:3]
.LBB199_128:
	v_cmp_eq_u32_e32 vcc, 0, v0
                                        ; implicit-def: $vgpr4_vgpr5
                                        ; implicit-def: $vgpr1
	s_and_saveexec_b64 s[0:1], vcc
	s_xor_b64 s[8:9], exec, s[0:1]
	s_cbranch_execz .LBB199_132
; %bb.129:
	s_cmp_eq_u64 s[22:23], 0
	s_waitcnt lgkmcnt(0)
	v_pk_mov_b32 v[4:5], s[18:19], s[18:19] op_sel:[0,1]
	v_mov_b32_e32 v1, s33
	s_cbranch_scc1 .LBB199_131
; %bb.130:
	v_and_b32_e32 v1, 1, v6
	s_bitcmp1_b32 s33, 0
	v_mov_b32_e32 v4, s33
	v_cmp_eq_u32_e32 vcc, 1, v1
	v_cmp_gt_i64_e64 s[2:3], s[18:19], v[2:3]
	v_cndmask_b32_e64 v1, v4, 1, vcc
	s_cselect_b64 s[0:1], -1, 0
	v_mov_b32_e32 v4, s18
	s_and_b64 vcc, vcc, s[2:3]
	v_mov_b32_e32 v5, s19
	v_cndmask_b32_e32 v4, v4, v2, vcc
	v_cndmask_b32_e32 v5, v5, v3, vcc
	v_cndmask_b32_e64 v1, v6, v1, s[0:1]
	v_cndmask_b32_e64 v5, v3, v5, s[0:1]
	;; [unrolled: 1-line block ×3, first 2 shown]
.LBB199_131:
	s_or_b64 s[10:11], s[10:11], exec
.LBB199_132:
	s_or_b64 exec, exec, s[8:9]
	s_branch .LBB199_208
.LBB199_133:
	s_cmp_gt_i32 s38, 1
	s_cbranch_scc0 .LBB199_153
; %bb.134:
	s_cmp_eq_u32 s38, 2
	s_cbranch_scc0 .LBB199_154
; %bb.135:
	s_mov_b32 s7, 0
	s_lshl_b32 s12, s6, 9
	s_mov_b32 s13, s7
	s_lshr_b64 s[0:1], s[22:23], 9
	s_lshl_b64 s[8:9], s[12:13], 1
	s_add_u32 s2, s24, s8
	s_addc_u32 s3, s25, s9
	s_add_u32 s8, s26, s8
	s_addc_u32 s9, s27, s9
	;; [unrolled: 2-line block ×3, first 2 shown]
	s_cmp_lg_u64 s[0:1], s[6:7]
	s_cbranch_scc0 .LBB199_155
; %bb.136:
	s_waitcnt lgkmcnt(2)
	v_lshlrev_b32_e32 v1, 1, v0
	global_load_ushort v2, v1, s[8:9] offset:512
	global_load_ushort v3, v1, s[8:9]
	s_waitcnt lgkmcnt(1)
	global_load_ushort v4, v1, s[2:3] offset:512
	s_waitcnt lgkmcnt(0)
	global_load_ushort v5, v1, s[2:3]
	v_mov_b32_e32 v1, s17
	v_add_co_u32_e32 v6, vcc, s16, v0
	v_addc_co_u32_e32 v1, vcc, 0, v1, vcc
	v_add_co_u32_e32 v7, vcc, 0x100, v6
	v_addc_co_u32_e32 v8, vcc, 0, v1, vcc
	s_waitcnt vmcnt(1)
	v_cmp_ne_u16_e32 vcc, v4, v2
	s_waitcnt vmcnt(0)
	v_cmp_ne_u16_e64 s[0:1], v5, v3
	v_cndmask_b32_e64 v3, v8, v1, s[0:1]
	v_cndmask_b32_e64 v2, v7, v6, s[0:1]
	s_or_b64 s[0:1], s[0:1], vcc
	v_cndmask_b32_e64 v1, 0, 1, s[0:1]
	v_mov_b32_dpp v4, v2 quad_perm:[1,0,3,2] row_mask:0xf bank_mask:0xf bound_ctrl:1
	v_mov_b32_dpp v5, v3 quad_perm:[1,0,3,2] row_mask:0xf bank_mask:0xf bound_ctrl:1
	;; [unrolled: 1-line block ×3, first 2 shown]
	v_and_b32_e32 v7, 1, v6
	v_cmp_eq_u32_e32 vcc, 1, v7
	s_and_saveexec_b64 s[14:15], vcc
; %bb.137:
	v_cmp_lt_i64_e32 vcc, v[2:3], v[4:5]
	v_cndmask_b32_e64 v6, v6, 1, s[0:1]
	s_and_b64 vcc, s[0:1], vcc
	v_cndmask_b32_e32 v2, v4, v2, vcc
	v_and_b32_e32 v4, 1, v6
	v_cndmask_b32_e32 v3, v5, v3, vcc
	v_cmp_eq_u32_e32 vcc, 1, v4
	s_andn2_b64 s[0:1], s[0:1], exec
	s_and_b64 s[28:29], vcc, exec
	v_and_b32_e32 v1, 0xff, v6
	s_or_b64 s[0:1], s[0:1], s[28:29]
; %bb.138:
	s_or_b64 exec, exec, s[14:15]
	v_mov_b32_dpp v6, v1 quad_perm:[2,3,0,1] row_mask:0xf bank_mask:0xf bound_ctrl:1
	v_and_b32_e32 v7, 1, v6
	v_mov_b32_dpp v4, v2 quad_perm:[2,3,0,1] row_mask:0xf bank_mask:0xf bound_ctrl:1
	v_mov_b32_dpp v5, v3 quad_perm:[2,3,0,1] row_mask:0xf bank_mask:0xf bound_ctrl:1
	v_cmp_eq_u32_e32 vcc, 1, v7
	s_and_saveexec_b64 s[14:15], vcc
; %bb.139:
	v_cmp_lt_i64_e32 vcc, v[2:3], v[4:5]
	v_cndmask_b32_e64 v6, v6, 1, s[0:1]
	s_and_b64 vcc, s[0:1], vcc
	v_cndmask_b32_e32 v2, v4, v2, vcc
	v_and_b32_e32 v4, 1, v6
	v_cndmask_b32_e32 v3, v5, v3, vcc
	v_cmp_eq_u32_e32 vcc, 1, v4
	s_andn2_b64 s[0:1], s[0:1], exec
	s_and_b64 s[28:29], vcc, exec
	v_and_b32_e32 v1, 0xff, v6
	s_or_b64 s[0:1], s[0:1], s[28:29]
; %bb.140:
	s_or_b64 exec, exec, s[14:15]
	v_mov_b32_dpp v6, v1 row_ror:4 row_mask:0xf bank_mask:0xf bound_ctrl:1
	v_and_b32_e32 v7, 1, v6
	v_mov_b32_dpp v4, v2 row_ror:4 row_mask:0xf bank_mask:0xf bound_ctrl:1
	v_mov_b32_dpp v5, v3 row_ror:4 row_mask:0xf bank_mask:0xf bound_ctrl:1
	v_cmp_eq_u32_e32 vcc, 1, v7
	s_and_saveexec_b64 s[14:15], vcc
; %bb.141:
	v_cmp_lt_i64_e32 vcc, v[2:3], v[4:5]
	v_cndmask_b32_e64 v6, v6, 1, s[0:1]
	s_and_b64 vcc, s[0:1], vcc
	v_cndmask_b32_e32 v2, v4, v2, vcc
	v_and_b32_e32 v4, 1, v6
	v_cndmask_b32_e32 v3, v5, v3, vcc
	v_cmp_eq_u32_e32 vcc, 1, v4
	s_andn2_b64 s[0:1], s[0:1], exec
	s_and_b64 s[28:29], vcc, exec
	v_and_b32_e32 v1, 0xff, v6
	s_or_b64 s[0:1], s[0:1], s[28:29]
; %bb.142:
	s_or_b64 exec, exec, s[14:15]
	v_mov_b32_dpp v6, v1 row_ror:8 row_mask:0xf bank_mask:0xf bound_ctrl:1
	v_and_b32_e32 v7, 1, v6
	v_mov_b32_dpp v4, v2 row_ror:8 row_mask:0xf bank_mask:0xf bound_ctrl:1
	v_mov_b32_dpp v5, v3 row_ror:8 row_mask:0xf bank_mask:0xf bound_ctrl:1
	v_cmp_eq_u32_e32 vcc, 1, v7
	s_and_saveexec_b64 s[14:15], vcc
; %bb.143:
	v_cmp_lt_i64_e32 vcc, v[2:3], v[4:5]
	v_cndmask_b32_e64 v6, v6, 1, s[0:1]
	s_and_b64 vcc, s[0:1], vcc
	v_cndmask_b32_e32 v2, v4, v2, vcc
	v_and_b32_e32 v4, 1, v6
	v_cndmask_b32_e32 v3, v5, v3, vcc
	v_cmp_eq_u32_e32 vcc, 1, v4
	s_andn2_b64 s[0:1], s[0:1], exec
	s_and_b64 s[28:29], vcc, exec
	v_and_b32_e32 v1, 0xff, v6
	s_or_b64 s[0:1], s[0:1], s[28:29]
; %bb.144:
	s_or_b64 exec, exec, s[14:15]
	v_mov_b32_dpp v6, v1 row_bcast:15 row_mask:0xf bank_mask:0xf bound_ctrl:1
	v_and_b32_e32 v7, 1, v6
	v_mov_b32_dpp v4, v2 row_bcast:15 row_mask:0xf bank_mask:0xf bound_ctrl:1
	v_mov_b32_dpp v5, v3 row_bcast:15 row_mask:0xf bank_mask:0xf bound_ctrl:1
	v_cmp_eq_u32_e32 vcc, 1, v7
	s_and_saveexec_b64 s[14:15], vcc
; %bb.145:
	v_cmp_lt_i64_e32 vcc, v[2:3], v[4:5]
	v_cndmask_b32_e64 v6, v6, 1, s[0:1]
	s_and_b64 vcc, s[0:1], vcc
	v_cndmask_b32_e32 v2, v4, v2, vcc
	v_and_b32_e32 v4, 1, v6
	v_cndmask_b32_e32 v3, v5, v3, vcc
	v_cmp_eq_u32_e32 vcc, 1, v4
	s_andn2_b64 s[0:1], s[0:1], exec
	s_and_b64 s[28:29], vcc, exec
	v_and_b32_e32 v1, 0xff, v6
	s_or_b64 s[0:1], s[0:1], s[28:29]
; %bb.146:
	s_or_b64 exec, exec, s[14:15]
	v_mov_b32_dpp v6, v1 row_bcast:31 row_mask:0xf bank_mask:0xf bound_ctrl:1
	v_and_b32_e32 v7, 1, v6
	v_mov_b32_dpp v4, v2 row_bcast:31 row_mask:0xf bank_mask:0xf bound_ctrl:1
	v_mov_b32_dpp v5, v3 row_bcast:31 row_mask:0xf bank_mask:0xf bound_ctrl:1
	v_cmp_eq_u32_e32 vcc, 1, v7
	s_and_saveexec_b64 s[14:15], vcc
; %bb.147:
	v_cmp_lt_i64_e32 vcc, v[2:3], v[4:5]
	v_and_b32_e32 v1, 0xff, v6
	s_and_b64 vcc, s[0:1], vcc
	v_cndmask_b32_e32 v2, v4, v2, vcc
	v_cndmask_b32_e32 v3, v5, v3, vcc
	v_cndmask_b32_e64 v1, v1, 1, s[0:1]
; %bb.148:
	s_or_b64 exec, exec, s[14:15]
	v_mbcnt_lo_u32_b32 v4, -1, 0
	v_mbcnt_hi_u32_b32 v4, -1, v4
	v_bfrev_b32_e32 v5, 0.5
	v_lshl_or_b32 v5, v4, 2, v5
	ds_bpermute_b32 v6, v5, v1
	ds_bpermute_b32 v2, v5, v2
	;; [unrolled: 1-line block ×3, first 2 shown]
	v_cmp_eq_u32_e32 vcc, 0, v4
	s_and_saveexec_b64 s[0:1], vcc
	s_cbranch_execz .LBB199_150
; %bb.149:
	v_lshrrev_b32_e32 v1, 2, v0
	v_and_b32_e32 v1, 48, v1
	s_waitcnt lgkmcnt(2)
	ds_write_b8 v1, v6 offset:64
	s_waitcnt lgkmcnt(1)
	ds_write_b64 v1, v[2:3] offset:72
.LBB199_150:
	s_or_b64 exec, exec, s[0:1]
	v_cmp_gt_u32_e32 vcc, 64, v0
	s_waitcnt lgkmcnt(0)
	s_barrier
	s_and_saveexec_b64 s[14:15], vcc
	s_cbranch_execz .LBB199_152
; %bb.151:
	v_and_b32_e32 v1, 3, v4
	v_lshlrev_b32_e32 v2, 4, v1
	ds_read_u8 v5, v2 offset:64
	ds_read_b64 v[2:3], v2 offset:72
	v_cmp_ne_u32_e32 vcc, 3, v1
	v_addc_co_u32_e32 v6, vcc, 0, v4, vcc
	s_waitcnt lgkmcnt(1)
	v_and_b32_e32 v7, 0xff, v5
	v_lshlrev_b32_e32 v8, 2, v6
	ds_bpermute_b32 v9, v8, v7
	s_waitcnt lgkmcnt(1)
	ds_bpermute_b32 v6, v8, v2
	ds_bpermute_b32 v7, v8, v3
	v_and_b32_e32 v8, 1, v5
	s_waitcnt lgkmcnt(2)
	v_and_b32_e32 v10, 1, v9
	v_cmp_eq_u32_e64 s[0:1], 1, v10
	s_waitcnt lgkmcnt(0)
	v_cmp_lt_i64_e32 vcc, v[6:7], v[2:3]
	s_and_b64 vcc, s[0:1], vcc
	v_cndmask_b32_e64 v5, v5, 1, s[0:1]
	v_cndmask_b32_e32 v2, v2, v6, vcc
	v_cndmask_b32_e32 v3, v3, v7, vcc
	v_cmp_eq_u32_e32 vcc, 1, v8
	v_cndmask_b32_e32 v8, v9, v5, vcc
	v_cndmask_b32_e32 v3, v7, v3, vcc
	;; [unrolled: 1-line block ×3, first 2 shown]
	v_cmp_gt_u32_e32 vcc, 2, v1
	v_cndmask_b32_e64 v1, 0, 1, vcc
	v_lshlrev_b32_e32 v1, 1, v1
	v_and_b32_e32 v5, 0xff, v8
	v_add_lshl_u32 v1, v1, v4, 2
	ds_bpermute_b32 v6, v1, v5
	ds_bpermute_b32 v4, v1, v2
	;; [unrolled: 1-line block ×3, first 2 shown]
	v_and_b32_e32 v1, 1, v8
	s_waitcnt lgkmcnt(2)
	v_and_b32_e32 v7, 1, v6
	v_cmp_eq_u32_e64 s[0:1], 1, v7
	s_waitcnt lgkmcnt(0)
	v_cmp_lt_i64_e32 vcc, v[4:5], v[2:3]
	s_and_b64 vcc, s[0:1], vcc
	v_cndmask_b32_e64 v7, v8, 1, s[0:1]
	v_cndmask_b32_e32 v2, v2, v4, vcc
	v_cndmask_b32_e32 v3, v3, v5, vcc
	v_cmp_eq_u32_e32 vcc, 1, v1
	v_cndmask_b32_e32 v1, v6, v7, vcc
	v_cndmask_b32_e32 v3, v5, v3, vcc
	;; [unrolled: 1-line block ×3, first 2 shown]
	v_and_b32_e32 v6, 0xff, v1
.LBB199_152:
	s_or_b64 exec, exec, s[14:15]
	s_branch .LBB199_183
.LBB199_153:
                                        ; implicit-def: $vgpr4_vgpr5
                                        ; implicit-def: $vgpr1
	s_cbranch_execnz .LBB199_188
	s_branch .LBB199_208
.LBB199_154:
                                        ; implicit-def: $vgpr4_vgpr5
                                        ; implicit-def: $vgpr1
	s_branch .LBB199_208
.LBB199_155:
                                        ; implicit-def: $vgpr2_vgpr3
                                        ; implicit-def: $vgpr6
	s_cbranch_execz .LBB199_183
; %bb.156:
	s_sub_i32 s14, s22, s12
	s_waitcnt lgkmcnt(0)
	v_pk_mov_b32 v[4:5], 0, 0
	v_cmp_gt_u32_e32 vcc, s14, v0
	v_mov_b32_e32 v1, 0
	v_pk_mov_b32 v[2:3], v[4:5], v[4:5] op_sel:[0,1]
	v_mov_b32_e32 v7, 0
	s_and_saveexec_b64 s[0:1], vcc
	s_cbranch_execz .LBB199_158
; %bb.157:
	v_lshlrev_b32_e32 v2, 1, v0
	global_load_ushort v6, v2, s[2:3]
	global_load_ushort v7, v2, s[8:9]
	v_mov_b32_e32 v3, s17
	v_add_co_u32_e32 v2, vcc, s16, v0
	v_addc_co_u32_e32 v3, vcc, 0, v3, vcc
	s_waitcnt vmcnt(0)
	v_cmp_ne_u16_e32 vcc, v6, v7
	v_cndmask_b32_e64 v7, 0, 1, vcc
.LBB199_158:
	s_or_b64 exec, exec, s[0:1]
	v_or_b32_e32 v6, 0x100, v0
	v_cmp_gt_u32_e32 vcc, s14, v6
	s_and_saveexec_b64 s[12:13], vcc
	s_cbranch_execz .LBB199_160
; %bb.159:
	v_lshlrev_b32_e32 v1, 1, v0
	global_load_ushort v8, v1, s[2:3] offset:512
	global_load_ushort v9, v1, s[8:9] offset:512
	v_mov_b32_e32 v1, s17
	v_add_co_u32_e64 v4, s[0:1], s16, v6
	v_addc_co_u32_e64 v5, s[0:1], 0, v1, s[0:1]
	s_waitcnt vmcnt(0)
	v_cmp_ne_u16_e64 s[0:1], v8, v9
	v_cndmask_b32_e64 v1, 0, 1, s[0:1]
.LBB199_160:
	s_or_b64 exec, exec, s[12:13]
	s_and_saveexec_b64 s[2:3], vcc
	s_cbranch_execz .LBB199_162
; %bb.161:
	v_and_b32_e32 v8, 1, v1
	v_cmp_lt_i64_e32 vcc, v[4:5], v[2:3]
	v_cmp_eq_u32_e64 s[0:1], 1, v8
	v_and_b32_e32 v6, 1, v7
	s_and_b64 vcc, s[0:1], vcc
	v_cndmask_b32_e64 v7, v7, 1, s[0:1]
	v_cndmask_b32_e32 v2, v2, v4, vcc
	v_cndmask_b32_e32 v3, v3, v5, vcc
	v_cmp_eq_u32_e32 vcc, 1, v6
	v_cndmask_b32_e32 v7, v1, v7, vcc
	v_cndmask_b32_e32 v3, v5, v3, vcc
	;; [unrolled: 1-line block ×3, first 2 shown]
.LBB199_162:
	s_or_b64 exec, exec, s[2:3]
	v_mbcnt_lo_u32_b32 v1, -1, 0
	v_mbcnt_hi_u32_b32 v1, -1, v1
	v_and_b32_e32 v8, 63, v1
	v_cmp_ne_u32_e32 vcc, 63, v8
	v_addc_co_u32_e32 v4, vcc, 0, v1, vcc
	v_and_b32_e32 v6, 0xffff, v7
	v_lshlrev_b32_e32 v5, 2, v4
	ds_bpermute_b32 v10, v5, v6
	ds_bpermute_b32 v4, v5, v2
	;; [unrolled: 1-line block ×3, first 2 shown]
	s_min_u32 s8, s14, 0x100
	v_and_b32_e32 v9, 0xc0, v0
	v_sub_u32_e64 v9, s8, v9 clamp
	v_add_u32_e32 v11, 1, v8
	v_cmp_lt_u32_e32 vcc, v11, v9
	s_and_saveexec_b64 s[2:3], vcc
	s_cbranch_execz .LBB199_164
; %bb.163:
	s_waitcnt lgkmcnt(2)
	v_and_b32_e32 v11, 1, v10
	s_waitcnt lgkmcnt(0)
	v_cmp_lt_i64_e32 vcc, v[4:5], v[2:3]
	v_cmp_eq_u32_e64 s[0:1], 1, v11
	v_and_b32_e32 v6, 1, v7
	s_and_b64 vcc, s[0:1], vcc
	v_cndmask_b32_e64 v7, v7, 1, s[0:1]
	v_cndmask_b32_e32 v2, v2, v4, vcc
	v_cndmask_b32_e32 v3, v3, v5, vcc
	v_cmp_eq_u32_e32 vcc, 1, v6
	v_cndmask_b32_e32 v7, v10, v7, vcc
	v_cndmask_b32_e32 v3, v5, v3, vcc
	v_cndmask_b32_e32 v2, v4, v2, vcc
	v_and_b32_e32 v6, 0xff, v7
.LBB199_164:
	s_or_b64 exec, exec, s[2:3]
	v_cmp_gt_u32_e32 vcc, 62, v8
	s_waitcnt lgkmcnt(1)
	v_cndmask_b32_e64 v4, 0, 1, vcc
	v_lshlrev_b32_e32 v4, 1, v4
	s_waitcnt lgkmcnt(0)
	v_add_lshl_u32 v5, v4, v1, 2
	ds_bpermute_b32 v10, v5, v6
	ds_bpermute_b32 v4, v5, v2
	ds_bpermute_b32 v5, v5, v3
	v_add_u32_e32 v11, 2, v8
	v_cmp_lt_u32_e32 vcc, v11, v9
	s_and_saveexec_b64 s[2:3], vcc
	s_cbranch_execz .LBB199_166
; %bb.165:
	s_waitcnt lgkmcnt(2)
	v_and_b32_e32 v11, 1, v10
	s_waitcnt lgkmcnt(0)
	v_cmp_lt_i64_e32 vcc, v[4:5], v[2:3]
	v_cmp_eq_u32_e64 s[0:1], 1, v11
	v_and_b32_e32 v6, 1, v7
	s_and_b64 vcc, s[0:1], vcc
	v_cndmask_b32_e64 v7, v7, 1, s[0:1]
	v_cndmask_b32_e32 v2, v2, v4, vcc
	v_cndmask_b32_e32 v3, v3, v5, vcc
	v_cmp_eq_u32_e32 vcc, 1, v6
	v_cndmask_b32_e32 v7, v10, v7, vcc
	v_cndmask_b32_e32 v3, v5, v3, vcc
	v_cndmask_b32_e32 v2, v4, v2, vcc
	v_and_b32_e32 v6, 0xff, v7
.LBB199_166:
	s_or_b64 exec, exec, s[2:3]
	v_cmp_gt_u32_e32 vcc, 60, v8
	s_waitcnt lgkmcnt(1)
	v_cndmask_b32_e64 v4, 0, 1, vcc
	v_lshlrev_b32_e32 v4, 2, v4
	s_waitcnt lgkmcnt(0)
	v_add_lshl_u32 v5, v4, v1, 2
	ds_bpermute_b32 v10, v5, v6
	ds_bpermute_b32 v4, v5, v2
	ds_bpermute_b32 v5, v5, v3
	;; [unrolled: 31-line block ×5, first 2 shown]
	v_add_u32_e32 v8, 32, v8
	v_cmp_lt_u32_e32 vcc, v8, v9
	s_and_saveexec_b64 s[2:3], vcc
	s_cbranch_execz .LBB199_174
; %bb.173:
	s_waitcnt lgkmcnt(2)
	v_and_b32_e32 v8, 1, v10
	s_waitcnt lgkmcnt(0)
	v_cmp_lt_i64_e32 vcc, v[4:5], v[2:3]
	v_cmp_eq_u32_e64 s[0:1], 1, v8
	v_and_b32_e32 v6, 1, v7
	s_and_b64 vcc, s[0:1], vcc
	v_cndmask_b32_e64 v7, v7, 1, s[0:1]
	v_cndmask_b32_e32 v2, v2, v4, vcc
	v_cndmask_b32_e32 v3, v3, v5, vcc
	v_cmp_eq_u32_e32 vcc, 1, v6
	v_cndmask_b32_e32 v7, v10, v7, vcc
	v_cndmask_b32_e32 v3, v5, v3, vcc
	;; [unrolled: 1-line block ×3, first 2 shown]
	v_and_b32_e32 v6, 0xff, v7
.LBB199_174:
	s_or_b64 exec, exec, s[2:3]
	v_cmp_eq_u32_e32 vcc, 0, v1
	s_and_saveexec_b64 s[0:1], vcc
	s_cbranch_execz .LBB199_176
; %bb.175:
	s_waitcnt lgkmcnt(1)
	v_lshrrev_b32_e32 v4, 2, v0
	v_and_b32_e32 v4, 48, v4
	ds_write_b8 v4, v7 offset:256
	ds_write_b64 v4, v[2:3] offset:264
.LBB199_176:
	s_or_b64 exec, exec, s[0:1]
	v_cmp_gt_u32_e32 vcc, 4, v0
	s_waitcnt lgkmcnt(0)
	s_barrier
	s_and_saveexec_b64 s[2:3], vcc
	s_cbranch_execz .LBB199_182
; %bb.177:
	v_lshlrev_b32_e32 v2, 4, v1
	ds_read_u8 v7, v2 offset:256
	ds_read_b64 v[2:3], v2 offset:264
	v_and_b32_e32 v8, 3, v1
	v_cmp_ne_u32_e32 vcc, 3, v8
	v_addc_co_u32_e32 v4, vcc, 0, v1, vcc
	s_waitcnt lgkmcnt(1)
	v_and_b32_e32 v6, 0xff, v7
	v_lshlrev_b32_e32 v5, 2, v4
	ds_bpermute_b32 v9, v5, v6
	s_waitcnt lgkmcnt(1)
	ds_bpermute_b32 v4, v5, v2
	ds_bpermute_b32 v5, v5, v3
	s_add_i32 s8, s8, 63
	s_lshr_b32 s12, s8, 6
	v_add_u32_e32 v10, 1, v8
	v_cmp_gt_u32_e32 vcc, s12, v10
	s_and_saveexec_b64 s[8:9], vcc
	s_cbranch_execz .LBB199_179
; %bb.178:
	s_waitcnt lgkmcnt(2)
	v_and_b32_e32 v10, 1, v9
	s_waitcnt lgkmcnt(0)
	v_cmp_lt_i64_e32 vcc, v[4:5], v[2:3]
	v_cmp_eq_u32_e64 s[0:1], 1, v10
	v_and_b32_e32 v6, 1, v7
	s_and_b64 vcc, s[0:1], vcc
	v_cndmask_b32_e64 v7, v7, 1, s[0:1]
	v_cndmask_b32_e32 v2, v2, v4, vcc
	v_cndmask_b32_e32 v3, v3, v5, vcc
	v_cmp_eq_u32_e32 vcc, 1, v6
	v_cndmask_b32_e32 v7, v9, v7, vcc
	v_cndmask_b32_e32 v3, v5, v3, vcc
	;; [unrolled: 1-line block ×3, first 2 shown]
	v_and_b32_e32 v6, 0xff, v7
.LBB199_179:
	s_or_b64 exec, exec, s[8:9]
	v_cmp_gt_u32_e32 vcc, 2, v8
	s_waitcnt lgkmcnt(1)
	v_cndmask_b32_e64 v4, 0, 1, vcc
	v_lshlrev_b32_e32 v4, 1, v4
	s_waitcnt lgkmcnt(0)
	v_add_lshl_u32 v5, v4, v1, 2
	ds_bpermute_b32 v1, v5, v6
	ds_bpermute_b32 v4, v5, v2
	;; [unrolled: 1-line block ×3, first 2 shown]
	v_add_u32_e32 v8, 2, v8
	v_cmp_gt_u32_e32 vcc, s12, v8
	s_and_saveexec_b64 s[8:9], vcc
	s_cbranch_execz .LBB199_181
; %bb.180:
	s_waitcnt lgkmcnt(2)
	v_and_b32_e32 v8, 1, v1
	s_waitcnt lgkmcnt(0)
	v_cmp_lt_i64_e32 vcc, v[4:5], v[2:3]
	v_cmp_eq_u32_e64 s[0:1], 1, v8
	v_and_b32_e32 v6, 1, v7
	s_and_b64 vcc, s[0:1], vcc
	v_cndmask_b32_e64 v7, v7, 1, s[0:1]
	v_cndmask_b32_e32 v2, v2, v4, vcc
	v_cndmask_b32_e32 v3, v3, v5, vcc
	v_cmp_eq_u32_e32 vcc, 1, v6
	v_cndmask_b32_e32 v1, v1, v7, vcc
	v_cndmask_b32_e32 v3, v5, v3, vcc
	;; [unrolled: 1-line block ×3, first 2 shown]
	v_and_b32_e32 v6, 0xff, v1
.LBB199_181:
	s_or_b64 exec, exec, s[8:9]
.LBB199_182:
	s_or_b64 exec, exec, s[2:3]
.LBB199_183:
	v_cmp_eq_u32_e32 vcc, 0, v0
                                        ; implicit-def: $vgpr4_vgpr5
                                        ; implicit-def: $vgpr1
	s_and_saveexec_b64 s[0:1], vcc
	s_xor_b64 s[8:9], exec, s[0:1]
	s_cbranch_execz .LBB199_187
; %bb.184:
	s_cmp_eq_u64 s[22:23], 0
	s_waitcnt lgkmcnt(0)
	v_pk_mov_b32 v[4:5], s[18:19], s[18:19] op_sel:[0,1]
	v_mov_b32_e32 v1, s33
	s_cbranch_scc1 .LBB199_186
; %bb.185:
	v_and_b32_e32 v1, 1, v6
	s_bitcmp1_b32 s33, 0
	v_mov_b32_e32 v4, s33
	v_cmp_eq_u32_e32 vcc, 1, v1
	v_cmp_gt_i64_e64 s[2:3], s[18:19], v[2:3]
	v_cndmask_b32_e64 v1, v4, 1, vcc
	s_cselect_b64 s[0:1], -1, 0
	v_mov_b32_e32 v4, s18
	s_and_b64 vcc, vcc, s[2:3]
	v_mov_b32_e32 v5, s19
	v_cndmask_b32_e32 v4, v4, v2, vcc
	v_cndmask_b32_e32 v5, v5, v3, vcc
	v_cndmask_b32_e64 v1, v6, v1, s[0:1]
	v_cndmask_b32_e64 v5, v3, v5, s[0:1]
	;; [unrolled: 1-line block ×3, first 2 shown]
.LBB199_186:
	s_or_b64 s[10:11], s[10:11], exec
.LBB199_187:
	s_or_b64 exec, exec, s[8:9]
	s_branch .LBB199_208
.LBB199_188:
	s_cmp_eq_u32 s38, 1
	s_cbranch_scc0 .LBB199_207
; %bb.189:
	s_mov_b32 s3, 0
	s_lshl_b32 s2, s6, 8
	s_mov_b32 s7, s3
	s_lshr_b64 s[0:1], s[22:23], 8
	s_cmp_lg_u64 s[0:1], s[6:7]
	s_cbranch_scc0 .LBB199_211
; %bb.190:
	s_lshl_b64 s[0:1], s[2:3], 1
	s_add_u32 s8, s24, s0
	s_addc_u32 s9, s25, s1
	s_add_u32 s0, s26, s0
	s_waitcnt lgkmcnt(2)
	v_lshlrev_b32_e32 v1, 1, v0
	s_addc_u32 s1, s27, s1
	s_waitcnt lgkmcnt(0)
	global_load_ushort v5, v1, s[8:9]
	global_load_ushort v6, v1, s[0:1]
	s_add_u32 s0, s20, s2
	s_addc_u32 s1, s21, 0
	v_mov_b32_e32 v1, s1
	v_add_co_u32_e32 v2, vcc, s0, v0
	v_addc_co_u32_e32 v3, vcc, 0, v1, vcc
	s_nop 0
	v_mov_b32_dpp v4, v2 quad_perm:[1,0,3,2] row_mask:0xf bank_mask:0xf bound_ctrl:1
	s_waitcnt vmcnt(0)
	v_cmp_ne_u16_e32 vcc, v5, v6
	v_cndmask_b32_e64 v1, 0, 1, vcc
	v_cndmask_b32_e64 v6, 0, 1, vcc
	v_mov_b32_dpp v5, v3 quad_perm:[1,0,3,2] row_mask:0xf bank_mask:0xf bound_ctrl:1
	v_mov_b32_dpp v1, v1 quad_perm:[1,0,3,2] row_mask:0xf bank_mask:0xf bound_ctrl:1
	v_and_b32_e32 v7, 1, v1
	v_cmp_eq_u32_e64 s[0:1], 1, v7
	s_and_saveexec_b64 s[8:9], s[0:1]
; %bb.191:
	v_cmp_lt_i64_e64 s[0:1], v[2:3], v[4:5]
	v_cndmask_b32_e64 v6, v1, 1, vcc
	s_and_b64 vcc, vcc, s[0:1]
	v_cndmask_b32_e32 v3, v5, v3, vcc
	v_cndmask_b32_e32 v2, v4, v2, vcc
; %bb.192:
	s_or_b64 exec, exec, s[8:9]
	v_and_b32_e32 v1, 0xff, v6
	v_and_b32_e32 v6, 1, v6
	v_mov_b32_dpp v4, v2 quad_perm:[2,3,0,1] row_mask:0xf bank_mask:0xf bound_ctrl:1
	v_mov_b32_dpp v7, v1 quad_perm:[2,3,0,1] row_mask:0xf bank_mask:0xf bound_ctrl:1
	v_and_b32_e32 v8, 1, v7
	v_mov_b32_dpp v5, v3 quad_perm:[2,3,0,1] row_mask:0xf bank_mask:0xf bound_ctrl:1
	v_cmp_eq_u32_e32 vcc, 1, v8
	v_cmp_eq_u32_e64 s[0:1], 1, v6
	s_and_saveexec_b64 s[8:9], vcc
; %bb.193:
	v_cmp_lt_i64_e32 vcc, v[2:3], v[4:5]
	v_cndmask_b32_e64 v6, v7, 1, s[0:1]
	s_and_b64 vcc, s[0:1], vcc
	v_cndmask_b32_e32 v2, v4, v2, vcc
	v_and_b32_e32 v4, 1, v6
	v_cndmask_b32_e32 v3, v5, v3, vcc
	v_cmp_eq_u32_e32 vcc, 1, v4
	s_andn2_b64 s[0:1], s[0:1], exec
	s_and_b64 s[12:13], vcc, exec
	v_and_b32_e32 v1, 0xff, v6
	s_or_b64 s[0:1], s[0:1], s[12:13]
; %bb.194:
	s_or_b64 exec, exec, s[8:9]
	v_mov_b32_dpp v6, v1 row_ror:4 row_mask:0xf bank_mask:0xf bound_ctrl:1
	v_and_b32_e32 v7, 1, v6
	v_mov_b32_dpp v4, v2 row_ror:4 row_mask:0xf bank_mask:0xf bound_ctrl:1
	v_mov_b32_dpp v5, v3 row_ror:4 row_mask:0xf bank_mask:0xf bound_ctrl:1
	v_cmp_eq_u32_e32 vcc, 1, v7
	s_and_saveexec_b64 s[8:9], vcc
; %bb.195:
	v_cmp_lt_i64_e32 vcc, v[2:3], v[4:5]
	v_cndmask_b32_e64 v6, v6, 1, s[0:1]
	s_and_b64 vcc, s[0:1], vcc
	v_cndmask_b32_e32 v2, v4, v2, vcc
	v_and_b32_e32 v4, 1, v6
	v_cndmask_b32_e32 v3, v5, v3, vcc
	v_cmp_eq_u32_e32 vcc, 1, v4
	s_andn2_b64 s[0:1], s[0:1], exec
	s_and_b64 s[12:13], vcc, exec
	v_and_b32_e32 v1, 0xff, v6
	s_or_b64 s[0:1], s[0:1], s[12:13]
; %bb.196:
	s_or_b64 exec, exec, s[8:9]
	v_mov_b32_dpp v6, v1 row_ror:8 row_mask:0xf bank_mask:0xf bound_ctrl:1
	v_and_b32_e32 v7, 1, v6
	v_mov_b32_dpp v4, v2 row_ror:8 row_mask:0xf bank_mask:0xf bound_ctrl:1
	v_mov_b32_dpp v5, v3 row_ror:8 row_mask:0xf bank_mask:0xf bound_ctrl:1
	v_cmp_eq_u32_e32 vcc, 1, v7
	s_and_saveexec_b64 s[8:9], vcc
; %bb.197:
	v_cmp_lt_i64_e32 vcc, v[2:3], v[4:5]
	v_cndmask_b32_e64 v6, v6, 1, s[0:1]
	s_and_b64 vcc, s[0:1], vcc
	v_cndmask_b32_e32 v2, v4, v2, vcc
	v_and_b32_e32 v4, 1, v6
	v_cndmask_b32_e32 v3, v5, v3, vcc
	v_cmp_eq_u32_e32 vcc, 1, v4
	s_andn2_b64 s[0:1], s[0:1], exec
	s_and_b64 s[12:13], vcc, exec
	v_and_b32_e32 v1, 0xff, v6
	s_or_b64 s[0:1], s[0:1], s[12:13]
; %bb.198:
	s_or_b64 exec, exec, s[8:9]
	v_mov_b32_dpp v6, v1 row_bcast:15 row_mask:0xf bank_mask:0xf bound_ctrl:1
	v_and_b32_e32 v7, 1, v6
	v_mov_b32_dpp v4, v2 row_bcast:15 row_mask:0xf bank_mask:0xf bound_ctrl:1
	v_mov_b32_dpp v5, v3 row_bcast:15 row_mask:0xf bank_mask:0xf bound_ctrl:1
	v_cmp_eq_u32_e32 vcc, 1, v7
	s_and_saveexec_b64 s[8:9], vcc
; %bb.199:
	v_cmp_lt_i64_e32 vcc, v[2:3], v[4:5]
	v_cndmask_b32_e64 v6, v6, 1, s[0:1]
	s_and_b64 vcc, s[0:1], vcc
	v_cndmask_b32_e32 v2, v4, v2, vcc
	v_and_b32_e32 v4, 1, v6
	v_cndmask_b32_e32 v3, v5, v3, vcc
	v_cmp_eq_u32_e32 vcc, 1, v4
	s_andn2_b64 s[0:1], s[0:1], exec
	s_and_b64 s[12:13], vcc, exec
	v_and_b32_e32 v1, 0xff, v6
	s_or_b64 s[0:1], s[0:1], s[12:13]
; %bb.200:
	s_or_b64 exec, exec, s[8:9]
	v_mov_b32_dpp v6, v1 row_bcast:31 row_mask:0xf bank_mask:0xf bound_ctrl:1
	v_and_b32_e32 v7, 1, v6
	v_mov_b32_dpp v4, v2 row_bcast:31 row_mask:0xf bank_mask:0xf bound_ctrl:1
	v_mov_b32_dpp v5, v3 row_bcast:31 row_mask:0xf bank_mask:0xf bound_ctrl:1
	v_cmp_eq_u32_e32 vcc, 1, v7
	s_and_saveexec_b64 s[8:9], vcc
; %bb.201:
	v_cmp_lt_i64_e32 vcc, v[2:3], v[4:5]
	v_and_b32_e32 v1, 0xff, v6
	s_and_b64 vcc, s[0:1], vcc
	v_cndmask_b32_e32 v2, v4, v2, vcc
	v_cndmask_b32_e32 v3, v5, v3, vcc
	v_cndmask_b32_e64 v1, v1, 1, s[0:1]
; %bb.202:
	s_or_b64 exec, exec, s[8:9]
	v_mbcnt_lo_u32_b32 v4, -1, 0
	v_mbcnt_hi_u32_b32 v4, -1, v4
	v_bfrev_b32_e32 v5, 0.5
	v_lshl_or_b32 v5, v4, 2, v5
	ds_bpermute_b32 v6, v5, v1
	ds_bpermute_b32 v2, v5, v2
	;; [unrolled: 1-line block ×3, first 2 shown]
	v_cmp_eq_u32_e32 vcc, 0, v4
	s_and_saveexec_b64 s[0:1], vcc
	s_cbranch_execz .LBB199_204
; %bb.203:
	v_lshrrev_b32_e32 v1, 2, v0
	v_and_b32_e32 v1, 48, v1
	s_waitcnt lgkmcnt(2)
	ds_write_b8 v1, v6
	s_waitcnt lgkmcnt(1)
	ds_write_b64 v1, v[2:3] offset:8
.LBB199_204:
	s_or_b64 exec, exec, s[0:1]
	v_cmp_gt_u32_e32 vcc, 64, v0
	s_waitcnt lgkmcnt(0)
	s_barrier
	s_and_saveexec_b64 s[8:9], vcc
	s_cbranch_execz .LBB199_206
; %bb.205:
	v_and_b32_e32 v1, 3, v4
	v_lshlrev_b32_e32 v2, 4, v1
	ds_read_u8 v5, v2
	ds_read_b64 v[2:3], v2 offset:8
	v_cmp_ne_u32_e32 vcc, 3, v1
	v_addc_co_u32_e32 v6, vcc, 0, v4, vcc
	s_waitcnt lgkmcnt(1)
	v_and_b32_e32 v7, 0xff, v5
	v_lshlrev_b32_e32 v8, 2, v6
	ds_bpermute_b32 v9, v8, v7
	s_waitcnt lgkmcnt(1)
	ds_bpermute_b32 v6, v8, v2
	ds_bpermute_b32 v7, v8, v3
	v_and_b32_e32 v8, 1, v5
	s_waitcnt lgkmcnt(2)
	v_and_b32_e32 v10, 1, v9
	v_cmp_eq_u32_e64 s[0:1], 1, v10
	s_waitcnt lgkmcnt(0)
	v_cmp_lt_i64_e32 vcc, v[6:7], v[2:3]
	s_and_b64 vcc, s[0:1], vcc
	v_cndmask_b32_e64 v5, v5, 1, s[0:1]
	v_cndmask_b32_e32 v2, v2, v6, vcc
	v_cndmask_b32_e32 v3, v3, v7, vcc
	v_cmp_eq_u32_e32 vcc, 1, v8
	v_cndmask_b32_e32 v8, v9, v5, vcc
	v_cndmask_b32_e32 v3, v7, v3, vcc
	;; [unrolled: 1-line block ×3, first 2 shown]
	v_cmp_gt_u32_e32 vcc, 2, v1
	v_cndmask_b32_e64 v1, 0, 1, vcc
	v_lshlrev_b32_e32 v1, 1, v1
	v_and_b32_e32 v5, 0xff, v8
	v_add_lshl_u32 v1, v1, v4, 2
	ds_bpermute_b32 v6, v1, v5
	ds_bpermute_b32 v4, v1, v2
	;; [unrolled: 1-line block ×3, first 2 shown]
	v_and_b32_e32 v1, 1, v8
	s_waitcnt lgkmcnt(2)
	v_and_b32_e32 v7, 1, v6
	v_cmp_eq_u32_e64 s[0:1], 1, v7
	s_waitcnt lgkmcnt(0)
	v_cmp_lt_i64_e32 vcc, v[4:5], v[2:3]
	s_and_b64 vcc, s[0:1], vcc
	v_cndmask_b32_e64 v7, v8, 1, s[0:1]
	v_cndmask_b32_e32 v2, v2, v4, vcc
	v_cndmask_b32_e32 v3, v3, v5, vcc
	v_cmp_eq_u32_e32 vcc, 1, v1
	v_cndmask_b32_e32 v1, v6, v7, vcc
	v_cndmask_b32_e32 v3, v5, v3, vcc
	v_cndmask_b32_e32 v2, v4, v2, vcc
	v_and_b32_e32 v6, 0xff, v1
.LBB199_206:
	s_or_b64 exec, exec, s[8:9]
	s_branch .LBB199_235
.LBB199_207:
                                        ; implicit-def: $vgpr4_vgpr5
                                        ; implicit-def: $vgpr1
                                        ; implicit-def: $sgpr6_sgpr7
.LBB199_208:
	s_and_saveexec_b64 s[0:1], s[10:11]
	s_cbranch_execz .LBB199_210
.LBB199_209:
	s_load_dwordx2 s[0:1], s[4:5], 0x38
	s_lshl_b64 s[2:3], s[6:7], 4
	v_mov_b32_e32 v0, 0
	s_waitcnt lgkmcnt(0)
	s_add_u32 s0, s0, s2
	s_addc_u32 s1, s1, s3
	global_store_byte v0, v1, s[0:1]
	global_store_dwordx2 v0, v[4:5], s[0:1] offset:8
.LBB199_210:
	s_endpgm
.LBB199_211:
                                        ; implicit-def: $vgpr2_vgpr3
                                        ; implicit-def: $vgpr6
	s_cbranch_execz .LBB199_235
; %bb.212:
	s_sub_i32 s8, s22, s2
	v_cmp_gt_u32_e32 vcc, s8, v0
	v_pk_mov_b32 v[2:3], 0, 0
	v_mov_b32_e32 v7, 0
	s_and_saveexec_b64 s[0:1], vcc
	s_cbranch_execz .LBB199_214
; %bb.213:
	s_lshl_b64 s[12:13], s[2:3], 1
	s_add_u32 s14, s26, s12
	s_addc_u32 s15, s27, s13
	s_add_u32 s12, s24, s12
	s_addc_u32 s13, s25, s13
	s_waitcnt lgkmcnt(2)
	v_lshlrev_b32_e32 v1, 1, v0
	s_waitcnt lgkmcnt(1)
	global_load_ushort v4, v1, s[12:13]
	s_waitcnt lgkmcnt(0)
	global_load_ushort v5, v1, s[14:15]
	s_add_u32 s2, s20, s2
	s_addc_u32 s3, s21, 0
	v_mov_b32_e32 v1, s3
	v_add_co_u32_e32 v2, vcc, s2, v0
	v_addc_co_u32_e32 v3, vcc, 0, v1, vcc
	s_waitcnt vmcnt(0)
	v_cmp_ne_u16_e32 vcc, v4, v5
	v_cndmask_b32_e64 v7, 0, 1, vcc
.LBB199_214:
	s_or_b64 exec, exec, s[0:1]
	s_waitcnt lgkmcnt(2)
	v_mbcnt_lo_u32_b32 v1, -1, 0
	v_mbcnt_hi_u32_b32 v1, -1, v1
	v_and_b32_e32 v8, 63, v1
	v_cmp_ne_u32_e32 vcc, 63, v8
	s_waitcnt lgkmcnt(1)
	v_addc_co_u32_e32 v4, vcc, 0, v1, vcc
	v_and_b32_e32 v6, 0xffff, v7
	s_waitcnt lgkmcnt(0)
	v_lshlrev_b32_e32 v5, 2, v4
	ds_bpermute_b32 v10, v5, v6
	ds_bpermute_b32 v4, v5, v2
	;; [unrolled: 1-line block ×3, first 2 shown]
	s_min_u32 s8, s8, 0x100
	v_and_b32_e32 v9, 0xc0, v0
	v_sub_u32_e64 v9, s8, v9 clamp
	v_add_u32_e32 v11, 1, v8
	v_cmp_lt_u32_e32 vcc, v11, v9
	s_and_saveexec_b64 s[2:3], vcc
	s_cbranch_execz .LBB199_216
; %bb.215:
	s_waitcnt lgkmcnt(2)
	v_and_b32_e32 v11, 1, v10
	s_waitcnt lgkmcnt(0)
	v_cmp_lt_i64_e32 vcc, v[4:5], v[2:3]
	v_cmp_eq_u32_e64 s[0:1], 1, v11
	v_and_b32_e32 v6, 1, v7
	s_and_b64 vcc, s[0:1], vcc
	v_cndmask_b32_e64 v7, v7, 1, s[0:1]
	v_cndmask_b32_e32 v2, v2, v4, vcc
	v_cndmask_b32_e32 v3, v3, v5, vcc
	v_cmp_eq_u32_e32 vcc, 1, v6
	v_cndmask_b32_e32 v7, v10, v7, vcc
	v_cndmask_b32_e32 v3, v5, v3, vcc
	v_cndmask_b32_e32 v2, v4, v2, vcc
	v_and_b32_e32 v6, 0xff, v7
.LBB199_216:
	s_or_b64 exec, exec, s[2:3]
	v_cmp_gt_u32_e32 vcc, 62, v8
	s_waitcnt lgkmcnt(1)
	v_cndmask_b32_e64 v4, 0, 1, vcc
	v_lshlrev_b32_e32 v4, 1, v4
	s_waitcnt lgkmcnt(0)
	v_add_lshl_u32 v5, v4, v1, 2
	ds_bpermute_b32 v10, v5, v6
	ds_bpermute_b32 v4, v5, v2
	ds_bpermute_b32 v5, v5, v3
	v_add_u32_e32 v11, 2, v8
	v_cmp_lt_u32_e32 vcc, v11, v9
	s_and_saveexec_b64 s[2:3], vcc
	s_cbranch_execz .LBB199_218
; %bb.217:
	s_waitcnt lgkmcnt(2)
	v_and_b32_e32 v11, 1, v10
	s_waitcnt lgkmcnt(0)
	v_cmp_lt_i64_e32 vcc, v[4:5], v[2:3]
	v_cmp_eq_u32_e64 s[0:1], 1, v11
	v_and_b32_e32 v6, 1, v7
	s_and_b64 vcc, s[0:1], vcc
	v_cndmask_b32_e64 v7, v7, 1, s[0:1]
	v_cndmask_b32_e32 v2, v2, v4, vcc
	v_cndmask_b32_e32 v3, v3, v5, vcc
	v_cmp_eq_u32_e32 vcc, 1, v6
	v_cndmask_b32_e32 v7, v10, v7, vcc
	v_cndmask_b32_e32 v3, v5, v3, vcc
	v_cndmask_b32_e32 v2, v4, v2, vcc
	v_and_b32_e32 v6, 0xff, v7
.LBB199_218:
	s_or_b64 exec, exec, s[2:3]
	v_cmp_gt_u32_e32 vcc, 60, v8
	s_waitcnt lgkmcnt(1)
	v_cndmask_b32_e64 v4, 0, 1, vcc
	v_lshlrev_b32_e32 v4, 2, v4
	s_waitcnt lgkmcnt(0)
	v_add_lshl_u32 v5, v4, v1, 2
	ds_bpermute_b32 v10, v5, v6
	ds_bpermute_b32 v4, v5, v2
	ds_bpermute_b32 v5, v5, v3
	;; [unrolled: 31-line block ×5, first 2 shown]
	v_add_u32_e32 v8, 32, v8
	v_cmp_lt_u32_e32 vcc, v8, v9
	s_and_saveexec_b64 s[2:3], vcc
	s_cbranch_execz .LBB199_226
; %bb.225:
	s_waitcnt lgkmcnt(2)
	v_and_b32_e32 v8, 1, v10
	s_waitcnt lgkmcnt(0)
	v_cmp_lt_i64_e32 vcc, v[4:5], v[2:3]
	v_cmp_eq_u32_e64 s[0:1], 1, v8
	v_and_b32_e32 v6, 1, v7
	s_and_b64 vcc, s[0:1], vcc
	v_cndmask_b32_e64 v7, v7, 1, s[0:1]
	v_cndmask_b32_e32 v2, v2, v4, vcc
	v_cndmask_b32_e32 v3, v3, v5, vcc
	v_cmp_eq_u32_e32 vcc, 1, v6
	v_cndmask_b32_e32 v7, v10, v7, vcc
	v_cndmask_b32_e32 v3, v5, v3, vcc
	;; [unrolled: 1-line block ×3, first 2 shown]
	v_and_b32_e32 v6, 0xff, v7
.LBB199_226:
	s_or_b64 exec, exec, s[2:3]
	v_cmp_eq_u32_e32 vcc, 0, v1
	s_and_saveexec_b64 s[0:1], vcc
	s_cbranch_execz .LBB199_228
; %bb.227:
	s_waitcnt lgkmcnt(1)
	v_lshrrev_b32_e32 v4, 2, v0
	v_and_b32_e32 v4, 48, v4
	ds_write_b8 v4, v7 offset:256
	ds_write_b64 v4, v[2:3] offset:264
.LBB199_228:
	s_or_b64 exec, exec, s[0:1]
	v_cmp_gt_u32_e32 vcc, 4, v0
	s_waitcnt lgkmcnt(0)
	s_barrier
	s_and_saveexec_b64 s[2:3], vcc
	s_cbranch_execz .LBB199_234
; %bb.229:
	v_lshlrev_b32_e32 v2, 4, v1
	ds_read_u8 v7, v2 offset:256
	ds_read_b64 v[2:3], v2 offset:264
	v_and_b32_e32 v8, 3, v1
	v_cmp_ne_u32_e32 vcc, 3, v8
	v_addc_co_u32_e32 v4, vcc, 0, v1, vcc
	s_waitcnt lgkmcnt(1)
	v_and_b32_e32 v6, 0xff, v7
	v_lshlrev_b32_e32 v5, 2, v4
	ds_bpermute_b32 v9, v5, v6
	s_waitcnt lgkmcnt(1)
	ds_bpermute_b32 v4, v5, v2
	ds_bpermute_b32 v5, v5, v3
	s_add_i32 s8, s8, 63
	s_lshr_b32 s12, s8, 6
	v_add_u32_e32 v10, 1, v8
	v_cmp_gt_u32_e32 vcc, s12, v10
	s_and_saveexec_b64 s[8:9], vcc
	s_cbranch_execz .LBB199_231
; %bb.230:
	s_waitcnt lgkmcnt(2)
	v_and_b32_e32 v10, 1, v9
	s_waitcnt lgkmcnt(0)
	v_cmp_lt_i64_e32 vcc, v[4:5], v[2:3]
	v_cmp_eq_u32_e64 s[0:1], 1, v10
	v_and_b32_e32 v6, 1, v7
	s_and_b64 vcc, s[0:1], vcc
	v_cndmask_b32_e64 v7, v7, 1, s[0:1]
	v_cndmask_b32_e32 v2, v2, v4, vcc
	v_cndmask_b32_e32 v3, v3, v5, vcc
	v_cmp_eq_u32_e32 vcc, 1, v6
	v_cndmask_b32_e32 v7, v9, v7, vcc
	v_cndmask_b32_e32 v3, v5, v3, vcc
	;; [unrolled: 1-line block ×3, first 2 shown]
	v_and_b32_e32 v6, 0xff, v7
.LBB199_231:
	s_or_b64 exec, exec, s[8:9]
	v_cmp_gt_u32_e32 vcc, 2, v8
	s_waitcnt lgkmcnt(1)
	v_cndmask_b32_e64 v4, 0, 1, vcc
	v_lshlrev_b32_e32 v4, 1, v4
	s_waitcnt lgkmcnt(0)
	v_add_lshl_u32 v5, v4, v1, 2
	ds_bpermute_b32 v1, v5, v6
	ds_bpermute_b32 v4, v5, v2
	;; [unrolled: 1-line block ×3, first 2 shown]
	v_add_u32_e32 v8, 2, v8
	v_cmp_gt_u32_e32 vcc, s12, v8
	s_and_saveexec_b64 s[8:9], vcc
	s_cbranch_execz .LBB199_233
; %bb.232:
	s_waitcnt lgkmcnt(2)
	v_and_b32_e32 v8, 1, v1
	s_waitcnt lgkmcnt(0)
	v_cmp_lt_i64_e32 vcc, v[4:5], v[2:3]
	v_cmp_eq_u32_e64 s[0:1], 1, v8
	v_and_b32_e32 v6, 1, v7
	s_and_b64 vcc, s[0:1], vcc
	v_cndmask_b32_e64 v7, v7, 1, s[0:1]
	v_cndmask_b32_e32 v2, v2, v4, vcc
	v_cndmask_b32_e32 v3, v3, v5, vcc
	v_cmp_eq_u32_e32 vcc, 1, v6
	v_cndmask_b32_e32 v1, v1, v7, vcc
	v_cndmask_b32_e32 v3, v5, v3, vcc
	;; [unrolled: 1-line block ×3, first 2 shown]
	v_and_b32_e32 v6, 0xff, v1
.LBB199_233:
	s_or_b64 exec, exec, s[8:9]
.LBB199_234:
	s_or_b64 exec, exec, s[2:3]
.LBB199_235:
	v_cmp_eq_u32_e32 vcc, 0, v0
                                        ; implicit-def: $vgpr4_vgpr5
                                        ; implicit-def: $vgpr1
	s_and_saveexec_b64 s[8:9], vcc
	s_cbranch_execz .LBB199_239
; %bb.236:
	s_cmp_eq_u64 s[22:23], 0
	s_waitcnt lgkmcnt(0)
	v_pk_mov_b32 v[4:5], s[18:19], s[18:19] op_sel:[0,1]
	v_mov_b32_e32 v1, s33
	s_cbranch_scc1 .LBB199_238
; %bb.237:
	v_and_b32_e32 v0, 1, v6
	s_bitcmp1_b32 s33, 0
	v_mov_b32_e32 v1, s33
	v_cmp_eq_u32_e32 vcc, 1, v0
	v_cmp_gt_i64_e64 s[2:3], s[18:19], v[2:3]
	v_cndmask_b32_e64 v0, v1, 1, vcc
	s_cselect_b64 s[0:1], -1, 0
	v_mov_b32_e32 v1, s18
	s_and_b64 vcc, vcc, s[2:3]
	v_cndmask_b32_e32 v4, v1, v2, vcc
	v_mov_b32_e32 v1, s19
	v_cndmask_b32_e32 v5, v1, v3, vcc
	v_cndmask_b32_e64 v1, v6, v0, s[0:1]
	v_cndmask_b32_e64 v5, v3, v5, s[0:1]
	;; [unrolled: 1-line block ×3, first 2 shown]
.LBB199_238:
	s_or_b64 s[10:11], s[10:11], exec
.LBB199_239:
	s_or_b64 exec, exec, s[8:9]
	s_and_saveexec_b64 s[0:1], s[10:11]
	s_cbranch_execnz .LBB199_209
	s_branch .LBB199_210
.LBB199_240:
	v_lshlrev_b32_e32 v10, 1, v0
	global_load_ushort v21, v10, s[30:31] offset:3584
	global_load_ushort v26, v10, s[34:35] offset:3584
	v_mov_b32_e32 v11, s40
	v_add_co_u32_e64 v10, s[16:17], s39, v25
	v_addc_co_u32_e64 v11, s[16:17], 0, v11, s[16:17]
	s_waitcnt vmcnt(0)
	v_cmp_ne_u16_e64 s[16:17], v21, v26
	v_cndmask_b32_e64 v21, 0, 1, s[16:17]
	s_or_b64 exec, exec, s[36:37]
	s_and_saveexec_b64 s[30:31], s[8:9]
	s_cbranch_execz .LBB199_61
.LBB199_241:
	v_and_b32_e32 v26, 1, v18
	v_cmp_lt_i64_e64 s[8:9], v[4:5], v[2:3]
	v_cmp_eq_u32_e64 s[16:17], 1, v26
	v_and_b32_e32 v25, 1, v1
	s_and_b64 s[8:9], s[16:17], s[8:9]
	v_cndmask_b32_e64 v1, v1, 1, s[16:17]
	v_cndmask_b32_e64 v2, v2, v4, s[8:9]
	;; [unrolled: 1-line block ×3, first 2 shown]
	v_cmp_eq_u32_e64 s[8:9], 1, v25
	v_cndmask_b32_e64 v1, v18, v1, s[8:9]
	v_cndmask_b32_e64 v3, v5, v3, s[8:9]
	;; [unrolled: 1-line block ×3, first 2 shown]
	s_or_b64 exec, exec, s[30:31]
	s_and_saveexec_b64 s[16:17], vcc
	s_cbranch_execz .LBB199_62
.LBB199_242:
	v_and_b32_e32 v5, 1, v23
	v_cmp_lt_i64_e32 vcc, v[12:13], v[2:3]
	v_cmp_eq_u32_e64 s[8:9], 1, v5
	v_and_b32_e32 v4, 1, v1
	s_and_b64 vcc, s[8:9], vcc
	v_cndmask_b32_e64 v1, v1, 1, s[8:9]
	v_cndmask_b32_e32 v2, v2, v12, vcc
	v_cndmask_b32_e32 v3, v3, v13, vcc
	v_cmp_eq_u32_e32 vcc, 1, v4
	v_cndmask_b32_e32 v1, v23, v1, vcc
	v_cndmask_b32_e32 v3, v13, v3, vcc
	;; [unrolled: 1-line block ×3, first 2 shown]
	s_or_b64 exec, exec, s[16:17]
	s_and_saveexec_b64 s[16:17], s[10:11]
	s_cbranch_execz .LBB199_63
.LBB199_243:
	v_and_b32_e32 v5, 1, v19
	v_cmp_lt_i64_e32 vcc, v[6:7], v[2:3]
	v_cmp_eq_u32_e64 s[8:9], 1, v5
	v_and_b32_e32 v4, 1, v1
	s_and_b64 vcc, s[8:9], vcc
	v_cndmask_b32_e64 v1, v1, 1, s[8:9]
	v_cndmask_b32_e32 v2, v2, v6, vcc
	v_cndmask_b32_e32 v3, v3, v7, vcc
	v_cmp_eq_u32_e32 vcc, 1, v4
	v_cndmask_b32_e32 v1, v19, v1, vcc
	v_cndmask_b32_e32 v3, v7, v3, vcc
	v_cndmask_b32_e32 v2, v6, v2, vcc
	s_or_b64 exec, exec, s[16:17]
	s_and_saveexec_b64 s[8:9], s[0:1]
	s_cbranch_execz .LBB199_64
.LBB199_244:
	v_and_b32_e32 v5, 1, v24
	v_cmp_lt_i64_e32 vcc, v[14:15], v[2:3]
	v_cmp_eq_u32_e64 s[0:1], 1, v5
	v_and_b32_e32 v4, 1, v1
	s_and_b64 vcc, s[0:1], vcc
	v_cndmask_b32_e64 v1, v1, 1, s[0:1]
	v_cndmask_b32_e32 v2, v2, v14, vcc
	v_cndmask_b32_e32 v3, v3, v15, vcc
	v_cmp_eq_u32_e32 vcc, 1, v4
	v_cndmask_b32_e32 v1, v24, v1, vcc
	v_cndmask_b32_e32 v3, v15, v3, vcc
	;; [unrolled: 1-line block ×3, first 2 shown]
	s_or_b64 exec, exec, s[8:9]
	s_and_saveexec_b64 s[8:9], s[12:13]
	s_cbranch_execz .LBB199_65
.LBB199_245:
	v_and_b32_e32 v5, 1, v20
	v_cmp_lt_i64_e32 vcc, v[8:9], v[2:3]
	v_cmp_eq_u32_e64 s[0:1], 1, v5
	v_and_b32_e32 v4, 1, v1
	s_and_b64 vcc, s[0:1], vcc
	v_cndmask_b32_e64 v1, v1, 1, s[0:1]
	v_cndmask_b32_e32 v2, v2, v8, vcc
	v_cndmask_b32_e32 v3, v3, v9, vcc
	v_cmp_eq_u32_e32 vcc, 1, v4
	v_cndmask_b32_e32 v1, v20, v1, vcc
	v_cndmask_b32_e32 v3, v9, v3, vcc
	v_cndmask_b32_e32 v2, v8, v2, vcc
	s_or_b64 exec, exec, s[8:9]
	s_and_saveexec_b64 s[8:9], s[2:3]
	s_cbranch_execz .LBB199_66
.LBB199_246:
	v_and_b32_e32 v5, 1, v22
	v_cmp_lt_i64_e32 vcc, v[16:17], v[2:3]
	v_cmp_eq_u32_e64 s[0:1], 1, v5
	v_and_b32_e32 v4, 1, v1
	s_and_b64 vcc, s[0:1], vcc
	v_cndmask_b32_e64 v1, v1, 1, s[0:1]
	v_cndmask_b32_e32 v2, v2, v16, vcc
	v_cndmask_b32_e32 v3, v3, v17, vcc
	v_cmp_eq_u32_e32 vcc, 1, v4
	v_cndmask_b32_e32 v1, v22, v1, vcc
	v_cndmask_b32_e32 v3, v17, v3, vcc
	;; [unrolled: 1-line block ×3, first 2 shown]
	s_or_b64 exec, exec, s[8:9]
	s_and_saveexec_b64 s[2:3], s[14:15]
	s_cbranch_execnz .LBB199_67
	s_branch .LBB199_68
.LBB199_247:
	v_lshlrev_b32_e32 v6, 1, v0
	global_load_ushort v11, v6, s[12:13] offset:1536
	global_load_ushort v14, v6, s[14:15] offset:1536
	v_mov_b32_e32 v7, s29
	v_add_co_u32_e64 v6, s[8:9], s28, v13
	v_addc_co_u32_e64 v7, s[8:9], 0, v7, s[8:9]
	s_waitcnt vmcnt(0)
	v_cmp_ne_u16_e64 s[8:9], v11, v14
	v_cndmask_b32_e64 v11, 0, 1, s[8:9]
	s_or_b64 exec, exec, s[16:17]
	s_and_saveexec_b64 s[12:13], s[0:1]
	s_cbranch_execz .LBB199_104
.LBB199_248:
	v_and_b32_e32 v14, 1, v1
	v_cmp_lt_i64_e64 s[0:1], v[4:5], v[2:3]
	v_cmp_eq_u32_e64 s[8:9], 1, v14
	v_and_b32_e32 v13, 1, v10
	s_and_b64 s[0:1], s[8:9], s[0:1]
	v_cndmask_b32_e64 v10, v10, 1, s[8:9]
	v_cndmask_b32_e64 v2, v2, v4, s[0:1]
	;; [unrolled: 1-line block ×3, first 2 shown]
	v_cmp_eq_u32_e64 s[0:1], 1, v13
	v_cndmask_b32_e64 v10, v1, v10, s[0:1]
	v_cndmask_b32_e64 v3, v5, v3, s[0:1]
	;; [unrolled: 1-line block ×3, first 2 shown]
	s_or_b64 exec, exec, s[12:13]
	s_and_saveexec_b64 s[8:9], vcc
	s_cbranch_execz .LBB199_105
.LBB199_249:
	v_and_b32_e32 v4, 1, v12
	v_cmp_lt_i64_e32 vcc, v[8:9], v[2:3]
	v_cmp_eq_u32_e64 s[0:1], 1, v4
	v_and_b32_e32 v1, 1, v10
	s_and_b64 vcc, s[0:1], vcc
	v_cndmask_b32_e64 v4, v10, 1, s[0:1]
	v_cndmask_b32_e32 v2, v2, v8, vcc
	v_cndmask_b32_e32 v3, v3, v9, vcc
	v_cmp_eq_u32_e32 vcc, 1, v1
	v_cndmask_b32_e32 v10, v12, v4, vcc
	v_cndmask_b32_e32 v3, v9, v3, vcc
	;; [unrolled: 1-line block ×3, first 2 shown]
	s_or_b64 exec, exec, s[8:9]
	s_and_saveexec_b64 s[8:9], s[2:3]
	s_cbranch_execnz .LBB199_106
	s_branch .LBB199_107
	.section	.rodata,"a",@progbits
	.p2align	6, 0x0
	.amdhsa_kernel _ZN7rocprim17ROCPRIM_400000_NS6detail17trampoline_kernelINS0_14default_configENS1_22reduce_config_selectorIN6thrust23THRUST_200600_302600_NS5tupleIblNS6_9null_typeES8_S8_S8_S8_S8_S8_S8_EEEEZNS1_11reduce_implILb1ES3_NS6_12zip_iteratorINS7_INS6_11hip_rocprim26transform_input_iterator_tIbNSD_35transform_pair_of_input_iterators_tIbNS6_6detail15normal_iteratorINS6_10device_ptrIKtEEEESL_NS6_8equal_toItEEEENSG_9not_fun_tINSD_8identityEEEEENSD_19counting_iterator_tIlEES8_S8_S8_S8_S8_S8_S8_S8_EEEEPS9_S9_NSD_9__find_if7functorIS9_EEEE10hipError_tPvRmT1_T2_T3_mT4_P12ihipStream_tbEUlT_E1_NS1_11comp_targetILNS1_3genE4ELNS1_11target_archE910ELNS1_3gpuE8ELNS1_3repE0EEENS1_30default_config_static_selectorELNS0_4arch9wavefront6targetE1EEEvS14_
		.amdhsa_group_segment_fixed_size 320
		.amdhsa_private_segment_fixed_size 0
		.amdhsa_kernarg_size 88
		.amdhsa_user_sgpr_count 6
		.amdhsa_user_sgpr_private_segment_buffer 1
		.amdhsa_user_sgpr_dispatch_ptr 0
		.amdhsa_user_sgpr_queue_ptr 0
		.amdhsa_user_sgpr_kernarg_segment_ptr 1
		.amdhsa_user_sgpr_dispatch_id 0
		.amdhsa_user_sgpr_flat_scratch_init 0
		.amdhsa_user_sgpr_kernarg_preload_length 0
		.amdhsa_user_sgpr_kernarg_preload_offset 0
		.amdhsa_user_sgpr_private_segment_size 0
		.amdhsa_uses_dynamic_stack 0
		.amdhsa_system_sgpr_private_segment_wavefront_offset 0
		.amdhsa_system_sgpr_workgroup_id_x 1
		.amdhsa_system_sgpr_workgroup_id_y 0
		.amdhsa_system_sgpr_workgroup_id_z 0
		.amdhsa_system_sgpr_workgroup_info 0
		.amdhsa_system_vgpr_workitem_id 0
		.amdhsa_next_free_vgpr 27
		.amdhsa_next_free_sgpr 42
		.amdhsa_accum_offset 28
		.amdhsa_reserve_vcc 1
		.amdhsa_reserve_flat_scratch 0
		.amdhsa_float_round_mode_32 0
		.amdhsa_float_round_mode_16_64 0
		.amdhsa_float_denorm_mode_32 3
		.amdhsa_float_denorm_mode_16_64 3
		.amdhsa_dx10_clamp 1
		.amdhsa_ieee_mode 1
		.amdhsa_fp16_overflow 0
		.amdhsa_tg_split 0
		.amdhsa_exception_fp_ieee_invalid_op 0
		.amdhsa_exception_fp_denorm_src 0
		.amdhsa_exception_fp_ieee_div_zero 0
		.amdhsa_exception_fp_ieee_overflow 0
		.amdhsa_exception_fp_ieee_underflow 0
		.amdhsa_exception_fp_ieee_inexact 0
		.amdhsa_exception_int_div_zero 0
	.end_amdhsa_kernel
	.section	.text._ZN7rocprim17ROCPRIM_400000_NS6detail17trampoline_kernelINS0_14default_configENS1_22reduce_config_selectorIN6thrust23THRUST_200600_302600_NS5tupleIblNS6_9null_typeES8_S8_S8_S8_S8_S8_S8_EEEEZNS1_11reduce_implILb1ES3_NS6_12zip_iteratorINS7_INS6_11hip_rocprim26transform_input_iterator_tIbNSD_35transform_pair_of_input_iterators_tIbNS6_6detail15normal_iteratorINS6_10device_ptrIKtEEEESL_NS6_8equal_toItEEEENSG_9not_fun_tINSD_8identityEEEEENSD_19counting_iterator_tIlEES8_S8_S8_S8_S8_S8_S8_S8_EEEEPS9_S9_NSD_9__find_if7functorIS9_EEEE10hipError_tPvRmT1_T2_T3_mT4_P12ihipStream_tbEUlT_E1_NS1_11comp_targetILNS1_3genE4ELNS1_11target_archE910ELNS1_3gpuE8ELNS1_3repE0EEENS1_30default_config_static_selectorELNS0_4arch9wavefront6targetE1EEEvS14_,"axG",@progbits,_ZN7rocprim17ROCPRIM_400000_NS6detail17trampoline_kernelINS0_14default_configENS1_22reduce_config_selectorIN6thrust23THRUST_200600_302600_NS5tupleIblNS6_9null_typeES8_S8_S8_S8_S8_S8_S8_EEEEZNS1_11reduce_implILb1ES3_NS6_12zip_iteratorINS7_INS6_11hip_rocprim26transform_input_iterator_tIbNSD_35transform_pair_of_input_iterators_tIbNS6_6detail15normal_iteratorINS6_10device_ptrIKtEEEESL_NS6_8equal_toItEEEENSG_9not_fun_tINSD_8identityEEEEENSD_19counting_iterator_tIlEES8_S8_S8_S8_S8_S8_S8_S8_EEEEPS9_S9_NSD_9__find_if7functorIS9_EEEE10hipError_tPvRmT1_T2_T3_mT4_P12ihipStream_tbEUlT_E1_NS1_11comp_targetILNS1_3genE4ELNS1_11target_archE910ELNS1_3gpuE8ELNS1_3repE0EEENS1_30default_config_static_selectorELNS0_4arch9wavefront6targetE1EEEvS14_,comdat
.Lfunc_end199:
	.size	_ZN7rocprim17ROCPRIM_400000_NS6detail17trampoline_kernelINS0_14default_configENS1_22reduce_config_selectorIN6thrust23THRUST_200600_302600_NS5tupleIblNS6_9null_typeES8_S8_S8_S8_S8_S8_S8_EEEEZNS1_11reduce_implILb1ES3_NS6_12zip_iteratorINS7_INS6_11hip_rocprim26transform_input_iterator_tIbNSD_35transform_pair_of_input_iterators_tIbNS6_6detail15normal_iteratorINS6_10device_ptrIKtEEEESL_NS6_8equal_toItEEEENSG_9not_fun_tINSD_8identityEEEEENSD_19counting_iterator_tIlEES8_S8_S8_S8_S8_S8_S8_S8_EEEEPS9_S9_NSD_9__find_if7functorIS9_EEEE10hipError_tPvRmT1_T2_T3_mT4_P12ihipStream_tbEUlT_E1_NS1_11comp_targetILNS1_3genE4ELNS1_11target_archE910ELNS1_3gpuE8ELNS1_3repE0EEENS1_30default_config_static_selectorELNS0_4arch9wavefront6targetE1EEEvS14_, .Lfunc_end199-_ZN7rocprim17ROCPRIM_400000_NS6detail17trampoline_kernelINS0_14default_configENS1_22reduce_config_selectorIN6thrust23THRUST_200600_302600_NS5tupleIblNS6_9null_typeES8_S8_S8_S8_S8_S8_S8_EEEEZNS1_11reduce_implILb1ES3_NS6_12zip_iteratorINS7_INS6_11hip_rocprim26transform_input_iterator_tIbNSD_35transform_pair_of_input_iterators_tIbNS6_6detail15normal_iteratorINS6_10device_ptrIKtEEEESL_NS6_8equal_toItEEEENSG_9not_fun_tINSD_8identityEEEEENSD_19counting_iterator_tIlEES8_S8_S8_S8_S8_S8_S8_S8_EEEEPS9_S9_NSD_9__find_if7functorIS9_EEEE10hipError_tPvRmT1_T2_T3_mT4_P12ihipStream_tbEUlT_E1_NS1_11comp_targetILNS1_3genE4ELNS1_11target_archE910ELNS1_3gpuE8ELNS1_3repE0EEENS1_30default_config_static_selectorELNS0_4arch9wavefront6targetE1EEEvS14_
                                        ; -- End function
	.section	.AMDGPU.csdata,"",@progbits
; Kernel info:
; codeLenInByte = 13112
; NumSgprs: 46
; NumVgprs: 27
; NumAgprs: 0
; TotalNumVgprs: 27
; ScratchSize: 0
; MemoryBound: 0
; FloatMode: 240
; IeeeMode: 1
; LDSByteSize: 320 bytes/workgroup (compile time only)
; SGPRBlocks: 5
; VGPRBlocks: 3
; NumSGPRsForWavesPerEU: 46
; NumVGPRsForWavesPerEU: 27
; AccumOffset: 28
; Occupancy: 8
; WaveLimiterHint : 0
; COMPUTE_PGM_RSRC2:SCRATCH_EN: 0
; COMPUTE_PGM_RSRC2:USER_SGPR: 6
; COMPUTE_PGM_RSRC2:TRAP_HANDLER: 0
; COMPUTE_PGM_RSRC2:TGID_X_EN: 1
; COMPUTE_PGM_RSRC2:TGID_Y_EN: 0
; COMPUTE_PGM_RSRC2:TGID_Z_EN: 0
; COMPUTE_PGM_RSRC2:TIDIG_COMP_CNT: 0
; COMPUTE_PGM_RSRC3_GFX90A:ACCUM_OFFSET: 6
; COMPUTE_PGM_RSRC3_GFX90A:TG_SPLIT: 0
	.section	.text._ZN7rocprim17ROCPRIM_400000_NS6detail17trampoline_kernelINS0_14default_configENS1_22reduce_config_selectorIN6thrust23THRUST_200600_302600_NS5tupleIblNS6_9null_typeES8_S8_S8_S8_S8_S8_S8_EEEEZNS1_11reduce_implILb1ES3_NS6_12zip_iteratorINS7_INS6_11hip_rocprim26transform_input_iterator_tIbNSD_35transform_pair_of_input_iterators_tIbNS6_6detail15normal_iteratorINS6_10device_ptrIKtEEEESL_NS6_8equal_toItEEEENSG_9not_fun_tINSD_8identityEEEEENSD_19counting_iterator_tIlEES8_S8_S8_S8_S8_S8_S8_S8_EEEEPS9_S9_NSD_9__find_if7functorIS9_EEEE10hipError_tPvRmT1_T2_T3_mT4_P12ihipStream_tbEUlT_E1_NS1_11comp_targetILNS1_3genE3ELNS1_11target_archE908ELNS1_3gpuE7ELNS1_3repE0EEENS1_30default_config_static_selectorELNS0_4arch9wavefront6targetE1EEEvS14_,"axG",@progbits,_ZN7rocprim17ROCPRIM_400000_NS6detail17trampoline_kernelINS0_14default_configENS1_22reduce_config_selectorIN6thrust23THRUST_200600_302600_NS5tupleIblNS6_9null_typeES8_S8_S8_S8_S8_S8_S8_EEEEZNS1_11reduce_implILb1ES3_NS6_12zip_iteratorINS7_INS6_11hip_rocprim26transform_input_iterator_tIbNSD_35transform_pair_of_input_iterators_tIbNS6_6detail15normal_iteratorINS6_10device_ptrIKtEEEESL_NS6_8equal_toItEEEENSG_9not_fun_tINSD_8identityEEEEENSD_19counting_iterator_tIlEES8_S8_S8_S8_S8_S8_S8_S8_EEEEPS9_S9_NSD_9__find_if7functorIS9_EEEE10hipError_tPvRmT1_T2_T3_mT4_P12ihipStream_tbEUlT_E1_NS1_11comp_targetILNS1_3genE3ELNS1_11target_archE908ELNS1_3gpuE7ELNS1_3repE0EEENS1_30default_config_static_selectorELNS0_4arch9wavefront6targetE1EEEvS14_,comdat
	.protected	_ZN7rocprim17ROCPRIM_400000_NS6detail17trampoline_kernelINS0_14default_configENS1_22reduce_config_selectorIN6thrust23THRUST_200600_302600_NS5tupleIblNS6_9null_typeES8_S8_S8_S8_S8_S8_S8_EEEEZNS1_11reduce_implILb1ES3_NS6_12zip_iteratorINS7_INS6_11hip_rocprim26transform_input_iterator_tIbNSD_35transform_pair_of_input_iterators_tIbNS6_6detail15normal_iteratorINS6_10device_ptrIKtEEEESL_NS6_8equal_toItEEEENSG_9not_fun_tINSD_8identityEEEEENSD_19counting_iterator_tIlEES8_S8_S8_S8_S8_S8_S8_S8_EEEEPS9_S9_NSD_9__find_if7functorIS9_EEEE10hipError_tPvRmT1_T2_T3_mT4_P12ihipStream_tbEUlT_E1_NS1_11comp_targetILNS1_3genE3ELNS1_11target_archE908ELNS1_3gpuE7ELNS1_3repE0EEENS1_30default_config_static_selectorELNS0_4arch9wavefront6targetE1EEEvS14_ ; -- Begin function _ZN7rocprim17ROCPRIM_400000_NS6detail17trampoline_kernelINS0_14default_configENS1_22reduce_config_selectorIN6thrust23THRUST_200600_302600_NS5tupleIblNS6_9null_typeES8_S8_S8_S8_S8_S8_S8_EEEEZNS1_11reduce_implILb1ES3_NS6_12zip_iteratorINS7_INS6_11hip_rocprim26transform_input_iterator_tIbNSD_35transform_pair_of_input_iterators_tIbNS6_6detail15normal_iteratorINS6_10device_ptrIKtEEEESL_NS6_8equal_toItEEEENSG_9not_fun_tINSD_8identityEEEEENSD_19counting_iterator_tIlEES8_S8_S8_S8_S8_S8_S8_S8_EEEEPS9_S9_NSD_9__find_if7functorIS9_EEEE10hipError_tPvRmT1_T2_T3_mT4_P12ihipStream_tbEUlT_E1_NS1_11comp_targetILNS1_3genE3ELNS1_11target_archE908ELNS1_3gpuE7ELNS1_3repE0EEENS1_30default_config_static_selectorELNS0_4arch9wavefront6targetE1EEEvS14_
	.globl	_ZN7rocprim17ROCPRIM_400000_NS6detail17trampoline_kernelINS0_14default_configENS1_22reduce_config_selectorIN6thrust23THRUST_200600_302600_NS5tupleIblNS6_9null_typeES8_S8_S8_S8_S8_S8_S8_EEEEZNS1_11reduce_implILb1ES3_NS6_12zip_iteratorINS7_INS6_11hip_rocprim26transform_input_iterator_tIbNSD_35transform_pair_of_input_iterators_tIbNS6_6detail15normal_iteratorINS6_10device_ptrIKtEEEESL_NS6_8equal_toItEEEENSG_9not_fun_tINSD_8identityEEEEENSD_19counting_iterator_tIlEES8_S8_S8_S8_S8_S8_S8_S8_EEEEPS9_S9_NSD_9__find_if7functorIS9_EEEE10hipError_tPvRmT1_T2_T3_mT4_P12ihipStream_tbEUlT_E1_NS1_11comp_targetILNS1_3genE3ELNS1_11target_archE908ELNS1_3gpuE7ELNS1_3repE0EEENS1_30default_config_static_selectorELNS0_4arch9wavefront6targetE1EEEvS14_
	.p2align	8
	.type	_ZN7rocprim17ROCPRIM_400000_NS6detail17trampoline_kernelINS0_14default_configENS1_22reduce_config_selectorIN6thrust23THRUST_200600_302600_NS5tupleIblNS6_9null_typeES8_S8_S8_S8_S8_S8_S8_EEEEZNS1_11reduce_implILb1ES3_NS6_12zip_iteratorINS7_INS6_11hip_rocprim26transform_input_iterator_tIbNSD_35transform_pair_of_input_iterators_tIbNS6_6detail15normal_iteratorINS6_10device_ptrIKtEEEESL_NS6_8equal_toItEEEENSG_9not_fun_tINSD_8identityEEEEENSD_19counting_iterator_tIlEES8_S8_S8_S8_S8_S8_S8_S8_EEEEPS9_S9_NSD_9__find_if7functorIS9_EEEE10hipError_tPvRmT1_T2_T3_mT4_P12ihipStream_tbEUlT_E1_NS1_11comp_targetILNS1_3genE3ELNS1_11target_archE908ELNS1_3gpuE7ELNS1_3repE0EEENS1_30default_config_static_selectorELNS0_4arch9wavefront6targetE1EEEvS14_,@function
_ZN7rocprim17ROCPRIM_400000_NS6detail17trampoline_kernelINS0_14default_configENS1_22reduce_config_selectorIN6thrust23THRUST_200600_302600_NS5tupleIblNS6_9null_typeES8_S8_S8_S8_S8_S8_S8_EEEEZNS1_11reduce_implILb1ES3_NS6_12zip_iteratorINS7_INS6_11hip_rocprim26transform_input_iterator_tIbNSD_35transform_pair_of_input_iterators_tIbNS6_6detail15normal_iteratorINS6_10device_ptrIKtEEEESL_NS6_8equal_toItEEEENSG_9not_fun_tINSD_8identityEEEEENSD_19counting_iterator_tIlEES8_S8_S8_S8_S8_S8_S8_S8_EEEEPS9_S9_NSD_9__find_if7functorIS9_EEEE10hipError_tPvRmT1_T2_T3_mT4_P12ihipStream_tbEUlT_E1_NS1_11comp_targetILNS1_3genE3ELNS1_11target_archE908ELNS1_3gpuE7ELNS1_3repE0EEENS1_30default_config_static_selectorELNS0_4arch9wavefront6targetE1EEEvS14_: ; @_ZN7rocprim17ROCPRIM_400000_NS6detail17trampoline_kernelINS0_14default_configENS1_22reduce_config_selectorIN6thrust23THRUST_200600_302600_NS5tupleIblNS6_9null_typeES8_S8_S8_S8_S8_S8_S8_EEEEZNS1_11reduce_implILb1ES3_NS6_12zip_iteratorINS7_INS6_11hip_rocprim26transform_input_iterator_tIbNSD_35transform_pair_of_input_iterators_tIbNS6_6detail15normal_iteratorINS6_10device_ptrIKtEEEESL_NS6_8equal_toItEEEENSG_9not_fun_tINSD_8identityEEEEENSD_19counting_iterator_tIlEES8_S8_S8_S8_S8_S8_S8_S8_EEEEPS9_S9_NSD_9__find_if7functorIS9_EEEE10hipError_tPvRmT1_T2_T3_mT4_P12ihipStream_tbEUlT_E1_NS1_11comp_targetILNS1_3genE3ELNS1_11target_archE908ELNS1_3gpuE7ELNS1_3repE0EEENS1_30default_config_static_selectorELNS0_4arch9wavefront6targetE1EEEvS14_
; %bb.0:
	.section	.rodata,"a",@progbits
	.p2align	6, 0x0
	.amdhsa_kernel _ZN7rocprim17ROCPRIM_400000_NS6detail17trampoline_kernelINS0_14default_configENS1_22reduce_config_selectorIN6thrust23THRUST_200600_302600_NS5tupleIblNS6_9null_typeES8_S8_S8_S8_S8_S8_S8_EEEEZNS1_11reduce_implILb1ES3_NS6_12zip_iteratorINS7_INS6_11hip_rocprim26transform_input_iterator_tIbNSD_35transform_pair_of_input_iterators_tIbNS6_6detail15normal_iteratorINS6_10device_ptrIKtEEEESL_NS6_8equal_toItEEEENSG_9not_fun_tINSD_8identityEEEEENSD_19counting_iterator_tIlEES8_S8_S8_S8_S8_S8_S8_S8_EEEEPS9_S9_NSD_9__find_if7functorIS9_EEEE10hipError_tPvRmT1_T2_T3_mT4_P12ihipStream_tbEUlT_E1_NS1_11comp_targetILNS1_3genE3ELNS1_11target_archE908ELNS1_3gpuE7ELNS1_3repE0EEENS1_30default_config_static_selectorELNS0_4arch9wavefront6targetE1EEEvS14_
		.amdhsa_group_segment_fixed_size 0
		.amdhsa_private_segment_fixed_size 0
		.amdhsa_kernarg_size 88
		.amdhsa_user_sgpr_count 6
		.amdhsa_user_sgpr_private_segment_buffer 1
		.amdhsa_user_sgpr_dispatch_ptr 0
		.amdhsa_user_sgpr_queue_ptr 0
		.amdhsa_user_sgpr_kernarg_segment_ptr 1
		.amdhsa_user_sgpr_dispatch_id 0
		.amdhsa_user_sgpr_flat_scratch_init 0
		.amdhsa_user_sgpr_kernarg_preload_length 0
		.amdhsa_user_sgpr_kernarg_preload_offset 0
		.amdhsa_user_sgpr_private_segment_size 0
		.amdhsa_uses_dynamic_stack 0
		.amdhsa_system_sgpr_private_segment_wavefront_offset 0
		.amdhsa_system_sgpr_workgroup_id_x 1
		.amdhsa_system_sgpr_workgroup_id_y 0
		.amdhsa_system_sgpr_workgroup_id_z 0
		.amdhsa_system_sgpr_workgroup_info 0
		.amdhsa_system_vgpr_workitem_id 0
		.amdhsa_next_free_vgpr 1
		.amdhsa_next_free_sgpr 0
		.amdhsa_accum_offset 4
		.amdhsa_reserve_vcc 0
		.amdhsa_reserve_flat_scratch 0
		.amdhsa_float_round_mode_32 0
		.amdhsa_float_round_mode_16_64 0
		.amdhsa_float_denorm_mode_32 3
		.amdhsa_float_denorm_mode_16_64 3
		.amdhsa_dx10_clamp 1
		.amdhsa_ieee_mode 1
		.amdhsa_fp16_overflow 0
		.amdhsa_tg_split 0
		.amdhsa_exception_fp_ieee_invalid_op 0
		.amdhsa_exception_fp_denorm_src 0
		.amdhsa_exception_fp_ieee_div_zero 0
		.amdhsa_exception_fp_ieee_overflow 0
		.amdhsa_exception_fp_ieee_underflow 0
		.amdhsa_exception_fp_ieee_inexact 0
		.amdhsa_exception_int_div_zero 0
	.end_amdhsa_kernel
	.section	.text._ZN7rocprim17ROCPRIM_400000_NS6detail17trampoline_kernelINS0_14default_configENS1_22reduce_config_selectorIN6thrust23THRUST_200600_302600_NS5tupleIblNS6_9null_typeES8_S8_S8_S8_S8_S8_S8_EEEEZNS1_11reduce_implILb1ES3_NS6_12zip_iteratorINS7_INS6_11hip_rocprim26transform_input_iterator_tIbNSD_35transform_pair_of_input_iterators_tIbNS6_6detail15normal_iteratorINS6_10device_ptrIKtEEEESL_NS6_8equal_toItEEEENSG_9not_fun_tINSD_8identityEEEEENSD_19counting_iterator_tIlEES8_S8_S8_S8_S8_S8_S8_S8_EEEEPS9_S9_NSD_9__find_if7functorIS9_EEEE10hipError_tPvRmT1_T2_T3_mT4_P12ihipStream_tbEUlT_E1_NS1_11comp_targetILNS1_3genE3ELNS1_11target_archE908ELNS1_3gpuE7ELNS1_3repE0EEENS1_30default_config_static_selectorELNS0_4arch9wavefront6targetE1EEEvS14_,"axG",@progbits,_ZN7rocprim17ROCPRIM_400000_NS6detail17trampoline_kernelINS0_14default_configENS1_22reduce_config_selectorIN6thrust23THRUST_200600_302600_NS5tupleIblNS6_9null_typeES8_S8_S8_S8_S8_S8_S8_EEEEZNS1_11reduce_implILb1ES3_NS6_12zip_iteratorINS7_INS6_11hip_rocprim26transform_input_iterator_tIbNSD_35transform_pair_of_input_iterators_tIbNS6_6detail15normal_iteratorINS6_10device_ptrIKtEEEESL_NS6_8equal_toItEEEENSG_9not_fun_tINSD_8identityEEEEENSD_19counting_iterator_tIlEES8_S8_S8_S8_S8_S8_S8_S8_EEEEPS9_S9_NSD_9__find_if7functorIS9_EEEE10hipError_tPvRmT1_T2_T3_mT4_P12ihipStream_tbEUlT_E1_NS1_11comp_targetILNS1_3genE3ELNS1_11target_archE908ELNS1_3gpuE7ELNS1_3repE0EEENS1_30default_config_static_selectorELNS0_4arch9wavefront6targetE1EEEvS14_,comdat
.Lfunc_end200:
	.size	_ZN7rocprim17ROCPRIM_400000_NS6detail17trampoline_kernelINS0_14default_configENS1_22reduce_config_selectorIN6thrust23THRUST_200600_302600_NS5tupleIblNS6_9null_typeES8_S8_S8_S8_S8_S8_S8_EEEEZNS1_11reduce_implILb1ES3_NS6_12zip_iteratorINS7_INS6_11hip_rocprim26transform_input_iterator_tIbNSD_35transform_pair_of_input_iterators_tIbNS6_6detail15normal_iteratorINS6_10device_ptrIKtEEEESL_NS6_8equal_toItEEEENSG_9not_fun_tINSD_8identityEEEEENSD_19counting_iterator_tIlEES8_S8_S8_S8_S8_S8_S8_S8_EEEEPS9_S9_NSD_9__find_if7functorIS9_EEEE10hipError_tPvRmT1_T2_T3_mT4_P12ihipStream_tbEUlT_E1_NS1_11comp_targetILNS1_3genE3ELNS1_11target_archE908ELNS1_3gpuE7ELNS1_3repE0EEENS1_30default_config_static_selectorELNS0_4arch9wavefront6targetE1EEEvS14_, .Lfunc_end200-_ZN7rocprim17ROCPRIM_400000_NS6detail17trampoline_kernelINS0_14default_configENS1_22reduce_config_selectorIN6thrust23THRUST_200600_302600_NS5tupleIblNS6_9null_typeES8_S8_S8_S8_S8_S8_S8_EEEEZNS1_11reduce_implILb1ES3_NS6_12zip_iteratorINS7_INS6_11hip_rocprim26transform_input_iterator_tIbNSD_35transform_pair_of_input_iterators_tIbNS6_6detail15normal_iteratorINS6_10device_ptrIKtEEEESL_NS6_8equal_toItEEEENSG_9not_fun_tINSD_8identityEEEEENSD_19counting_iterator_tIlEES8_S8_S8_S8_S8_S8_S8_S8_EEEEPS9_S9_NSD_9__find_if7functorIS9_EEEE10hipError_tPvRmT1_T2_T3_mT4_P12ihipStream_tbEUlT_E1_NS1_11comp_targetILNS1_3genE3ELNS1_11target_archE908ELNS1_3gpuE7ELNS1_3repE0EEENS1_30default_config_static_selectorELNS0_4arch9wavefront6targetE1EEEvS14_
                                        ; -- End function
	.section	.AMDGPU.csdata,"",@progbits
; Kernel info:
; codeLenInByte = 0
; NumSgprs: 4
; NumVgprs: 0
; NumAgprs: 0
; TotalNumVgprs: 0
; ScratchSize: 0
; MemoryBound: 0
; FloatMode: 240
; IeeeMode: 1
; LDSByteSize: 0 bytes/workgroup (compile time only)
; SGPRBlocks: 0
; VGPRBlocks: 0
; NumSGPRsForWavesPerEU: 4
; NumVGPRsForWavesPerEU: 1
; AccumOffset: 4
; Occupancy: 8
; WaveLimiterHint : 0
; COMPUTE_PGM_RSRC2:SCRATCH_EN: 0
; COMPUTE_PGM_RSRC2:USER_SGPR: 6
; COMPUTE_PGM_RSRC2:TRAP_HANDLER: 0
; COMPUTE_PGM_RSRC2:TGID_X_EN: 1
; COMPUTE_PGM_RSRC2:TGID_Y_EN: 0
; COMPUTE_PGM_RSRC2:TGID_Z_EN: 0
; COMPUTE_PGM_RSRC2:TIDIG_COMP_CNT: 0
; COMPUTE_PGM_RSRC3_GFX90A:ACCUM_OFFSET: 0
; COMPUTE_PGM_RSRC3_GFX90A:TG_SPLIT: 0
	.section	.text._ZN7rocprim17ROCPRIM_400000_NS6detail17trampoline_kernelINS0_14default_configENS1_22reduce_config_selectorIN6thrust23THRUST_200600_302600_NS5tupleIblNS6_9null_typeES8_S8_S8_S8_S8_S8_S8_EEEEZNS1_11reduce_implILb1ES3_NS6_12zip_iteratorINS7_INS6_11hip_rocprim26transform_input_iterator_tIbNSD_35transform_pair_of_input_iterators_tIbNS6_6detail15normal_iteratorINS6_10device_ptrIKtEEEESL_NS6_8equal_toItEEEENSG_9not_fun_tINSD_8identityEEEEENSD_19counting_iterator_tIlEES8_S8_S8_S8_S8_S8_S8_S8_EEEEPS9_S9_NSD_9__find_if7functorIS9_EEEE10hipError_tPvRmT1_T2_T3_mT4_P12ihipStream_tbEUlT_E1_NS1_11comp_targetILNS1_3genE2ELNS1_11target_archE906ELNS1_3gpuE6ELNS1_3repE0EEENS1_30default_config_static_selectorELNS0_4arch9wavefront6targetE1EEEvS14_,"axG",@progbits,_ZN7rocprim17ROCPRIM_400000_NS6detail17trampoline_kernelINS0_14default_configENS1_22reduce_config_selectorIN6thrust23THRUST_200600_302600_NS5tupleIblNS6_9null_typeES8_S8_S8_S8_S8_S8_S8_EEEEZNS1_11reduce_implILb1ES3_NS6_12zip_iteratorINS7_INS6_11hip_rocprim26transform_input_iterator_tIbNSD_35transform_pair_of_input_iterators_tIbNS6_6detail15normal_iteratorINS6_10device_ptrIKtEEEESL_NS6_8equal_toItEEEENSG_9not_fun_tINSD_8identityEEEEENSD_19counting_iterator_tIlEES8_S8_S8_S8_S8_S8_S8_S8_EEEEPS9_S9_NSD_9__find_if7functorIS9_EEEE10hipError_tPvRmT1_T2_T3_mT4_P12ihipStream_tbEUlT_E1_NS1_11comp_targetILNS1_3genE2ELNS1_11target_archE906ELNS1_3gpuE6ELNS1_3repE0EEENS1_30default_config_static_selectorELNS0_4arch9wavefront6targetE1EEEvS14_,comdat
	.protected	_ZN7rocprim17ROCPRIM_400000_NS6detail17trampoline_kernelINS0_14default_configENS1_22reduce_config_selectorIN6thrust23THRUST_200600_302600_NS5tupleIblNS6_9null_typeES8_S8_S8_S8_S8_S8_S8_EEEEZNS1_11reduce_implILb1ES3_NS6_12zip_iteratorINS7_INS6_11hip_rocprim26transform_input_iterator_tIbNSD_35transform_pair_of_input_iterators_tIbNS6_6detail15normal_iteratorINS6_10device_ptrIKtEEEESL_NS6_8equal_toItEEEENSG_9not_fun_tINSD_8identityEEEEENSD_19counting_iterator_tIlEES8_S8_S8_S8_S8_S8_S8_S8_EEEEPS9_S9_NSD_9__find_if7functorIS9_EEEE10hipError_tPvRmT1_T2_T3_mT4_P12ihipStream_tbEUlT_E1_NS1_11comp_targetILNS1_3genE2ELNS1_11target_archE906ELNS1_3gpuE6ELNS1_3repE0EEENS1_30default_config_static_selectorELNS0_4arch9wavefront6targetE1EEEvS14_ ; -- Begin function _ZN7rocprim17ROCPRIM_400000_NS6detail17trampoline_kernelINS0_14default_configENS1_22reduce_config_selectorIN6thrust23THRUST_200600_302600_NS5tupleIblNS6_9null_typeES8_S8_S8_S8_S8_S8_S8_EEEEZNS1_11reduce_implILb1ES3_NS6_12zip_iteratorINS7_INS6_11hip_rocprim26transform_input_iterator_tIbNSD_35transform_pair_of_input_iterators_tIbNS6_6detail15normal_iteratorINS6_10device_ptrIKtEEEESL_NS6_8equal_toItEEEENSG_9not_fun_tINSD_8identityEEEEENSD_19counting_iterator_tIlEES8_S8_S8_S8_S8_S8_S8_S8_EEEEPS9_S9_NSD_9__find_if7functorIS9_EEEE10hipError_tPvRmT1_T2_T3_mT4_P12ihipStream_tbEUlT_E1_NS1_11comp_targetILNS1_3genE2ELNS1_11target_archE906ELNS1_3gpuE6ELNS1_3repE0EEENS1_30default_config_static_selectorELNS0_4arch9wavefront6targetE1EEEvS14_
	.globl	_ZN7rocprim17ROCPRIM_400000_NS6detail17trampoline_kernelINS0_14default_configENS1_22reduce_config_selectorIN6thrust23THRUST_200600_302600_NS5tupleIblNS6_9null_typeES8_S8_S8_S8_S8_S8_S8_EEEEZNS1_11reduce_implILb1ES3_NS6_12zip_iteratorINS7_INS6_11hip_rocprim26transform_input_iterator_tIbNSD_35transform_pair_of_input_iterators_tIbNS6_6detail15normal_iteratorINS6_10device_ptrIKtEEEESL_NS6_8equal_toItEEEENSG_9not_fun_tINSD_8identityEEEEENSD_19counting_iterator_tIlEES8_S8_S8_S8_S8_S8_S8_S8_EEEEPS9_S9_NSD_9__find_if7functorIS9_EEEE10hipError_tPvRmT1_T2_T3_mT4_P12ihipStream_tbEUlT_E1_NS1_11comp_targetILNS1_3genE2ELNS1_11target_archE906ELNS1_3gpuE6ELNS1_3repE0EEENS1_30default_config_static_selectorELNS0_4arch9wavefront6targetE1EEEvS14_
	.p2align	8
	.type	_ZN7rocprim17ROCPRIM_400000_NS6detail17trampoline_kernelINS0_14default_configENS1_22reduce_config_selectorIN6thrust23THRUST_200600_302600_NS5tupleIblNS6_9null_typeES8_S8_S8_S8_S8_S8_S8_EEEEZNS1_11reduce_implILb1ES3_NS6_12zip_iteratorINS7_INS6_11hip_rocprim26transform_input_iterator_tIbNSD_35transform_pair_of_input_iterators_tIbNS6_6detail15normal_iteratorINS6_10device_ptrIKtEEEESL_NS6_8equal_toItEEEENSG_9not_fun_tINSD_8identityEEEEENSD_19counting_iterator_tIlEES8_S8_S8_S8_S8_S8_S8_S8_EEEEPS9_S9_NSD_9__find_if7functorIS9_EEEE10hipError_tPvRmT1_T2_T3_mT4_P12ihipStream_tbEUlT_E1_NS1_11comp_targetILNS1_3genE2ELNS1_11target_archE906ELNS1_3gpuE6ELNS1_3repE0EEENS1_30default_config_static_selectorELNS0_4arch9wavefront6targetE1EEEvS14_,@function
_ZN7rocprim17ROCPRIM_400000_NS6detail17trampoline_kernelINS0_14default_configENS1_22reduce_config_selectorIN6thrust23THRUST_200600_302600_NS5tupleIblNS6_9null_typeES8_S8_S8_S8_S8_S8_S8_EEEEZNS1_11reduce_implILb1ES3_NS6_12zip_iteratorINS7_INS6_11hip_rocprim26transform_input_iterator_tIbNSD_35transform_pair_of_input_iterators_tIbNS6_6detail15normal_iteratorINS6_10device_ptrIKtEEEESL_NS6_8equal_toItEEEENSG_9not_fun_tINSD_8identityEEEEENSD_19counting_iterator_tIlEES8_S8_S8_S8_S8_S8_S8_S8_EEEEPS9_S9_NSD_9__find_if7functorIS9_EEEE10hipError_tPvRmT1_T2_T3_mT4_P12ihipStream_tbEUlT_E1_NS1_11comp_targetILNS1_3genE2ELNS1_11target_archE906ELNS1_3gpuE6ELNS1_3repE0EEENS1_30default_config_static_selectorELNS0_4arch9wavefront6targetE1EEEvS14_: ; @_ZN7rocprim17ROCPRIM_400000_NS6detail17trampoline_kernelINS0_14default_configENS1_22reduce_config_selectorIN6thrust23THRUST_200600_302600_NS5tupleIblNS6_9null_typeES8_S8_S8_S8_S8_S8_S8_EEEEZNS1_11reduce_implILb1ES3_NS6_12zip_iteratorINS7_INS6_11hip_rocprim26transform_input_iterator_tIbNSD_35transform_pair_of_input_iterators_tIbNS6_6detail15normal_iteratorINS6_10device_ptrIKtEEEESL_NS6_8equal_toItEEEENSG_9not_fun_tINSD_8identityEEEEENSD_19counting_iterator_tIlEES8_S8_S8_S8_S8_S8_S8_S8_EEEEPS9_S9_NSD_9__find_if7functorIS9_EEEE10hipError_tPvRmT1_T2_T3_mT4_P12ihipStream_tbEUlT_E1_NS1_11comp_targetILNS1_3genE2ELNS1_11target_archE906ELNS1_3gpuE6ELNS1_3repE0EEENS1_30default_config_static_selectorELNS0_4arch9wavefront6targetE1EEEvS14_
; %bb.0:
	.section	.rodata,"a",@progbits
	.p2align	6, 0x0
	.amdhsa_kernel _ZN7rocprim17ROCPRIM_400000_NS6detail17trampoline_kernelINS0_14default_configENS1_22reduce_config_selectorIN6thrust23THRUST_200600_302600_NS5tupleIblNS6_9null_typeES8_S8_S8_S8_S8_S8_S8_EEEEZNS1_11reduce_implILb1ES3_NS6_12zip_iteratorINS7_INS6_11hip_rocprim26transform_input_iterator_tIbNSD_35transform_pair_of_input_iterators_tIbNS6_6detail15normal_iteratorINS6_10device_ptrIKtEEEESL_NS6_8equal_toItEEEENSG_9not_fun_tINSD_8identityEEEEENSD_19counting_iterator_tIlEES8_S8_S8_S8_S8_S8_S8_S8_EEEEPS9_S9_NSD_9__find_if7functorIS9_EEEE10hipError_tPvRmT1_T2_T3_mT4_P12ihipStream_tbEUlT_E1_NS1_11comp_targetILNS1_3genE2ELNS1_11target_archE906ELNS1_3gpuE6ELNS1_3repE0EEENS1_30default_config_static_selectorELNS0_4arch9wavefront6targetE1EEEvS14_
		.amdhsa_group_segment_fixed_size 0
		.amdhsa_private_segment_fixed_size 0
		.amdhsa_kernarg_size 88
		.amdhsa_user_sgpr_count 6
		.amdhsa_user_sgpr_private_segment_buffer 1
		.amdhsa_user_sgpr_dispatch_ptr 0
		.amdhsa_user_sgpr_queue_ptr 0
		.amdhsa_user_sgpr_kernarg_segment_ptr 1
		.amdhsa_user_sgpr_dispatch_id 0
		.amdhsa_user_sgpr_flat_scratch_init 0
		.amdhsa_user_sgpr_kernarg_preload_length 0
		.amdhsa_user_sgpr_kernarg_preload_offset 0
		.amdhsa_user_sgpr_private_segment_size 0
		.amdhsa_uses_dynamic_stack 0
		.amdhsa_system_sgpr_private_segment_wavefront_offset 0
		.amdhsa_system_sgpr_workgroup_id_x 1
		.amdhsa_system_sgpr_workgroup_id_y 0
		.amdhsa_system_sgpr_workgroup_id_z 0
		.amdhsa_system_sgpr_workgroup_info 0
		.amdhsa_system_vgpr_workitem_id 0
		.amdhsa_next_free_vgpr 1
		.amdhsa_next_free_sgpr 0
		.amdhsa_accum_offset 4
		.amdhsa_reserve_vcc 0
		.amdhsa_reserve_flat_scratch 0
		.amdhsa_float_round_mode_32 0
		.amdhsa_float_round_mode_16_64 0
		.amdhsa_float_denorm_mode_32 3
		.amdhsa_float_denorm_mode_16_64 3
		.amdhsa_dx10_clamp 1
		.amdhsa_ieee_mode 1
		.amdhsa_fp16_overflow 0
		.amdhsa_tg_split 0
		.amdhsa_exception_fp_ieee_invalid_op 0
		.amdhsa_exception_fp_denorm_src 0
		.amdhsa_exception_fp_ieee_div_zero 0
		.amdhsa_exception_fp_ieee_overflow 0
		.amdhsa_exception_fp_ieee_underflow 0
		.amdhsa_exception_fp_ieee_inexact 0
		.amdhsa_exception_int_div_zero 0
	.end_amdhsa_kernel
	.section	.text._ZN7rocprim17ROCPRIM_400000_NS6detail17trampoline_kernelINS0_14default_configENS1_22reduce_config_selectorIN6thrust23THRUST_200600_302600_NS5tupleIblNS6_9null_typeES8_S8_S8_S8_S8_S8_S8_EEEEZNS1_11reduce_implILb1ES3_NS6_12zip_iteratorINS7_INS6_11hip_rocprim26transform_input_iterator_tIbNSD_35transform_pair_of_input_iterators_tIbNS6_6detail15normal_iteratorINS6_10device_ptrIKtEEEESL_NS6_8equal_toItEEEENSG_9not_fun_tINSD_8identityEEEEENSD_19counting_iterator_tIlEES8_S8_S8_S8_S8_S8_S8_S8_EEEEPS9_S9_NSD_9__find_if7functorIS9_EEEE10hipError_tPvRmT1_T2_T3_mT4_P12ihipStream_tbEUlT_E1_NS1_11comp_targetILNS1_3genE2ELNS1_11target_archE906ELNS1_3gpuE6ELNS1_3repE0EEENS1_30default_config_static_selectorELNS0_4arch9wavefront6targetE1EEEvS14_,"axG",@progbits,_ZN7rocprim17ROCPRIM_400000_NS6detail17trampoline_kernelINS0_14default_configENS1_22reduce_config_selectorIN6thrust23THRUST_200600_302600_NS5tupleIblNS6_9null_typeES8_S8_S8_S8_S8_S8_S8_EEEEZNS1_11reduce_implILb1ES3_NS6_12zip_iteratorINS7_INS6_11hip_rocprim26transform_input_iterator_tIbNSD_35transform_pair_of_input_iterators_tIbNS6_6detail15normal_iteratorINS6_10device_ptrIKtEEEESL_NS6_8equal_toItEEEENSG_9not_fun_tINSD_8identityEEEEENSD_19counting_iterator_tIlEES8_S8_S8_S8_S8_S8_S8_S8_EEEEPS9_S9_NSD_9__find_if7functorIS9_EEEE10hipError_tPvRmT1_T2_T3_mT4_P12ihipStream_tbEUlT_E1_NS1_11comp_targetILNS1_3genE2ELNS1_11target_archE906ELNS1_3gpuE6ELNS1_3repE0EEENS1_30default_config_static_selectorELNS0_4arch9wavefront6targetE1EEEvS14_,comdat
.Lfunc_end201:
	.size	_ZN7rocprim17ROCPRIM_400000_NS6detail17trampoline_kernelINS0_14default_configENS1_22reduce_config_selectorIN6thrust23THRUST_200600_302600_NS5tupleIblNS6_9null_typeES8_S8_S8_S8_S8_S8_S8_EEEEZNS1_11reduce_implILb1ES3_NS6_12zip_iteratorINS7_INS6_11hip_rocprim26transform_input_iterator_tIbNSD_35transform_pair_of_input_iterators_tIbNS6_6detail15normal_iteratorINS6_10device_ptrIKtEEEESL_NS6_8equal_toItEEEENSG_9not_fun_tINSD_8identityEEEEENSD_19counting_iterator_tIlEES8_S8_S8_S8_S8_S8_S8_S8_EEEEPS9_S9_NSD_9__find_if7functorIS9_EEEE10hipError_tPvRmT1_T2_T3_mT4_P12ihipStream_tbEUlT_E1_NS1_11comp_targetILNS1_3genE2ELNS1_11target_archE906ELNS1_3gpuE6ELNS1_3repE0EEENS1_30default_config_static_selectorELNS0_4arch9wavefront6targetE1EEEvS14_, .Lfunc_end201-_ZN7rocprim17ROCPRIM_400000_NS6detail17trampoline_kernelINS0_14default_configENS1_22reduce_config_selectorIN6thrust23THRUST_200600_302600_NS5tupleIblNS6_9null_typeES8_S8_S8_S8_S8_S8_S8_EEEEZNS1_11reduce_implILb1ES3_NS6_12zip_iteratorINS7_INS6_11hip_rocprim26transform_input_iterator_tIbNSD_35transform_pair_of_input_iterators_tIbNS6_6detail15normal_iteratorINS6_10device_ptrIKtEEEESL_NS6_8equal_toItEEEENSG_9not_fun_tINSD_8identityEEEEENSD_19counting_iterator_tIlEES8_S8_S8_S8_S8_S8_S8_S8_EEEEPS9_S9_NSD_9__find_if7functorIS9_EEEE10hipError_tPvRmT1_T2_T3_mT4_P12ihipStream_tbEUlT_E1_NS1_11comp_targetILNS1_3genE2ELNS1_11target_archE906ELNS1_3gpuE6ELNS1_3repE0EEENS1_30default_config_static_selectorELNS0_4arch9wavefront6targetE1EEEvS14_
                                        ; -- End function
	.section	.AMDGPU.csdata,"",@progbits
; Kernel info:
; codeLenInByte = 0
; NumSgprs: 4
; NumVgprs: 0
; NumAgprs: 0
; TotalNumVgprs: 0
; ScratchSize: 0
; MemoryBound: 0
; FloatMode: 240
; IeeeMode: 1
; LDSByteSize: 0 bytes/workgroup (compile time only)
; SGPRBlocks: 0
; VGPRBlocks: 0
; NumSGPRsForWavesPerEU: 4
; NumVGPRsForWavesPerEU: 1
; AccumOffset: 4
; Occupancy: 8
; WaveLimiterHint : 0
; COMPUTE_PGM_RSRC2:SCRATCH_EN: 0
; COMPUTE_PGM_RSRC2:USER_SGPR: 6
; COMPUTE_PGM_RSRC2:TRAP_HANDLER: 0
; COMPUTE_PGM_RSRC2:TGID_X_EN: 1
; COMPUTE_PGM_RSRC2:TGID_Y_EN: 0
; COMPUTE_PGM_RSRC2:TGID_Z_EN: 0
; COMPUTE_PGM_RSRC2:TIDIG_COMP_CNT: 0
; COMPUTE_PGM_RSRC3_GFX90A:ACCUM_OFFSET: 0
; COMPUTE_PGM_RSRC3_GFX90A:TG_SPLIT: 0
	.section	.text._ZN7rocprim17ROCPRIM_400000_NS6detail17trampoline_kernelINS0_14default_configENS1_22reduce_config_selectorIN6thrust23THRUST_200600_302600_NS5tupleIblNS6_9null_typeES8_S8_S8_S8_S8_S8_S8_EEEEZNS1_11reduce_implILb1ES3_NS6_12zip_iteratorINS7_INS6_11hip_rocprim26transform_input_iterator_tIbNSD_35transform_pair_of_input_iterators_tIbNS6_6detail15normal_iteratorINS6_10device_ptrIKtEEEESL_NS6_8equal_toItEEEENSG_9not_fun_tINSD_8identityEEEEENSD_19counting_iterator_tIlEES8_S8_S8_S8_S8_S8_S8_S8_EEEEPS9_S9_NSD_9__find_if7functorIS9_EEEE10hipError_tPvRmT1_T2_T3_mT4_P12ihipStream_tbEUlT_E1_NS1_11comp_targetILNS1_3genE10ELNS1_11target_archE1201ELNS1_3gpuE5ELNS1_3repE0EEENS1_30default_config_static_selectorELNS0_4arch9wavefront6targetE1EEEvS14_,"axG",@progbits,_ZN7rocprim17ROCPRIM_400000_NS6detail17trampoline_kernelINS0_14default_configENS1_22reduce_config_selectorIN6thrust23THRUST_200600_302600_NS5tupleIblNS6_9null_typeES8_S8_S8_S8_S8_S8_S8_EEEEZNS1_11reduce_implILb1ES3_NS6_12zip_iteratorINS7_INS6_11hip_rocprim26transform_input_iterator_tIbNSD_35transform_pair_of_input_iterators_tIbNS6_6detail15normal_iteratorINS6_10device_ptrIKtEEEESL_NS6_8equal_toItEEEENSG_9not_fun_tINSD_8identityEEEEENSD_19counting_iterator_tIlEES8_S8_S8_S8_S8_S8_S8_S8_EEEEPS9_S9_NSD_9__find_if7functorIS9_EEEE10hipError_tPvRmT1_T2_T3_mT4_P12ihipStream_tbEUlT_E1_NS1_11comp_targetILNS1_3genE10ELNS1_11target_archE1201ELNS1_3gpuE5ELNS1_3repE0EEENS1_30default_config_static_selectorELNS0_4arch9wavefront6targetE1EEEvS14_,comdat
	.protected	_ZN7rocprim17ROCPRIM_400000_NS6detail17trampoline_kernelINS0_14default_configENS1_22reduce_config_selectorIN6thrust23THRUST_200600_302600_NS5tupleIblNS6_9null_typeES8_S8_S8_S8_S8_S8_S8_EEEEZNS1_11reduce_implILb1ES3_NS6_12zip_iteratorINS7_INS6_11hip_rocprim26transform_input_iterator_tIbNSD_35transform_pair_of_input_iterators_tIbNS6_6detail15normal_iteratorINS6_10device_ptrIKtEEEESL_NS6_8equal_toItEEEENSG_9not_fun_tINSD_8identityEEEEENSD_19counting_iterator_tIlEES8_S8_S8_S8_S8_S8_S8_S8_EEEEPS9_S9_NSD_9__find_if7functorIS9_EEEE10hipError_tPvRmT1_T2_T3_mT4_P12ihipStream_tbEUlT_E1_NS1_11comp_targetILNS1_3genE10ELNS1_11target_archE1201ELNS1_3gpuE5ELNS1_3repE0EEENS1_30default_config_static_selectorELNS0_4arch9wavefront6targetE1EEEvS14_ ; -- Begin function _ZN7rocprim17ROCPRIM_400000_NS6detail17trampoline_kernelINS0_14default_configENS1_22reduce_config_selectorIN6thrust23THRUST_200600_302600_NS5tupleIblNS6_9null_typeES8_S8_S8_S8_S8_S8_S8_EEEEZNS1_11reduce_implILb1ES3_NS6_12zip_iteratorINS7_INS6_11hip_rocprim26transform_input_iterator_tIbNSD_35transform_pair_of_input_iterators_tIbNS6_6detail15normal_iteratorINS6_10device_ptrIKtEEEESL_NS6_8equal_toItEEEENSG_9not_fun_tINSD_8identityEEEEENSD_19counting_iterator_tIlEES8_S8_S8_S8_S8_S8_S8_S8_EEEEPS9_S9_NSD_9__find_if7functorIS9_EEEE10hipError_tPvRmT1_T2_T3_mT4_P12ihipStream_tbEUlT_E1_NS1_11comp_targetILNS1_3genE10ELNS1_11target_archE1201ELNS1_3gpuE5ELNS1_3repE0EEENS1_30default_config_static_selectorELNS0_4arch9wavefront6targetE1EEEvS14_
	.globl	_ZN7rocprim17ROCPRIM_400000_NS6detail17trampoline_kernelINS0_14default_configENS1_22reduce_config_selectorIN6thrust23THRUST_200600_302600_NS5tupleIblNS6_9null_typeES8_S8_S8_S8_S8_S8_S8_EEEEZNS1_11reduce_implILb1ES3_NS6_12zip_iteratorINS7_INS6_11hip_rocprim26transform_input_iterator_tIbNSD_35transform_pair_of_input_iterators_tIbNS6_6detail15normal_iteratorINS6_10device_ptrIKtEEEESL_NS6_8equal_toItEEEENSG_9not_fun_tINSD_8identityEEEEENSD_19counting_iterator_tIlEES8_S8_S8_S8_S8_S8_S8_S8_EEEEPS9_S9_NSD_9__find_if7functorIS9_EEEE10hipError_tPvRmT1_T2_T3_mT4_P12ihipStream_tbEUlT_E1_NS1_11comp_targetILNS1_3genE10ELNS1_11target_archE1201ELNS1_3gpuE5ELNS1_3repE0EEENS1_30default_config_static_selectorELNS0_4arch9wavefront6targetE1EEEvS14_
	.p2align	8
	.type	_ZN7rocprim17ROCPRIM_400000_NS6detail17trampoline_kernelINS0_14default_configENS1_22reduce_config_selectorIN6thrust23THRUST_200600_302600_NS5tupleIblNS6_9null_typeES8_S8_S8_S8_S8_S8_S8_EEEEZNS1_11reduce_implILb1ES3_NS6_12zip_iteratorINS7_INS6_11hip_rocprim26transform_input_iterator_tIbNSD_35transform_pair_of_input_iterators_tIbNS6_6detail15normal_iteratorINS6_10device_ptrIKtEEEESL_NS6_8equal_toItEEEENSG_9not_fun_tINSD_8identityEEEEENSD_19counting_iterator_tIlEES8_S8_S8_S8_S8_S8_S8_S8_EEEEPS9_S9_NSD_9__find_if7functorIS9_EEEE10hipError_tPvRmT1_T2_T3_mT4_P12ihipStream_tbEUlT_E1_NS1_11comp_targetILNS1_3genE10ELNS1_11target_archE1201ELNS1_3gpuE5ELNS1_3repE0EEENS1_30default_config_static_selectorELNS0_4arch9wavefront6targetE1EEEvS14_,@function
_ZN7rocprim17ROCPRIM_400000_NS6detail17trampoline_kernelINS0_14default_configENS1_22reduce_config_selectorIN6thrust23THRUST_200600_302600_NS5tupleIblNS6_9null_typeES8_S8_S8_S8_S8_S8_S8_EEEEZNS1_11reduce_implILb1ES3_NS6_12zip_iteratorINS7_INS6_11hip_rocprim26transform_input_iterator_tIbNSD_35transform_pair_of_input_iterators_tIbNS6_6detail15normal_iteratorINS6_10device_ptrIKtEEEESL_NS6_8equal_toItEEEENSG_9not_fun_tINSD_8identityEEEEENSD_19counting_iterator_tIlEES8_S8_S8_S8_S8_S8_S8_S8_EEEEPS9_S9_NSD_9__find_if7functorIS9_EEEE10hipError_tPvRmT1_T2_T3_mT4_P12ihipStream_tbEUlT_E1_NS1_11comp_targetILNS1_3genE10ELNS1_11target_archE1201ELNS1_3gpuE5ELNS1_3repE0EEENS1_30default_config_static_selectorELNS0_4arch9wavefront6targetE1EEEvS14_: ; @_ZN7rocprim17ROCPRIM_400000_NS6detail17trampoline_kernelINS0_14default_configENS1_22reduce_config_selectorIN6thrust23THRUST_200600_302600_NS5tupleIblNS6_9null_typeES8_S8_S8_S8_S8_S8_S8_EEEEZNS1_11reduce_implILb1ES3_NS6_12zip_iteratorINS7_INS6_11hip_rocprim26transform_input_iterator_tIbNSD_35transform_pair_of_input_iterators_tIbNS6_6detail15normal_iteratorINS6_10device_ptrIKtEEEESL_NS6_8equal_toItEEEENSG_9not_fun_tINSD_8identityEEEEENSD_19counting_iterator_tIlEES8_S8_S8_S8_S8_S8_S8_S8_EEEEPS9_S9_NSD_9__find_if7functorIS9_EEEE10hipError_tPvRmT1_T2_T3_mT4_P12ihipStream_tbEUlT_E1_NS1_11comp_targetILNS1_3genE10ELNS1_11target_archE1201ELNS1_3gpuE5ELNS1_3repE0EEENS1_30default_config_static_selectorELNS0_4arch9wavefront6targetE1EEEvS14_
; %bb.0:
	.section	.rodata,"a",@progbits
	.p2align	6, 0x0
	.amdhsa_kernel _ZN7rocprim17ROCPRIM_400000_NS6detail17trampoline_kernelINS0_14default_configENS1_22reduce_config_selectorIN6thrust23THRUST_200600_302600_NS5tupleIblNS6_9null_typeES8_S8_S8_S8_S8_S8_S8_EEEEZNS1_11reduce_implILb1ES3_NS6_12zip_iteratorINS7_INS6_11hip_rocprim26transform_input_iterator_tIbNSD_35transform_pair_of_input_iterators_tIbNS6_6detail15normal_iteratorINS6_10device_ptrIKtEEEESL_NS6_8equal_toItEEEENSG_9not_fun_tINSD_8identityEEEEENSD_19counting_iterator_tIlEES8_S8_S8_S8_S8_S8_S8_S8_EEEEPS9_S9_NSD_9__find_if7functorIS9_EEEE10hipError_tPvRmT1_T2_T3_mT4_P12ihipStream_tbEUlT_E1_NS1_11comp_targetILNS1_3genE10ELNS1_11target_archE1201ELNS1_3gpuE5ELNS1_3repE0EEENS1_30default_config_static_selectorELNS0_4arch9wavefront6targetE1EEEvS14_
		.amdhsa_group_segment_fixed_size 0
		.amdhsa_private_segment_fixed_size 0
		.amdhsa_kernarg_size 88
		.amdhsa_user_sgpr_count 6
		.amdhsa_user_sgpr_private_segment_buffer 1
		.amdhsa_user_sgpr_dispatch_ptr 0
		.amdhsa_user_sgpr_queue_ptr 0
		.amdhsa_user_sgpr_kernarg_segment_ptr 1
		.amdhsa_user_sgpr_dispatch_id 0
		.amdhsa_user_sgpr_flat_scratch_init 0
		.amdhsa_user_sgpr_kernarg_preload_length 0
		.amdhsa_user_sgpr_kernarg_preload_offset 0
		.amdhsa_user_sgpr_private_segment_size 0
		.amdhsa_uses_dynamic_stack 0
		.amdhsa_system_sgpr_private_segment_wavefront_offset 0
		.amdhsa_system_sgpr_workgroup_id_x 1
		.amdhsa_system_sgpr_workgroup_id_y 0
		.amdhsa_system_sgpr_workgroup_id_z 0
		.amdhsa_system_sgpr_workgroup_info 0
		.amdhsa_system_vgpr_workitem_id 0
		.amdhsa_next_free_vgpr 1
		.amdhsa_next_free_sgpr 0
		.amdhsa_accum_offset 4
		.amdhsa_reserve_vcc 0
		.amdhsa_reserve_flat_scratch 0
		.amdhsa_float_round_mode_32 0
		.amdhsa_float_round_mode_16_64 0
		.amdhsa_float_denorm_mode_32 3
		.amdhsa_float_denorm_mode_16_64 3
		.amdhsa_dx10_clamp 1
		.amdhsa_ieee_mode 1
		.amdhsa_fp16_overflow 0
		.amdhsa_tg_split 0
		.amdhsa_exception_fp_ieee_invalid_op 0
		.amdhsa_exception_fp_denorm_src 0
		.amdhsa_exception_fp_ieee_div_zero 0
		.amdhsa_exception_fp_ieee_overflow 0
		.amdhsa_exception_fp_ieee_underflow 0
		.amdhsa_exception_fp_ieee_inexact 0
		.amdhsa_exception_int_div_zero 0
	.end_amdhsa_kernel
	.section	.text._ZN7rocprim17ROCPRIM_400000_NS6detail17trampoline_kernelINS0_14default_configENS1_22reduce_config_selectorIN6thrust23THRUST_200600_302600_NS5tupleIblNS6_9null_typeES8_S8_S8_S8_S8_S8_S8_EEEEZNS1_11reduce_implILb1ES3_NS6_12zip_iteratorINS7_INS6_11hip_rocprim26transform_input_iterator_tIbNSD_35transform_pair_of_input_iterators_tIbNS6_6detail15normal_iteratorINS6_10device_ptrIKtEEEESL_NS6_8equal_toItEEEENSG_9not_fun_tINSD_8identityEEEEENSD_19counting_iterator_tIlEES8_S8_S8_S8_S8_S8_S8_S8_EEEEPS9_S9_NSD_9__find_if7functorIS9_EEEE10hipError_tPvRmT1_T2_T3_mT4_P12ihipStream_tbEUlT_E1_NS1_11comp_targetILNS1_3genE10ELNS1_11target_archE1201ELNS1_3gpuE5ELNS1_3repE0EEENS1_30default_config_static_selectorELNS0_4arch9wavefront6targetE1EEEvS14_,"axG",@progbits,_ZN7rocprim17ROCPRIM_400000_NS6detail17trampoline_kernelINS0_14default_configENS1_22reduce_config_selectorIN6thrust23THRUST_200600_302600_NS5tupleIblNS6_9null_typeES8_S8_S8_S8_S8_S8_S8_EEEEZNS1_11reduce_implILb1ES3_NS6_12zip_iteratorINS7_INS6_11hip_rocprim26transform_input_iterator_tIbNSD_35transform_pair_of_input_iterators_tIbNS6_6detail15normal_iteratorINS6_10device_ptrIKtEEEESL_NS6_8equal_toItEEEENSG_9not_fun_tINSD_8identityEEEEENSD_19counting_iterator_tIlEES8_S8_S8_S8_S8_S8_S8_S8_EEEEPS9_S9_NSD_9__find_if7functorIS9_EEEE10hipError_tPvRmT1_T2_T3_mT4_P12ihipStream_tbEUlT_E1_NS1_11comp_targetILNS1_3genE10ELNS1_11target_archE1201ELNS1_3gpuE5ELNS1_3repE0EEENS1_30default_config_static_selectorELNS0_4arch9wavefront6targetE1EEEvS14_,comdat
.Lfunc_end202:
	.size	_ZN7rocprim17ROCPRIM_400000_NS6detail17trampoline_kernelINS0_14default_configENS1_22reduce_config_selectorIN6thrust23THRUST_200600_302600_NS5tupleIblNS6_9null_typeES8_S8_S8_S8_S8_S8_S8_EEEEZNS1_11reduce_implILb1ES3_NS6_12zip_iteratorINS7_INS6_11hip_rocprim26transform_input_iterator_tIbNSD_35transform_pair_of_input_iterators_tIbNS6_6detail15normal_iteratorINS6_10device_ptrIKtEEEESL_NS6_8equal_toItEEEENSG_9not_fun_tINSD_8identityEEEEENSD_19counting_iterator_tIlEES8_S8_S8_S8_S8_S8_S8_S8_EEEEPS9_S9_NSD_9__find_if7functorIS9_EEEE10hipError_tPvRmT1_T2_T3_mT4_P12ihipStream_tbEUlT_E1_NS1_11comp_targetILNS1_3genE10ELNS1_11target_archE1201ELNS1_3gpuE5ELNS1_3repE0EEENS1_30default_config_static_selectorELNS0_4arch9wavefront6targetE1EEEvS14_, .Lfunc_end202-_ZN7rocprim17ROCPRIM_400000_NS6detail17trampoline_kernelINS0_14default_configENS1_22reduce_config_selectorIN6thrust23THRUST_200600_302600_NS5tupleIblNS6_9null_typeES8_S8_S8_S8_S8_S8_S8_EEEEZNS1_11reduce_implILb1ES3_NS6_12zip_iteratorINS7_INS6_11hip_rocprim26transform_input_iterator_tIbNSD_35transform_pair_of_input_iterators_tIbNS6_6detail15normal_iteratorINS6_10device_ptrIKtEEEESL_NS6_8equal_toItEEEENSG_9not_fun_tINSD_8identityEEEEENSD_19counting_iterator_tIlEES8_S8_S8_S8_S8_S8_S8_S8_EEEEPS9_S9_NSD_9__find_if7functorIS9_EEEE10hipError_tPvRmT1_T2_T3_mT4_P12ihipStream_tbEUlT_E1_NS1_11comp_targetILNS1_3genE10ELNS1_11target_archE1201ELNS1_3gpuE5ELNS1_3repE0EEENS1_30default_config_static_selectorELNS0_4arch9wavefront6targetE1EEEvS14_
                                        ; -- End function
	.section	.AMDGPU.csdata,"",@progbits
; Kernel info:
; codeLenInByte = 0
; NumSgprs: 4
; NumVgprs: 0
; NumAgprs: 0
; TotalNumVgprs: 0
; ScratchSize: 0
; MemoryBound: 0
; FloatMode: 240
; IeeeMode: 1
; LDSByteSize: 0 bytes/workgroup (compile time only)
; SGPRBlocks: 0
; VGPRBlocks: 0
; NumSGPRsForWavesPerEU: 4
; NumVGPRsForWavesPerEU: 1
; AccumOffset: 4
; Occupancy: 8
; WaveLimiterHint : 0
; COMPUTE_PGM_RSRC2:SCRATCH_EN: 0
; COMPUTE_PGM_RSRC2:USER_SGPR: 6
; COMPUTE_PGM_RSRC2:TRAP_HANDLER: 0
; COMPUTE_PGM_RSRC2:TGID_X_EN: 1
; COMPUTE_PGM_RSRC2:TGID_Y_EN: 0
; COMPUTE_PGM_RSRC2:TGID_Z_EN: 0
; COMPUTE_PGM_RSRC2:TIDIG_COMP_CNT: 0
; COMPUTE_PGM_RSRC3_GFX90A:ACCUM_OFFSET: 0
; COMPUTE_PGM_RSRC3_GFX90A:TG_SPLIT: 0
	.section	.text._ZN7rocprim17ROCPRIM_400000_NS6detail17trampoline_kernelINS0_14default_configENS1_22reduce_config_selectorIN6thrust23THRUST_200600_302600_NS5tupleIblNS6_9null_typeES8_S8_S8_S8_S8_S8_S8_EEEEZNS1_11reduce_implILb1ES3_NS6_12zip_iteratorINS7_INS6_11hip_rocprim26transform_input_iterator_tIbNSD_35transform_pair_of_input_iterators_tIbNS6_6detail15normal_iteratorINS6_10device_ptrIKtEEEESL_NS6_8equal_toItEEEENSG_9not_fun_tINSD_8identityEEEEENSD_19counting_iterator_tIlEES8_S8_S8_S8_S8_S8_S8_S8_EEEEPS9_S9_NSD_9__find_if7functorIS9_EEEE10hipError_tPvRmT1_T2_T3_mT4_P12ihipStream_tbEUlT_E1_NS1_11comp_targetILNS1_3genE10ELNS1_11target_archE1200ELNS1_3gpuE4ELNS1_3repE0EEENS1_30default_config_static_selectorELNS0_4arch9wavefront6targetE1EEEvS14_,"axG",@progbits,_ZN7rocprim17ROCPRIM_400000_NS6detail17trampoline_kernelINS0_14default_configENS1_22reduce_config_selectorIN6thrust23THRUST_200600_302600_NS5tupleIblNS6_9null_typeES8_S8_S8_S8_S8_S8_S8_EEEEZNS1_11reduce_implILb1ES3_NS6_12zip_iteratorINS7_INS6_11hip_rocprim26transform_input_iterator_tIbNSD_35transform_pair_of_input_iterators_tIbNS6_6detail15normal_iteratorINS6_10device_ptrIKtEEEESL_NS6_8equal_toItEEEENSG_9not_fun_tINSD_8identityEEEEENSD_19counting_iterator_tIlEES8_S8_S8_S8_S8_S8_S8_S8_EEEEPS9_S9_NSD_9__find_if7functorIS9_EEEE10hipError_tPvRmT1_T2_T3_mT4_P12ihipStream_tbEUlT_E1_NS1_11comp_targetILNS1_3genE10ELNS1_11target_archE1200ELNS1_3gpuE4ELNS1_3repE0EEENS1_30default_config_static_selectorELNS0_4arch9wavefront6targetE1EEEvS14_,comdat
	.protected	_ZN7rocprim17ROCPRIM_400000_NS6detail17trampoline_kernelINS0_14default_configENS1_22reduce_config_selectorIN6thrust23THRUST_200600_302600_NS5tupleIblNS6_9null_typeES8_S8_S8_S8_S8_S8_S8_EEEEZNS1_11reduce_implILb1ES3_NS6_12zip_iteratorINS7_INS6_11hip_rocprim26transform_input_iterator_tIbNSD_35transform_pair_of_input_iterators_tIbNS6_6detail15normal_iteratorINS6_10device_ptrIKtEEEESL_NS6_8equal_toItEEEENSG_9not_fun_tINSD_8identityEEEEENSD_19counting_iterator_tIlEES8_S8_S8_S8_S8_S8_S8_S8_EEEEPS9_S9_NSD_9__find_if7functorIS9_EEEE10hipError_tPvRmT1_T2_T3_mT4_P12ihipStream_tbEUlT_E1_NS1_11comp_targetILNS1_3genE10ELNS1_11target_archE1200ELNS1_3gpuE4ELNS1_3repE0EEENS1_30default_config_static_selectorELNS0_4arch9wavefront6targetE1EEEvS14_ ; -- Begin function _ZN7rocprim17ROCPRIM_400000_NS6detail17trampoline_kernelINS0_14default_configENS1_22reduce_config_selectorIN6thrust23THRUST_200600_302600_NS5tupleIblNS6_9null_typeES8_S8_S8_S8_S8_S8_S8_EEEEZNS1_11reduce_implILb1ES3_NS6_12zip_iteratorINS7_INS6_11hip_rocprim26transform_input_iterator_tIbNSD_35transform_pair_of_input_iterators_tIbNS6_6detail15normal_iteratorINS6_10device_ptrIKtEEEESL_NS6_8equal_toItEEEENSG_9not_fun_tINSD_8identityEEEEENSD_19counting_iterator_tIlEES8_S8_S8_S8_S8_S8_S8_S8_EEEEPS9_S9_NSD_9__find_if7functorIS9_EEEE10hipError_tPvRmT1_T2_T3_mT4_P12ihipStream_tbEUlT_E1_NS1_11comp_targetILNS1_3genE10ELNS1_11target_archE1200ELNS1_3gpuE4ELNS1_3repE0EEENS1_30default_config_static_selectorELNS0_4arch9wavefront6targetE1EEEvS14_
	.globl	_ZN7rocprim17ROCPRIM_400000_NS6detail17trampoline_kernelINS0_14default_configENS1_22reduce_config_selectorIN6thrust23THRUST_200600_302600_NS5tupleIblNS6_9null_typeES8_S8_S8_S8_S8_S8_S8_EEEEZNS1_11reduce_implILb1ES3_NS6_12zip_iteratorINS7_INS6_11hip_rocprim26transform_input_iterator_tIbNSD_35transform_pair_of_input_iterators_tIbNS6_6detail15normal_iteratorINS6_10device_ptrIKtEEEESL_NS6_8equal_toItEEEENSG_9not_fun_tINSD_8identityEEEEENSD_19counting_iterator_tIlEES8_S8_S8_S8_S8_S8_S8_S8_EEEEPS9_S9_NSD_9__find_if7functorIS9_EEEE10hipError_tPvRmT1_T2_T3_mT4_P12ihipStream_tbEUlT_E1_NS1_11comp_targetILNS1_3genE10ELNS1_11target_archE1200ELNS1_3gpuE4ELNS1_3repE0EEENS1_30default_config_static_selectorELNS0_4arch9wavefront6targetE1EEEvS14_
	.p2align	8
	.type	_ZN7rocprim17ROCPRIM_400000_NS6detail17trampoline_kernelINS0_14default_configENS1_22reduce_config_selectorIN6thrust23THRUST_200600_302600_NS5tupleIblNS6_9null_typeES8_S8_S8_S8_S8_S8_S8_EEEEZNS1_11reduce_implILb1ES3_NS6_12zip_iteratorINS7_INS6_11hip_rocprim26transform_input_iterator_tIbNSD_35transform_pair_of_input_iterators_tIbNS6_6detail15normal_iteratorINS6_10device_ptrIKtEEEESL_NS6_8equal_toItEEEENSG_9not_fun_tINSD_8identityEEEEENSD_19counting_iterator_tIlEES8_S8_S8_S8_S8_S8_S8_S8_EEEEPS9_S9_NSD_9__find_if7functorIS9_EEEE10hipError_tPvRmT1_T2_T3_mT4_P12ihipStream_tbEUlT_E1_NS1_11comp_targetILNS1_3genE10ELNS1_11target_archE1200ELNS1_3gpuE4ELNS1_3repE0EEENS1_30default_config_static_selectorELNS0_4arch9wavefront6targetE1EEEvS14_,@function
_ZN7rocprim17ROCPRIM_400000_NS6detail17trampoline_kernelINS0_14default_configENS1_22reduce_config_selectorIN6thrust23THRUST_200600_302600_NS5tupleIblNS6_9null_typeES8_S8_S8_S8_S8_S8_S8_EEEEZNS1_11reduce_implILb1ES3_NS6_12zip_iteratorINS7_INS6_11hip_rocprim26transform_input_iterator_tIbNSD_35transform_pair_of_input_iterators_tIbNS6_6detail15normal_iteratorINS6_10device_ptrIKtEEEESL_NS6_8equal_toItEEEENSG_9not_fun_tINSD_8identityEEEEENSD_19counting_iterator_tIlEES8_S8_S8_S8_S8_S8_S8_S8_EEEEPS9_S9_NSD_9__find_if7functorIS9_EEEE10hipError_tPvRmT1_T2_T3_mT4_P12ihipStream_tbEUlT_E1_NS1_11comp_targetILNS1_3genE10ELNS1_11target_archE1200ELNS1_3gpuE4ELNS1_3repE0EEENS1_30default_config_static_selectorELNS0_4arch9wavefront6targetE1EEEvS14_: ; @_ZN7rocprim17ROCPRIM_400000_NS6detail17trampoline_kernelINS0_14default_configENS1_22reduce_config_selectorIN6thrust23THRUST_200600_302600_NS5tupleIblNS6_9null_typeES8_S8_S8_S8_S8_S8_S8_EEEEZNS1_11reduce_implILb1ES3_NS6_12zip_iteratorINS7_INS6_11hip_rocprim26transform_input_iterator_tIbNSD_35transform_pair_of_input_iterators_tIbNS6_6detail15normal_iteratorINS6_10device_ptrIKtEEEESL_NS6_8equal_toItEEEENSG_9not_fun_tINSD_8identityEEEEENSD_19counting_iterator_tIlEES8_S8_S8_S8_S8_S8_S8_S8_EEEEPS9_S9_NSD_9__find_if7functorIS9_EEEE10hipError_tPvRmT1_T2_T3_mT4_P12ihipStream_tbEUlT_E1_NS1_11comp_targetILNS1_3genE10ELNS1_11target_archE1200ELNS1_3gpuE4ELNS1_3repE0EEENS1_30default_config_static_selectorELNS0_4arch9wavefront6targetE1EEEvS14_
; %bb.0:
	.section	.rodata,"a",@progbits
	.p2align	6, 0x0
	.amdhsa_kernel _ZN7rocprim17ROCPRIM_400000_NS6detail17trampoline_kernelINS0_14default_configENS1_22reduce_config_selectorIN6thrust23THRUST_200600_302600_NS5tupleIblNS6_9null_typeES8_S8_S8_S8_S8_S8_S8_EEEEZNS1_11reduce_implILb1ES3_NS6_12zip_iteratorINS7_INS6_11hip_rocprim26transform_input_iterator_tIbNSD_35transform_pair_of_input_iterators_tIbNS6_6detail15normal_iteratorINS6_10device_ptrIKtEEEESL_NS6_8equal_toItEEEENSG_9not_fun_tINSD_8identityEEEEENSD_19counting_iterator_tIlEES8_S8_S8_S8_S8_S8_S8_S8_EEEEPS9_S9_NSD_9__find_if7functorIS9_EEEE10hipError_tPvRmT1_T2_T3_mT4_P12ihipStream_tbEUlT_E1_NS1_11comp_targetILNS1_3genE10ELNS1_11target_archE1200ELNS1_3gpuE4ELNS1_3repE0EEENS1_30default_config_static_selectorELNS0_4arch9wavefront6targetE1EEEvS14_
		.amdhsa_group_segment_fixed_size 0
		.amdhsa_private_segment_fixed_size 0
		.amdhsa_kernarg_size 88
		.amdhsa_user_sgpr_count 6
		.amdhsa_user_sgpr_private_segment_buffer 1
		.amdhsa_user_sgpr_dispatch_ptr 0
		.amdhsa_user_sgpr_queue_ptr 0
		.amdhsa_user_sgpr_kernarg_segment_ptr 1
		.amdhsa_user_sgpr_dispatch_id 0
		.amdhsa_user_sgpr_flat_scratch_init 0
		.amdhsa_user_sgpr_kernarg_preload_length 0
		.amdhsa_user_sgpr_kernarg_preload_offset 0
		.amdhsa_user_sgpr_private_segment_size 0
		.amdhsa_uses_dynamic_stack 0
		.amdhsa_system_sgpr_private_segment_wavefront_offset 0
		.amdhsa_system_sgpr_workgroup_id_x 1
		.amdhsa_system_sgpr_workgroup_id_y 0
		.amdhsa_system_sgpr_workgroup_id_z 0
		.amdhsa_system_sgpr_workgroup_info 0
		.amdhsa_system_vgpr_workitem_id 0
		.amdhsa_next_free_vgpr 1
		.amdhsa_next_free_sgpr 0
		.amdhsa_accum_offset 4
		.amdhsa_reserve_vcc 0
		.amdhsa_reserve_flat_scratch 0
		.amdhsa_float_round_mode_32 0
		.amdhsa_float_round_mode_16_64 0
		.amdhsa_float_denorm_mode_32 3
		.amdhsa_float_denorm_mode_16_64 3
		.amdhsa_dx10_clamp 1
		.amdhsa_ieee_mode 1
		.amdhsa_fp16_overflow 0
		.amdhsa_tg_split 0
		.amdhsa_exception_fp_ieee_invalid_op 0
		.amdhsa_exception_fp_denorm_src 0
		.amdhsa_exception_fp_ieee_div_zero 0
		.amdhsa_exception_fp_ieee_overflow 0
		.amdhsa_exception_fp_ieee_underflow 0
		.amdhsa_exception_fp_ieee_inexact 0
		.amdhsa_exception_int_div_zero 0
	.end_amdhsa_kernel
	.section	.text._ZN7rocprim17ROCPRIM_400000_NS6detail17trampoline_kernelINS0_14default_configENS1_22reduce_config_selectorIN6thrust23THRUST_200600_302600_NS5tupleIblNS6_9null_typeES8_S8_S8_S8_S8_S8_S8_EEEEZNS1_11reduce_implILb1ES3_NS6_12zip_iteratorINS7_INS6_11hip_rocprim26transform_input_iterator_tIbNSD_35transform_pair_of_input_iterators_tIbNS6_6detail15normal_iteratorINS6_10device_ptrIKtEEEESL_NS6_8equal_toItEEEENSG_9not_fun_tINSD_8identityEEEEENSD_19counting_iterator_tIlEES8_S8_S8_S8_S8_S8_S8_S8_EEEEPS9_S9_NSD_9__find_if7functorIS9_EEEE10hipError_tPvRmT1_T2_T3_mT4_P12ihipStream_tbEUlT_E1_NS1_11comp_targetILNS1_3genE10ELNS1_11target_archE1200ELNS1_3gpuE4ELNS1_3repE0EEENS1_30default_config_static_selectorELNS0_4arch9wavefront6targetE1EEEvS14_,"axG",@progbits,_ZN7rocprim17ROCPRIM_400000_NS6detail17trampoline_kernelINS0_14default_configENS1_22reduce_config_selectorIN6thrust23THRUST_200600_302600_NS5tupleIblNS6_9null_typeES8_S8_S8_S8_S8_S8_S8_EEEEZNS1_11reduce_implILb1ES3_NS6_12zip_iteratorINS7_INS6_11hip_rocprim26transform_input_iterator_tIbNSD_35transform_pair_of_input_iterators_tIbNS6_6detail15normal_iteratorINS6_10device_ptrIKtEEEESL_NS6_8equal_toItEEEENSG_9not_fun_tINSD_8identityEEEEENSD_19counting_iterator_tIlEES8_S8_S8_S8_S8_S8_S8_S8_EEEEPS9_S9_NSD_9__find_if7functorIS9_EEEE10hipError_tPvRmT1_T2_T3_mT4_P12ihipStream_tbEUlT_E1_NS1_11comp_targetILNS1_3genE10ELNS1_11target_archE1200ELNS1_3gpuE4ELNS1_3repE0EEENS1_30default_config_static_selectorELNS0_4arch9wavefront6targetE1EEEvS14_,comdat
.Lfunc_end203:
	.size	_ZN7rocprim17ROCPRIM_400000_NS6detail17trampoline_kernelINS0_14default_configENS1_22reduce_config_selectorIN6thrust23THRUST_200600_302600_NS5tupleIblNS6_9null_typeES8_S8_S8_S8_S8_S8_S8_EEEEZNS1_11reduce_implILb1ES3_NS6_12zip_iteratorINS7_INS6_11hip_rocprim26transform_input_iterator_tIbNSD_35transform_pair_of_input_iterators_tIbNS6_6detail15normal_iteratorINS6_10device_ptrIKtEEEESL_NS6_8equal_toItEEEENSG_9not_fun_tINSD_8identityEEEEENSD_19counting_iterator_tIlEES8_S8_S8_S8_S8_S8_S8_S8_EEEEPS9_S9_NSD_9__find_if7functorIS9_EEEE10hipError_tPvRmT1_T2_T3_mT4_P12ihipStream_tbEUlT_E1_NS1_11comp_targetILNS1_3genE10ELNS1_11target_archE1200ELNS1_3gpuE4ELNS1_3repE0EEENS1_30default_config_static_selectorELNS0_4arch9wavefront6targetE1EEEvS14_, .Lfunc_end203-_ZN7rocprim17ROCPRIM_400000_NS6detail17trampoline_kernelINS0_14default_configENS1_22reduce_config_selectorIN6thrust23THRUST_200600_302600_NS5tupleIblNS6_9null_typeES8_S8_S8_S8_S8_S8_S8_EEEEZNS1_11reduce_implILb1ES3_NS6_12zip_iteratorINS7_INS6_11hip_rocprim26transform_input_iterator_tIbNSD_35transform_pair_of_input_iterators_tIbNS6_6detail15normal_iteratorINS6_10device_ptrIKtEEEESL_NS6_8equal_toItEEEENSG_9not_fun_tINSD_8identityEEEEENSD_19counting_iterator_tIlEES8_S8_S8_S8_S8_S8_S8_S8_EEEEPS9_S9_NSD_9__find_if7functorIS9_EEEE10hipError_tPvRmT1_T2_T3_mT4_P12ihipStream_tbEUlT_E1_NS1_11comp_targetILNS1_3genE10ELNS1_11target_archE1200ELNS1_3gpuE4ELNS1_3repE0EEENS1_30default_config_static_selectorELNS0_4arch9wavefront6targetE1EEEvS14_
                                        ; -- End function
	.section	.AMDGPU.csdata,"",@progbits
; Kernel info:
; codeLenInByte = 0
; NumSgprs: 4
; NumVgprs: 0
; NumAgprs: 0
; TotalNumVgprs: 0
; ScratchSize: 0
; MemoryBound: 0
; FloatMode: 240
; IeeeMode: 1
; LDSByteSize: 0 bytes/workgroup (compile time only)
; SGPRBlocks: 0
; VGPRBlocks: 0
; NumSGPRsForWavesPerEU: 4
; NumVGPRsForWavesPerEU: 1
; AccumOffset: 4
; Occupancy: 8
; WaveLimiterHint : 0
; COMPUTE_PGM_RSRC2:SCRATCH_EN: 0
; COMPUTE_PGM_RSRC2:USER_SGPR: 6
; COMPUTE_PGM_RSRC2:TRAP_HANDLER: 0
; COMPUTE_PGM_RSRC2:TGID_X_EN: 1
; COMPUTE_PGM_RSRC2:TGID_Y_EN: 0
; COMPUTE_PGM_RSRC2:TGID_Z_EN: 0
; COMPUTE_PGM_RSRC2:TIDIG_COMP_CNT: 0
; COMPUTE_PGM_RSRC3_GFX90A:ACCUM_OFFSET: 0
; COMPUTE_PGM_RSRC3_GFX90A:TG_SPLIT: 0
	.section	.text._ZN7rocprim17ROCPRIM_400000_NS6detail17trampoline_kernelINS0_14default_configENS1_22reduce_config_selectorIN6thrust23THRUST_200600_302600_NS5tupleIblNS6_9null_typeES8_S8_S8_S8_S8_S8_S8_EEEEZNS1_11reduce_implILb1ES3_NS6_12zip_iteratorINS7_INS6_11hip_rocprim26transform_input_iterator_tIbNSD_35transform_pair_of_input_iterators_tIbNS6_6detail15normal_iteratorINS6_10device_ptrIKtEEEESL_NS6_8equal_toItEEEENSG_9not_fun_tINSD_8identityEEEEENSD_19counting_iterator_tIlEES8_S8_S8_S8_S8_S8_S8_S8_EEEEPS9_S9_NSD_9__find_if7functorIS9_EEEE10hipError_tPvRmT1_T2_T3_mT4_P12ihipStream_tbEUlT_E1_NS1_11comp_targetILNS1_3genE9ELNS1_11target_archE1100ELNS1_3gpuE3ELNS1_3repE0EEENS1_30default_config_static_selectorELNS0_4arch9wavefront6targetE1EEEvS14_,"axG",@progbits,_ZN7rocprim17ROCPRIM_400000_NS6detail17trampoline_kernelINS0_14default_configENS1_22reduce_config_selectorIN6thrust23THRUST_200600_302600_NS5tupleIblNS6_9null_typeES8_S8_S8_S8_S8_S8_S8_EEEEZNS1_11reduce_implILb1ES3_NS6_12zip_iteratorINS7_INS6_11hip_rocprim26transform_input_iterator_tIbNSD_35transform_pair_of_input_iterators_tIbNS6_6detail15normal_iteratorINS6_10device_ptrIKtEEEESL_NS6_8equal_toItEEEENSG_9not_fun_tINSD_8identityEEEEENSD_19counting_iterator_tIlEES8_S8_S8_S8_S8_S8_S8_S8_EEEEPS9_S9_NSD_9__find_if7functorIS9_EEEE10hipError_tPvRmT1_T2_T3_mT4_P12ihipStream_tbEUlT_E1_NS1_11comp_targetILNS1_3genE9ELNS1_11target_archE1100ELNS1_3gpuE3ELNS1_3repE0EEENS1_30default_config_static_selectorELNS0_4arch9wavefront6targetE1EEEvS14_,comdat
	.protected	_ZN7rocprim17ROCPRIM_400000_NS6detail17trampoline_kernelINS0_14default_configENS1_22reduce_config_selectorIN6thrust23THRUST_200600_302600_NS5tupleIblNS6_9null_typeES8_S8_S8_S8_S8_S8_S8_EEEEZNS1_11reduce_implILb1ES3_NS6_12zip_iteratorINS7_INS6_11hip_rocprim26transform_input_iterator_tIbNSD_35transform_pair_of_input_iterators_tIbNS6_6detail15normal_iteratorINS6_10device_ptrIKtEEEESL_NS6_8equal_toItEEEENSG_9not_fun_tINSD_8identityEEEEENSD_19counting_iterator_tIlEES8_S8_S8_S8_S8_S8_S8_S8_EEEEPS9_S9_NSD_9__find_if7functorIS9_EEEE10hipError_tPvRmT1_T2_T3_mT4_P12ihipStream_tbEUlT_E1_NS1_11comp_targetILNS1_3genE9ELNS1_11target_archE1100ELNS1_3gpuE3ELNS1_3repE0EEENS1_30default_config_static_selectorELNS0_4arch9wavefront6targetE1EEEvS14_ ; -- Begin function _ZN7rocprim17ROCPRIM_400000_NS6detail17trampoline_kernelINS0_14default_configENS1_22reduce_config_selectorIN6thrust23THRUST_200600_302600_NS5tupleIblNS6_9null_typeES8_S8_S8_S8_S8_S8_S8_EEEEZNS1_11reduce_implILb1ES3_NS6_12zip_iteratorINS7_INS6_11hip_rocprim26transform_input_iterator_tIbNSD_35transform_pair_of_input_iterators_tIbNS6_6detail15normal_iteratorINS6_10device_ptrIKtEEEESL_NS6_8equal_toItEEEENSG_9not_fun_tINSD_8identityEEEEENSD_19counting_iterator_tIlEES8_S8_S8_S8_S8_S8_S8_S8_EEEEPS9_S9_NSD_9__find_if7functorIS9_EEEE10hipError_tPvRmT1_T2_T3_mT4_P12ihipStream_tbEUlT_E1_NS1_11comp_targetILNS1_3genE9ELNS1_11target_archE1100ELNS1_3gpuE3ELNS1_3repE0EEENS1_30default_config_static_selectorELNS0_4arch9wavefront6targetE1EEEvS14_
	.globl	_ZN7rocprim17ROCPRIM_400000_NS6detail17trampoline_kernelINS0_14default_configENS1_22reduce_config_selectorIN6thrust23THRUST_200600_302600_NS5tupleIblNS6_9null_typeES8_S8_S8_S8_S8_S8_S8_EEEEZNS1_11reduce_implILb1ES3_NS6_12zip_iteratorINS7_INS6_11hip_rocprim26transform_input_iterator_tIbNSD_35transform_pair_of_input_iterators_tIbNS6_6detail15normal_iteratorINS6_10device_ptrIKtEEEESL_NS6_8equal_toItEEEENSG_9not_fun_tINSD_8identityEEEEENSD_19counting_iterator_tIlEES8_S8_S8_S8_S8_S8_S8_S8_EEEEPS9_S9_NSD_9__find_if7functorIS9_EEEE10hipError_tPvRmT1_T2_T3_mT4_P12ihipStream_tbEUlT_E1_NS1_11comp_targetILNS1_3genE9ELNS1_11target_archE1100ELNS1_3gpuE3ELNS1_3repE0EEENS1_30default_config_static_selectorELNS0_4arch9wavefront6targetE1EEEvS14_
	.p2align	8
	.type	_ZN7rocprim17ROCPRIM_400000_NS6detail17trampoline_kernelINS0_14default_configENS1_22reduce_config_selectorIN6thrust23THRUST_200600_302600_NS5tupleIblNS6_9null_typeES8_S8_S8_S8_S8_S8_S8_EEEEZNS1_11reduce_implILb1ES3_NS6_12zip_iteratorINS7_INS6_11hip_rocprim26transform_input_iterator_tIbNSD_35transform_pair_of_input_iterators_tIbNS6_6detail15normal_iteratorINS6_10device_ptrIKtEEEESL_NS6_8equal_toItEEEENSG_9not_fun_tINSD_8identityEEEEENSD_19counting_iterator_tIlEES8_S8_S8_S8_S8_S8_S8_S8_EEEEPS9_S9_NSD_9__find_if7functorIS9_EEEE10hipError_tPvRmT1_T2_T3_mT4_P12ihipStream_tbEUlT_E1_NS1_11comp_targetILNS1_3genE9ELNS1_11target_archE1100ELNS1_3gpuE3ELNS1_3repE0EEENS1_30default_config_static_selectorELNS0_4arch9wavefront6targetE1EEEvS14_,@function
_ZN7rocprim17ROCPRIM_400000_NS6detail17trampoline_kernelINS0_14default_configENS1_22reduce_config_selectorIN6thrust23THRUST_200600_302600_NS5tupleIblNS6_9null_typeES8_S8_S8_S8_S8_S8_S8_EEEEZNS1_11reduce_implILb1ES3_NS6_12zip_iteratorINS7_INS6_11hip_rocprim26transform_input_iterator_tIbNSD_35transform_pair_of_input_iterators_tIbNS6_6detail15normal_iteratorINS6_10device_ptrIKtEEEESL_NS6_8equal_toItEEEENSG_9not_fun_tINSD_8identityEEEEENSD_19counting_iterator_tIlEES8_S8_S8_S8_S8_S8_S8_S8_EEEEPS9_S9_NSD_9__find_if7functorIS9_EEEE10hipError_tPvRmT1_T2_T3_mT4_P12ihipStream_tbEUlT_E1_NS1_11comp_targetILNS1_3genE9ELNS1_11target_archE1100ELNS1_3gpuE3ELNS1_3repE0EEENS1_30default_config_static_selectorELNS0_4arch9wavefront6targetE1EEEvS14_: ; @_ZN7rocprim17ROCPRIM_400000_NS6detail17trampoline_kernelINS0_14default_configENS1_22reduce_config_selectorIN6thrust23THRUST_200600_302600_NS5tupleIblNS6_9null_typeES8_S8_S8_S8_S8_S8_S8_EEEEZNS1_11reduce_implILb1ES3_NS6_12zip_iteratorINS7_INS6_11hip_rocprim26transform_input_iterator_tIbNSD_35transform_pair_of_input_iterators_tIbNS6_6detail15normal_iteratorINS6_10device_ptrIKtEEEESL_NS6_8equal_toItEEEENSG_9not_fun_tINSD_8identityEEEEENSD_19counting_iterator_tIlEES8_S8_S8_S8_S8_S8_S8_S8_EEEEPS9_S9_NSD_9__find_if7functorIS9_EEEE10hipError_tPvRmT1_T2_T3_mT4_P12ihipStream_tbEUlT_E1_NS1_11comp_targetILNS1_3genE9ELNS1_11target_archE1100ELNS1_3gpuE3ELNS1_3repE0EEENS1_30default_config_static_selectorELNS0_4arch9wavefront6targetE1EEEvS14_
; %bb.0:
	.section	.rodata,"a",@progbits
	.p2align	6, 0x0
	.amdhsa_kernel _ZN7rocprim17ROCPRIM_400000_NS6detail17trampoline_kernelINS0_14default_configENS1_22reduce_config_selectorIN6thrust23THRUST_200600_302600_NS5tupleIblNS6_9null_typeES8_S8_S8_S8_S8_S8_S8_EEEEZNS1_11reduce_implILb1ES3_NS6_12zip_iteratorINS7_INS6_11hip_rocprim26transform_input_iterator_tIbNSD_35transform_pair_of_input_iterators_tIbNS6_6detail15normal_iteratorINS6_10device_ptrIKtEEEESL_NS6_8equal_toItEEEENSG_9not_fun_tINSD_8identityEEEEENSD_19counting_iterator_tIlEES8_S8_S8_S8_S8_S8_S8_S8_EEEEPS9_S9_NSD_9__find_if7functorIS9_EEEE10hipError_tPvRmT1_T2_T3_mT4_P12ihipStream_tbEUlT_E1_NS1_11comp_targetILNS1_3genE9ELNS1_11target_archE1100ELNS1_3gpuE3ELNS1_3repE0EEENS1_30default_config_static_selectorELNS0_4arch9wavefront6targetE1EEEvS14_
		.amdhsa_group_segment_fixed_size 0
		.amdhsa_private_segment_fixed_size 0
		.amdhsa_kernarg_size 88
		.amdhsa_user_sgpr_count 6
		.amdhsa_user_sgpr_private_segment_buffer 1
		.amdhsa_user_sgpr_dispatch_ptr 0
		.amdhsa_user_sgpr_queue_ptr 0
		.amdhsa_user_sgpr_kernarg_segment_ptr 1
		.amdhsa_user_sgpr_dispatch_id 0
		.amdhsa_user_sgpr_flat_scratch_init 0
		.amdhsa_user_sgpr_kernarg_preload_length 0
		.amdhsa_user_sgpr_kernarg_preload_offset 0
		.amdhsa_user_sgpr_private_segment_size 0
		.amdhsa_uses_dynamic_stack 0
		.amdhsa_system_sgpr_private_segment_wavefront_offset 0
		.amdhsa_system_sgpr_workgroup_id_x 1
		.amdhsa_system_sgpr_workgroup_id_y 0
		.amdhsa_system_sgpr_workgroup_id_z 0
		.amdhsa_system_sgpr_workgroup_info 0
		.amdhsa_system_vgpr_workitem_id 0
		.amdhsa_next_free_vgpr 1
		.amdhsa_next_free_sgpr 0
		.amdhsa_accum_offset 4
		.amdhsa_reserve_vcc 0
		.amdhsa_reserve_flat_scratch 0
		.amdhsa_float_round_mode_32 0
		.amdhsa_float_round_mode_16_64 0
		.amdhsa_float_denorm_mode_32 3
		.amdhsa_float_denorm_mode_16_64 3
		.amdhsa_dx10_clamp 1
		.amdhsa_ieee_mode 1
		.amdhsa_fp16_overflow 0
		.amdhsa_tg_split 0
		.amdhsa_exception_fp_ieee_invalid_op 0
		.amdhsa_exception_fp_denorm_src 0
		.amdhsa_exception_fp_ieee_div_zero 0
		.amdhsa_exception_fp_ieee_overflow 0
		.amdhsa_exception_fp_ieee_underflow 0
		.amdhsa_exception_fp_ieee_inexact 0
		.amdhsa_exception_int_div_zero 0
	.end_amdhsa_kernel
	.section	.text._ZN7rocprim17ROCPRIM_400000_NS6detail17trampoline_kernelINS0_14default_configENS1_22reduce_config_selectorIN6thrust23THRUST_200600_302600_NS5tupleIblNS6_9null_typeES8_S8_S8_S8_S8_S8_S8_EEEEZNS1_11reduce_implILb1ES3_NS6_12zip_iteratorINS7_INS6_11hip_rocprim26transform_input_iterator_tIbNSD_35transform_pair_of_input_iterators_tIbNS6_6detail15normal_iteratorINS6_10device_ptrIKtEEEESL_NS6_8equal_toItEEEENSG_9not_fun_tINSD_8identityEEEEENSD_19counting_iterator_tIlEES8_S8_S8_S8_S8_S8_S8_S8_EEEEPS9_S9_NSD_9__find_if7functorIS9_EEEE10hipError_tPvRmT1_T2_T3_mT4_P12ihipStream_tbEUlT_E1_NS1_11comp_targetILNS1_3genE9ELNS1_11target_archE1100ELNS1_3gpuE3ELNS1_3repE0EEENS1_30default_config_static_selectorELNS0_4arch9wavefront6targetE1EEEvS14_,"axG",@progbits,_ZN7rocprim17ROCPRIM_400000_NS6detail17trampoline_kernelINS0_14default_configENS1_22reduce_config_selectorIN6thrust23THRUST_200600_302600_NS5tupleIblNS6_9null_typeES8_S8_S8_S8_S8_S8_S8_EEEEZNS1_11reduce_implILb1ES3_NS6_12zip_iteratorINS7_INS6_11hip_rocprim26transform_input_iterator_tIbNSD_35transform_pair_of_input_iterators_tIbNS6_6detail15normal_iteratorINS6_10device_ptrIKtEEEESL_NS6_8equal_toItEEEENSG_9not_fun_tINSD_8identityEEEEENSD_19counting_iterator_tIlEES8_S8_S8_S8_S8_S8_S8_S8_EEEEPS9_S9_NSD_9__find_if7functorIS9_EEEE10hipError_tPvRmT1_T2_T3_mT4_P12ihipStream_tbEUlT_E1_NS1_11comp_targetILNS1_3genE9ELNS1_11target_archE1100ELNS1_3gpuE3ELNS1_3repE0EEENS1_30default_config_static_selectorELNS0_4arch9wavefront6targetE1EEEvS14_,comdat
.Lfunc_end204:
	.size	_ZN7rocprim17ROCPRIM_400000_NS6detail17trampoline_kernelINS0_14default_configENS1_22reduce_config_selectorIN6thrust23THRUST_200600_302600_NS5tupleIblNS6_9null_typeES8_S8_S8_S8_S8_S8_S8_EEEEZNS1_11reduce_implILb1ES3_NS6_12zip_iteratorINS7_INS6_11hip_rocprim26transform_input_iterator_tIbNSD_35transform_pair_of_input_iterators_tIbNS6_6detail15normal_iteratorINS6_10device_ptrIKtEEEESL_NS6_8equal_toItEEEENSG_9not_fun_tINSD_8identityEEEEENSD_19counting_iterator_tIlEES8_S8_S8_S8_S8_S8_S8_S8_EEEEPS9_S9_NSD_9__find_if7functorIS9_EEEE10hipError_tPvRmT1_T2_T3_mT4_P12ihipStream_tbEUlT_E1_NS1_11comp_targetILNS1_3genE9ELNS1_11target_archE1100ELNS1_3gpuE3ELNS1_3repE0EEENS1_30default_config_static_selectorELNS0_4arch9wavefront6targetE1EEEvS14_, .Lfunc_end204-_ZN7rocprim17ROCPRIM_400000_NS6detail17trampoline_kernelINS0_14default_configENS1_22reduce_config_selectorIN6thrust23THRUST_200600_302600_NS5tupleIblNS6_9null_typeES8_S8_S8_S8_S8_S8_S8_EEEEZNS1_11reduce_implILb1ES3_NS6_12zip_iteratorINS7_INS6_11hip_rocprim26transform_input_iterator_tIbNSD_35transform_pair_of_input_iterators_tIbNS6_6detail15normal_iteratorINS6_10device_ptrIKtEEEESL_NS6_8equal_toItEEEENSG_9not_fun_tINSD_8identityEEEEENSD_19counting_iterator_tIlEES8_S8_S8_S8_S8_S8_S8_S8_EEEEPS9_S9_NSD_9__find_if7functorIS9_EEEE10hipError_tPvRmT1_T2_T3_mT4_P12ihipStream_tbEUlT_E1_NS1_11comp_targetILNS1_3genE9ELNS1_11target_archE1100ELNS1_3gpuE3ELNS1_3repE0EEENS1_30default_config_static_selectorELNS0_4arch9wavefront6targetE1EEEvS14_
                                        ; -- End function
	.section	.AMDGPU.csdata,"",@progbits
; Kernel info:
; codeLenInByte = 0
; NumSgprs: 4
; NumVgprs: 0
; NumAgprs: 0
; TotalNumVgprs: 0
; ScratchSize: 0
; MemoryBound: 0
; FloatMode: 240
; IeeeMode: 1
; LDSByteSize: 0 bytes/workgroup (compile time only)
; SGPRBlocks: 0
; VGPRBlocks: 0
; NumSGPRsForWavesPerEU: 4
; NumVGPRsForWavesPerEU: 1
; AccumOffset: 4
; Occupancy: 8
; WaveLimiterHint : 0
; COMPUTE_PGM_RSRC2:SCRATCH_EN: 0
; COMPUTE_PGM_RSRC2:USER_SGPR: 6
; COMPUTE_PGM_RSRC2:TRAP_HANDLER: 0
; COMPUTE_PGM_RSRC2:TGID_X_EN: 1
; COMPUTE_PGM_RSRC2:TGID_Y_EN: 0
; COMPUTE_PGM_RSRC2:TGID_Z_EN: 0
; COMPUTE_PGM_RSRC2:TIDIG_COMP_CNT: 0
; COMPUTE_PGM_RSRC3_GFX90A:ACCUM_OFFSET: 0
; COMPUTE_PGM_RSRC3_GFX90A:TG_SPLIT: 0
	.section	.text._ZN7rocprim17ROCPRIM_400000_NS6detail17trampoline_kernelINS0_14default_configENS1_22reduce_config_selectorIN6thrust23THRUST_200600_302600_NS5tupleIblNS6_9null_typeES8_S8_S8_S8_S8_S8_S8_EEEEZNS1_11reduce_implILb1ES3_NS6_12zip_iteratorINS7_INS6_11hip_rocprim26transform_input_iterator_tIbNSD_35transform_pair_of_input_iterators_tIbNS6_6detail15normal_iteratorINS6_10device_ptrIKtEEEESL_NS6_8equal_toItEEEENSG_9not_fun_tINSD_8identityEEEEENSD_19counting_iterator_tIlEES8_S8_S8_S8_S8_S8_S8_S8_EEEEPS9_S9_NSD_9__find_if7functorIS9_EEEE10hipError_tPvRmT1_T2_T3_mT4_P12ihipStream_tbEUlT_E1_NS1_11comp_targetILNS1_3genE8ELNS1_11target_archE1030ELNS1_3gpuE2ELNS1_3repE0EEENS1_30default_config_static_selectorELNS0_4arch9wavefront6targetE1EEEvS14_,"axG",@progbits,_ZN7rocprim17ROCPRIM_400000_NS6detail17trampoline_kernelINS0_14default_configENS1_22reduce_config_selectorIN6thrust23THRUST_200600_302600_NS5tupleIblNS6_9null_typeES8_S8_S8_S8_S8_S8_S8_EEEEZNS1_11reduce_implILb1ES3_NS6_12zip_iteratorINS7_INS6_11hip_rocprim26transform_input_iterator_tIbNSD_35transform_pair_of_input_iterators_tIbNS6_6detail15normal_iteratorINS6_10device_ptrIKtEEEESL_NS6_8equal_toItEEEENSG_9not_fun_tINSD_8identityEEEEENSD_19counting_iterator_tIlEES8_S8_S8_S8_S8_S8_S8_S8_EEEEPS9_S9_NSD_9__find_if7functorIS9_EEEE10hipError_tPvRmT1_T2_T3_mT4_P12ihipStream_tbEUlT_E1_NS1_11comp_targetILNS1_3genE8ELNS1_11target_archE1030ELNS1_3gpuE2ELNS1_3repE0EEENS1_30default_config_static_selectorELNS0_4arch9wavefront6targetE1EEEvS14_,comdat
	.protected	_ZN7rocprim17ROCPRIM_400000_NS6detail17trampoline_kernelINS0_14default_configENS1_22reduce_config_selectorIN6thrust23THRUST_200600_302600_NS5tupleIblNS6_9null_typeES8_S8_S8_S8_S8_S8_S8_EEEEZNS1_11reduce_implILb1ES3_NS6_12zip_iteratorINS7_INS6_11hip_rocprim26transform_input_iterator_tIbNSD_35transform_pair_of_input_iterators_tIbNS6_6detail15normal_iteratorINS6_10device_ptrIKtEEEESL_NS6_8equal_toItEEEENSG_9not_fun_tINSD_8identityEEEEENSD_19counting_iterator_tIlEES8_S8_S8_S8_S8_S8_S8_S8_EEEEPS9_S9_NSD_9__find_if7functorIS9_EEEE10hipError_tPvRmT1_T2_T3_mT4_P12ihipStream_tbEUlT_E1_NS1_11comp_targetILNS1_3genE8ELNS1_11target_archE1030ELNS1_3gpuE2ELNS1_3repE0EEENS1_30default_config_static_selectorELNS0_4arch9wavefront6targetE1EEEvS14_ ; -- Begin function _ZN7rocprim17ROCPRIM_400000_NS6detail17trampoline_kernelINS0_14default_configENS1_22reduce_config_selectorIN6thrust23THRUST_200600_302600_NS5tupleIblNS6_9null_typeES8_S8_S8_S8_S8_S8_S8_EEEEZNS1_11reduce_implILb1ES3_NS6_12zip_iteratorINS7_INS6_11hip_rocprim26transform_input_iterator_tIbNSD_35transform_pair_of_input_iterators_tIbNS6_6detail15normal_iteratorINS6_10device_ptrIKtEEEESL_NS6_8equal_toItEEEENSG_9not_fun_tINSD_8identityEEEEENSD_19counting_iterator_tIlEES8_S8_S8_S8_S8_S8_S8_S8_EEEEPS9_S9_NSD_9__find_if7functorIS9_EEEE10hipError_tPvRmT1_T2_T3_mT4_P12ihipStream_tbEUlT_E1_NS1_11comp_targetILNS1_3genE8ELNS1_11target_archE1030ELNS1_3gpuE2ELNS1_3repE0EEENS1_30default_config_static_selectorELNS0_4arch9wavefront6targetE1EEEvS14_
	.globl	_ZN7rocprim17ROCPRIM_400000_NS6detail17trampoline_kernelINS0_14default_configENS1_22reduce_config_selectorIN6thrust23THRUST_200600_302600_NS5tupleIblNS6_9null_typeES8_S8_S8_S8_S8_S8_S8_EEEEZNS1_11reduce_implILb1ES3_NS6_12zip_iteratorINS7_INS6_11hip_rocprim26transform_input_iterator_tIbNSD_35transform_pair_of_input_iterators_tIbNS6_6detail15normal_iteratorINS6_10device_ptrIKtEEEESL_NS6_8equal_toItEEEENSG_9not_fun_tINSD_8identityEEEEENSD_19counting_iterator_tIlEES8_S8_S8_S8_S8_S8_S8_S8_EEEEPS9_S9_NSD_9__find_if7functorIS9_EEEE10hipError_tPvRmT1_T2_T3_mT4_P12ihipStream_tbEUlT_E1_NS1_11comp_targetILNS1_3genE8ELNS1_11target_archE1030ELNS1_3gpuE2ELNS1_3repE0EEENS1_30default_config_static_selectorELNS0_4arch9wavefront6targetE1EEEvS14_
	.p2align	8
	.type	_ZN7rocprim17ROCPRIM_400000_NS6detail17trampoline_kernelINS0_14default_configENS1_22reduce_config_selectorIN6thrust23THRUST_200600_302600_NS5tupleIblNS6_9null_typeES8_S8_S8_S8_S8_S8_S8_EEEEZNS1_11reduce_implILb1ES3_NS6_12zip_iteratorINS7_INS6_11hip_rocprim26transform_input_iterator_tIbNSD_35transform_pair_of_input_iterators_tIbNS6_6detail15normal_iteratorINS6_10device_ptrIKtEEEESL_NS6_8equal_toItEEEENSG_9not_fun_tINSD_8identityEEEEENSD_19counting_iterator_tIlEES8_S8_S8_S8_S8_S8_S8_S8_EEEEPS9_S9_NSD_9__find_if7functorIS9_EEEE10hipError_tPvRmT1_T2_T3_mT4_P12ihipStream_tbEUlT_E1_NS1_11comp_targetILNS1_3genE8ELNS1_11target_archE1030ELNS1_3gpuE2ELNS1_3repE0EEENS1_30default_config_static_selectorELNS0_4arch9wavefront6targetE1EEEvS14_,@function
_ZN7rocprim17ROCPRIM_400000_NS6detail17trampoline_kernelINS0_14default_configENS1_22reduce_config_selectorIN6thrust23THRUST_200600_302600_NS5tupleIblNS6_9null_typeES8_S8_S8_S8_S8_S8_S8_EEEEZNS1_11reduce_implILb1ES3_NS6_12zip_iteratorINS7_INS6_11hip_rocprim26transform_input_iterator_tIbNSD_35transform_pair_of_input_iterators_tIbNS6_6detail15normal_iteratorINS6_10device_ptrIKtEEEESL_NS6_8equal_toItEEEENSG_9not_fun_tINSD_8identityEEEEENSD_19counting_iterator_tIlEES8_S8_S8_S8_S8_S8_S8_S8_EEEEPS9_S9_NSD_9__find_if7functorIS9_EEEE10hipError_tPvRmT1_T2_T3_mT4_P12ihipStream_tbEUlT_E1_NS1_11comp_targetILNS1_3genE8ELNS1_11target_archE1030ELNS1_3gpuE2ELNS1_3repE0EEENS1_30default_config_static_selectorELNS0_4arch9wavefront6targetE1EEEvS14_: ; @_ZN7rocprim17ROCPRIM_400000_NS6detail17trampoline_kernelINS0_14default_configENS1_22reduce_config_selectorIN6thrust23THRUST_200600_302600_NS5tupleIblNS6_9null_typeES8_S8_S8_S8_S8_S8_S8_EEEEZNS1_11reduce_implILb1ES3_NS6_12zip_iteratorINS7_INS6_11hip_rocprim26transform_input_iterator_tIbNSD_35transform_pair_of_input_iterators_tIbNS6_6detail15normal_iteratorINS6_10device_ptrIKtEEEESL_NS6_8equal_toItEEEENSG_9not_fun_tINSD_8identityEEEEENSD_19counting_iterator_tIlEES8_S8_S8_S8_S8_S8_S8_S8_EEEEPS9_S9_NSD_9__find_if7functorIS9_EEEE10hipError_tPvRmT1_T2_T3_mT4_P12ihipStream_tbEUlT_E1_NS1_11comp_targetILNS1_3genE8ELNS1_11target_archE1030ELNS1_3gpuE2ELNS1_3repE0EEENS1_30default_config_static_selectorELNS0_4arch9wavefront6targetE1EEEvS14_
; %bb.0:
	.section	.rodata,"a",@progbits
	.p2align	6, 0x0
	.amdhsa_kernel _ZN7rocprim17ROCPRIM_400000_NS6detail17trampoline_kernelINS0_14default_configENS1_22reduce_config_selectorIN6thrust23THRUST_200600_302600_NS5tupleIblNS6_9null_typeES8_S8_S8_S8_S8_S8_S8_EEEEZNS1_11reduce_implILb1ES3_NS6_12zip_iteratorINS7_INS6_11hip_rocprim26transform_input_iterator_tIbNSD_35transform_pair_of_input_iterators_tIbNS6_6detail15normal_iteratorINS6_10device_ptrIKtEEEESL_NS6_8equal_toItEEEENSG_9not_fun_tINSD_8identityEEEEENSD_19counting_iterator_tIlEES8_S8_S8_S8_S8_S8_S8_S8_EEEEPS9_S9_NSD_9__find_if7functorIS9_EEEE10hipError_tPvRmT1_T2_T3_mT4_P12ihipStream_tbEUlT_E1_NS1_11comp_targetILNS1_3genE8ELNS1_11target_archE1030ELNS1_3gpuE2ELNS1_3repE0EEENS1_30default_config_static_selectorELNS0_4arch9wavefront6targetE1EEEvS14_
		.amdhsa_group_segment_fixed_size 0
		.amdhsa_private_segment_fixed_size 0
		.amdhsa_kernarg_size 88
		.amdhsa_user_sgpr_count 6
		.amdhsa_user_sgpr_private_segment_buffer 1
		.amdhsa_user_sgpr_dispatch_ptr 0
		.amdhsa_user_sgpr_queue_ptr 0
		.amdhsa_user_sgpr_kernarg_segment_ptr 1
		.amdhsa_user_sgpr_dispatch_id 0
		.amdhsa_user_sgpr_flat_scratch_init 0
		.amdhsa_user_sgpr_kernarg_preload_length 0
		.amdhsa_user_sgpr_kernarg_preload_offset 0
		.amdhsa_user_sgpr_private_segment_size 0
		.amdhsa_uses_dynamic_stack 0
		.amdhsa_system_sgpr_private_segment_wavefront_offset 0
		.amdhsa_system_sgpr_workgroup_id_x 1
		.amdhsa_system_sgpr_workgroup_id_y 0
		.amdhsa_system_sgpr_workgroup_id_z 0
		.amdhsa_system_sgpr_workgroup_info 0
		.amdhsa_system_vgpr_workitem_id 0
		.amdhsa_next_free_vgpr 1
		.amdhsa_next_free_sgpr 0
		.amdhsa_accum_offset 4
		.amdhsa_reserve_vcc 0
		.amdhsa_reserve_flat_scratch 0
		.amdhsa_float_round_mode_32 0
		.amdhsa_float_round_mode_16_64 0
		.amdhsa_float_denorm_mode_32 3
		.amdhsa_float_denorm_mode_16_64 3
		.amdhsa_dx10_clamp 1
		.amdhsa_ieee_mode 1
		.amdhsa_fp16_overflow 0
		.amdhsa_tg_split 0
		.amdhsa_exception_fp_ieee_invalid_op 0
		.amdhsa_exception_fp_denorm_src 0
		.amdhsa_exception_fp_ieee_div_zero 0
		.amdhsa_exception_fp_ieee_overflow 0
		.amdhsa_exception_fp_ieee_underflow 0
		.amdhsa_exception_fp_ieee_inexact 0
		.amdhsa_exception_int_div_zero 0
	.end_amdhsa_kernel
	.section	.text._ZN7rocprim17ROCPRIM_400000_NS6detail17trampoline_kernelINS0_14default_configENS1_22reduce_config_selectorIN6thrust23THRUST_200600_302600_NS5tupleIblNS6_9null_typeES8_S8_S8_S8_S8_S8_S8_EEEEZNS1_11reduce_implILb1ES3_NS6_12zip_iteratorINS7_INS6_11hip_rocprim26transform_input_iterator_tIbNSD_35transform_pair_of_input_iterators_tIbNS6_6detail15normal_iteratorINS6_10device_ptrIKtEEEESL_NS6_8equal_toItEEEENSG_9not_fun_tINSD_8identityEEEEENSD_19counting_iterator_tIlEES8_S8_S8_S8_S8_S8_S8_S8_EEEEPS9_S9_NSD_9__find_if7functorIS9_EEEE10hipError_tPvRmT1_T2_T3_mT4_P12ihipStream_tbEUlT_E1_NS1_11comp_targetILNS1_3genE8ELNS1_11target_archE1030ELNS1_3gpuE2ELNS1_3repE0EEENS1_30default_config_static_selectorELNS0_4arch9wavefront6targetE1EEEvS14_,"axG",@progbits,_ZN7rocprim17ROCPRIM_400000_NS6detail17trampoline_kernelINS0_14default_configENS1_22reduce_config_selectorIN6thrust23THRUST_200600_302600_NS5tupleIblNS6_9null_typeES8_S8_S8_S8_S8_S8_S8_EEEEZNS1_11reduce_implILb1ES3_NS6_12zip_iteratorINS7_INS6_11hip_rocprim26transform_input_iterator_tIbNSD_35transform_pair_of_input_iterators_tIbNS6_6detail15normal_iteratorINS6_10device_ptrIKtEEEESL_NS6_8equal_toItEEEENSG_9not_fun_tINSD_8identityEEEEENSD_19counting_iterator_tIlEES8_S8_S8_S8_S8_S8_S8_S8_EEEEPS9_S9_NSD_9__find_if7functorIS9_EEEE10hipError_tPvRmT1_T2_T3_mT4_P12ihipStream_tbEUlT_E1_NS1_11comp_targetILNS1_3genE8ELNS1_11target_archE1030ELNS1_3gpuE2ELNS1_3repE0EEENS1_30default_config_static_selectorELNS0_4arch9wavefront6targetE1EEEvS14_,comdat
.Lfunc_end205:
	.size	_ZN7rocprim17ROCPRIM_400000_NS6detail17trampoline_kernelINS0_14default_configENS1_22reduce_config_selectorIN6thrust23THRUST_200600_302600_NS5tupleIblNS6_9null_typeES8_S8_S8_S8_S8_S8_S8_EEEEZNS1_11reduce_implILb1ES3_NS6_12zip_iteratorINS7_INS6_11hip_rocprim26transform_input_iterator_tIbNSD_35transform_pair_of_input_iterators_tIbNS6_6detail15normal_iteratorINS6_10device_ptrIKtEEEESL_NS6_8equal_toItEEEENSG_9not_fun_tINSD_8identityEEEEENSD_19counting_iterator_tIlEES8_S8_S8_S8_S8_S8_S8_S8_EEEEPS9_S9_NSD_9__find_if7functorIS9_EEEE10hipError_tPvRmT1_T2_T3_mT4_P12ihipStream_tbEUlT_E1_NS1_11comp_targetILNS1_3genE8ELNS1_11target_archE1030ELNS1_3gpuE2ELNS1_3repE0EEENS1_30default_config_static_selectorELNS0_4arch9wavefront6targetE1EEEvS14_, .Lfunc_end205-_ZN7rocprim17ROCPRIM_400000_NS6detail17trampoline_kernelINS0_14default_configENS1_22reduce_config_selectorIN6thrust23THRUST_200600_302600_NS5tupleIblNS6_9null_typeES8_S8_S8_S8_S8_S8_S8_EEEEZNS1_11reduce_implILb1ES3_NS6_12zip_iteratorINS7_INS6_11hip_rocprim26transform_input_iterator_tIbNSD_35transform_pair_of_input_iterators_tIbNS6_6detail15normal_iteratorINS6_10device_ptrIKtEEEESL_NS6_8equal_toItEEEENSG_9not_fun_tINSD_8identityEEEEENSD_19counting_iterator_tIlEES8_S8_S8_S8_S8_S8_S8_S8_EEEEPS9_S9_NSD_9__find_if7functorIS9_EEEE10hipError_tPvRmT1_T2_T3_mT4_P12ihipStream_tbEUlT_E1_NS1_11comp_targetILNS1_3genE8ELNS1_11target_archE1030ELNS1_3gpuE2ELNS1_3repE0EEENS1_30default_config_static_selectorELNS0_4arch9wavefront6targetE1EEEvS14_
                                        ; -- End function
	.section	.AMDGPU.csdata,"",@progbits
; Kernel info:
; codeLenInByte = 0
; NumSgprs: 4
; NumVgprs: 0
; NumAgprs: 0
; TotalNumVgprs: 0
; ScratchSize: 0
; MemoryBound: 0
; FloatMode: 240
; IeeeMode: 1
; LDSByteSize: 0 bytes/workgroup (compile time only)
; SGPRBlocks: 0
; VGPRBlocks: 0
; NumSGPRsForWavesPerEU: 4
; NumVGPRsForWavesPerEU: 1
; AccumOffset: 4
; Occupancy: 8
; WaveLimiterHint : 0
; COMPUTE_PGM_RSRC2:SCRATCH_EN: 0
; COMPUTE_PGM_RSRC2:USER_SGPR: 6
; COMPUTE_PGM_RSRC2:TRAP_HANDLER: 0
; COMPUTE_PGM_RSRC2:TGID_X_EN: 1
; COMPUTE_PGM_RSRC2:TGID_Y_EN: 0
; COMPUTE_PGM_RSRC2:TGID_Z_EN: 0
; COMPUTE_PGM_RSRC2:TIDIG_COMP_CNT: 0
; COMPUTE_PGM_RSRC3_GFX90A:ACCUM_OFFSET: 0
; COMPUTE_PGM_RSRC3_GFX90A:TG_SPLIT: 0
	.section	.text._ZN6thrust23THRUST_200600_302600_NS11hip_rocprim14__parallel_for6kernelILj256ENS1_20__uninitialized_fill7functorINS0_10device_ptrIxEExEEmLj1EEEvT0_T1_SA_,"axG",@progbits,_ZN6thrust23THRUST_200600_302600_NS11hip_rocprim14__parallel_for6kernelILj256ENS1_20__uninitialized_fill7functorINS0_10device_ptrIxEExEEmLj1EEEvT0_T1_SA_,comdat
	.protected	_ZN6thrust23THRUST_200600_302600_NS11hip_rocprim14__parallel_for6kernelILj256ENS1_20__uninitialized_fill7functorINS0_10device_ptrIxEExEEmLj1EEEvT0_T1_SA_ ; -- Begin function _ZN6thrust23THRUST_200600_302600_NS11hip_rocprim14__parallel_for6kernelILj256ENS1_20__uninitialized_fill7functorINS0_10device_ptrIxEExEEmLj1EEEvT0_T1_SA_
	.globl	_ZN6thrust23THRUST_200600_302600_NS11hip_rocprim14__parallel_for6kernelILj256ENS1_20__uninitialized_fill7functorINS0_10device_ptrIxEExEEmLj1EEEvT0_T1_SA_
	.p2align	8
	.type	_ZN6thrust23THRUST_200600_302600_NS11hip_rocprim14__parallel_for6kernelILj256ENS1_20__uninitialized_fill7functorINS0_10device_ptrIxEExEEmLj1EEEvT0_T1_SA_,@function
_ZN6thrust23THRUST_200600_302600_NS11hip_rocprim14__parallel_for6kernelILj256ENS1_20__uninitialized_fill7functorINS0_10device_ptrIxEExEEmLj1EEEvT0_T1_SA_: ; @_ZN6thrust23THRUST_200600_302600_NS11hip_rocprim14__parallel_for6kernelILj256ENS1_20__uninitialized_fill7functorINS0_10device_ptrIxEExEEmLj1EEEvT0_T1_SA_
; %bb.0:
	s_load_dwordx8 s[8:15], s[4:5], 0x0
	s_lshl_b32 s0, s6, 8
	v_mov_b32_e32 v2, 0x100
	v_mov_b32_e32 v3, 0
	s_waitcnt lgkmcnt(0)
	s_add_u32 s0, s0, s14
	s_addc_u32 s1, 0, s15
	s_sub_u32 s2, s12, s0
	s_subb_u32 s3, s13, s1
	v_cmp_lt_u64_e32 vcc, s[2:3], v[2:3]
	s_cbranch_vccz .LBB206_2
; %bb.1:
	v_cmp_gt_u32_e32 vcc, s2, v0
	s_and_b64 s[2:3], vcc, exec
	s_cbranch_execz .LBB206_3
	s_branch .LBB206_4
.LBB206_2:
	s_mov_b64 s[2:3], 0
.LBB206_3:
	s_or_b64 s[2:3], s[2:3], exec
.LBB206_4:
	s_and_saveexec_b64 s[4:5], s[2:3]
	s_cbranch_execnz .LBB206_6
; %bb.5:
	s_endpgm
.LBB206_6:
	s_lshl_b64 s[0:1], s[0:1], 3
	v_mov_b32_e32 v1, 0
	s_add_u32 s0, s8, s0
	s_addc_u32 s1, s9, s1
	v_lshlrev_b64 v[0:1], 3, v[0:1]
	v_mov_b32_e32 v4, s1
	v_add_co_u32_e32 v0, vcc, s0, v0
	v_mov_b32_e32 v2, s10
	v_mov_b32_e32 v3, s11
	v_addc_co_u32_e32 v1, vcc, v4, v1, vcc
	flat_store_dwordx2 v[0:1], v[2:3]
	s_endpgm
	.section	.rodata,"a",@progbits
	.p2align	6, 0x0
	.amdhsa_kernel _ZN6thrust23THRUST_200600_302600_NS11hip_rocprim14__parallel_for6kernelILj256ENS1_20__uninitialized_fill7functorINS0_10device_ptrIxEExEEmLj1EEEvT0_T1_SA_
		.amdhsa_group_segment_fixed_size 0
		.amdhsa_private_segment_fixed_size 0
		.amdhsa_kernarg_size 32
		.amdhsa_user_sgpr_count 6
		.amdhsa_user_sgpr_private_segment_buffer 1
		.amdhsa_user_sgpr_dispatch_ptr 0
		.amdhsa_user_sgpr_queue_ptr 0
		.amdhsa_user_sgpr_kernarg_segment_ptr 1
		.amdhsa_user_sgpr_dispatch_id 0
		.amdhsa_user_sgpr_flat_scratch_init 0
		.amdhsa_user_sgpr_kernarg_preload_length 0
		.amdhsa_user_sgpr_kernarg_preload_offset 0
		.amdhsa_user_sgpr_private_segment_size 0
		.amdhsa_uses_dynamic_stack 0
		.amdhsa_system_sgpr_private_segment_wavefront_offset 0
		.amdhsa_system_sgpr_workgroup_id_x 1
		.amdhsa_system_sgpr_workgroup_id_y 0
		.amdhsa_system_sgpr_workgroup_id_z 0
		.amdhsa_system_sgpr_workgroup_info 0
		.amdhsa_system_vgpr_workitem_id 0
		.amdhsa_next_free_vgpr 5
		.amdhsa_next_free_sgpr 16
		.amdhsa_accum_offset 8
		.amdhsa_reserve_vcc 1
		.amdhsa_reserve_flat_scratch 0
		.amdhsa_float_round_mode_32 0
		.amdhsa_float_round_mode_16_64 0
		.amdhsa_float_denorm_mode_32 3
		.amdhsa_float_denorm_mode_16_64 3
		.amdhsa_dx10_clamp 1
		.amdhsa_ieee_mode 1
		.amdhsa_fp16_overflow 0
		.amdhsa_tg_split 0
		.amdhsa_exception_fp_ieee_invalid_op 0
		.amdhsa_exception_fp_denorm_src 0
		.amdhsa_exception_fp_ieee_div_zero 0
		.amdhsa_exception_fp_ieee_overflow 0
		.amdhsa_exception_fp_ieee_underflow 0
		.amdhsa_exception_fp_ieee_inexact 0
		.amdhsa_exception_int_div_zero 0
	.end_amdhsa_kernel
	.section	.text._ZN6thrust23THRUST_200600_302600_NS11hip_rocprim14__parallel_for6kernelILj256ENS1_20__uninitialized_fill7functorINS0_10device_ptrIxEExEEmLj1EEEvT0_T1_SA_,"axG",@progbits,_ZN6thrust23THRUST_200600_302600_NS11hip_rocprim14__parallel_for6kernelILj256ENS1_20__uninitialized_fill7functorINS0_10device_ptrIxEExEEmLj1EEEvT0_T1_SA_,comdat
.Lfunc_end206:
	.size	_ZN6thrust23THRUST_200600_302600_NS11hip_rocprim14__parallel_for6kernelILj256ENS1_20__uninitialized_fill7functorINS0_10device_ptrIxEExEEmLj1EEEvT0_T1_SA_, .Lfunc_end206-_ZN6thrust23THRUST_200600_302600_NS11hip_rocprim14__parallel_for6kernelILj256ENS1_20__uninitialized_fill7functorINS0_10device_ptrIxEExEEmLj1EEEvT0_T1_SA_
                                        ; -- End function
	.section	.AMDGPU.csdata,"",@progbits
; Kernel info:
; codeLenInByte = 144
; NumSgprs: 20
; NumVgprs: 5
; NumAgprs: 0
; TotalNumVgprs: 5
; ScratchSize: 0
; MemoryBound: 0
; FloatMode: 240
; IeeeMode: 1
; LDSByteSize: 0 bytes/workgroup (compile time only)
; SGPRBlocks: 2
; VGPRBlocks: 0
; NumSGPRsForWavesPerEU: 20
; NumVGPRsForWavesPerEU: 5
; AccumOffset: 8
; Occupancy: 8
; WaveLimiterHint : 0
; COMPUTE_PGM_RSRC2:SCRATCH_EN: 0
; COMPUTE_PGM_RSRC2:USER_SGPR: 6
; COMPUTE_PGM_RSRC2:TRAP_HANDLER: 0
; COMPUTE_PGM_RSRC2:TGID_X_EN: 1
; COMPUTE_PGM_RSRC2:TGID_Y_EN: 0
; COMPUTE_PGM_RSRC2:TGID_Z_EN: 0
; COMPUTE_PGM_RSRC2:TIDIG_COMP_CNT: 0
; COMPUTE_PGM_RSRC3_GFX90A:ACCUM_OFFSET: 1
; COMPUTE_PGM_RSRC3_GFX90A:TG_SPLIT: 0
	.section	.text._ZN7rocprim17ROCPRIM_400000_NS6detail17trampoline_kernelINS0_14default_configENS1_21merge_config_selectorIxNS0_10empty_typeEEEZNS1_10merge_implIS3_N6thrust23THRUST_200600_302600_NS6detail15normal_iteratorINS9_10device_ptrIKxEEEESF_NSB_INSC_IxEEEEPS5_SI_SI_NS9_4lessIxEEEE10hipError_tPvRmT0_T1_T2_T3_T4_T5_mmT6_P12ihipStream_tbEUlT_E_NS1_11comp_targetILNS1_3genE0ELNS1_11target_archE4294967295ELNS1_3gpuE0ELNS1_3repE0EEENS1_30default_config_static_selectorELNS0_4arch9wavefront6targetE1EEEvSP_,"axG",@progbits,_ZN7rocprim17ROCPRIM_400000_NS6detail17trampoline_kernelINS0_14default_configENS1_21merge_config_selectorIxNS0_10empty_typeEEEZNS1_10merge_implIS3_N6thrust23THRUST_200600_302600_NS6detail15normal_iteratorINS9_10device_ptrIKxEEEESF_NSB_INSC_IxEEEEPS5_SI_SI_NS9_4lessIxEEEE10hipError_tPvRmT0_T1_T2_T3_T4_T5_mmT6_P12ihipStream_tbEUlT_E_NS1_11comp_targetILNS1_3genE0ELNS1_11target_archE4294967295ELNS1_3gpuE0ELNS1_3repE0EEENS1_30default_config_static_selectorELNS0_4arch9wavefront6targetE1EEEvSP_,comdat
	.protected	_ZN7rocprim17ROCPRIM_400000_NS6detail17trampoline_kernelINS0_14default_configENS1_21merge_config_selectorIxNS0_10empty_typeEEEZNS1_10merge_implIS3_N6thrust23THRUST_200600_302600_NS6detail15normal_iteratorINS9_10device_ptrIKxEEEESF_NSB_INSC_IxEEEEPS5_SI_SI_NS9_4lessIxEEEE10hipError_tPvRmT0_T1_T2_T3_T4_T5_mmT6_P12ihipStream_tbEUlT_E_NS1_11comp_targetILNS1_3genE0ELNS1_11target_archE4294967295ELNS1_3gpuE0ELNS1_3repE0EEENS1_30default_config_static_selectorELNS0_4arch9wavefront6targetE1EEEvSP_ ; -- Begin function _ZN7rocprim17ROCPRIM_400000_NS6detail17trampoline_kernelINS0_14default_configENS1_21merge_config_selectorIxNS0_10empty_typeEEEZNS1_10merge_implIS3_N6thrust23THRUST_200600_302600_NS6detail15normal_iteratorINS9_10device_ptrIKxEEEESF_NSB_INSC_IxEEEEPS5_SI_SI_NS9_4lessIxEEEE10hipError_tPvRmT0_T1_T2_T3_T4_T5_mmT6_P12ihipStream_tbEUlT_E_NS1_11comp_targetILNS1_3genE0ELNS1_11target_archE4294967295ELNS1_3gpuE0ELNS1_3repE0EEENS1_30default_config_static_selectorELNS0_4arch9wavefront6targetE1EEEvSP_
	.globl	_ZN7rocprim17ROCPRIM_400000_NS6detail17trampoline_kernelINS0_14default_configENS1_21merge_config_selectorIxNS0_10empty_typeEEEZNS1_10merge_implIS3_N6thrust23THRUST_200600_302600_NS6detail15normal_iteratorINS9_10device_ptrIKxEEEESF_NSB_INSC_IxEEEEPS5_SI_SI_NS9_4lessIxEEEE10hipError_tPvRmT0_T1_T2_T3_T4_T5_mmT6_P12ihipStream_tbEUlT_E_NS1_11comp_targetILNS1_3genE0ELNS1_11target_archE4294967295ELNS1_3gpuE0ELNS1_3repE0EEENS1_30default_config_static_selectorELNS0_4arch9wavefront6targetE1EEEvSP_
	.p2align	8
	.type	_ZN7rocprim17ROCPRIM_400000_NS6detail17trampoline_kernelINS0_14default_configENS1_21merge_config_selectorIxNS0_10empty_typeEEEZNS1_10merge_implIS3_N6thrust23THRUST_200600_302600_NS6detail15normal_iteratorINS9_10device_ptrIKxEEEESF_NSB_INSC_IxEEEEPS5_SI_SI_NS9_4lessIxEEEE10hipError_tPvRmT0_T1_T2_T3_T4_T5_mmT6_P12ihipStream_tbEUlT_E_NS1_11comp_targetILNS1_3genE0ELNS1_11target_archE4294967295ELNS1_3gpuE0ELNS1_3repE0EEENS1_30default_config_static_selectorELNS0_4arch9wavefront6targetE1EEEvSP_,@function
_ZN7rocprim17ROCPRIM_400000_NS6detail17trampoline_kernelINS0_14default_configENS1_21merge_config_selectorIxNS0_10empty_typeEEEZNS1_10merge_implIS3_N6thrust23THRUST_200600_302600_NS6detail15normal_iteratorINS9_10device_ptrIKxEEEESF_NSB_INSC_IxEEEEPS5_SI_SI_NS9_4lessIxEEEE10hipError_tPvRmT0_T1_T2_T3_T4_T5_mmT6_P12ihipStream_tbEUlT_E_NS1_11comp_targetILNS1_3genE0ELNS1_11target_archE4294967295ELNS1_3gpuE0ELNS1_3repE0EEENS1_30default_config_static_selectorELNS0_4arch9wavefront6targetE1EEEvSP_: ; @_ZN7rocprim17ROCPRIM_400000_NS6detail17trampoline_kernelINS0_14default_configENS1_21merge_config_selectorIxNS0_10empty_typeEEEZNS1_10merge_implIS3_N6thrust23THRUST_200600_302600_NS6detail15normal_iteratorINS9_10device_ptrIKxEEEESF_NSB_INSC_IxEEEEPS5_SI_SI_NS9_4lessIxEEEE10hipError_tPvRmT0_T1_T2_T3_T4_T5_mmT6_P12ihipStream_tbEUlT_E_NS1_11comp_targetILNS1_3genE0ELNS1_11target_archE4294967295ELNS1_3gpuE0ELNS1_3repE0EEENS1_30default_config_static_selectorELNS0_4arch9wavefront6targetE1EEEvSP_
; %bb.0:
	.section	.rodata,"a",@progbits
	.p2align	6, 0x0
	.amdhsa_kernel _ZN7rocprim17ROCPRIM_400000_NS6detail17trampoline_kernelINS0_14default_configENS1_21merge_config_selectorIxNS0_10empty_typeEEEZNS1_10merge_implIS3_N6thrust23THRUST_200600_302600_NS6detail15normal_iteratorINS9_10device_ptrIKxEEEESF_NSB_INSC_IxEEEEPS5_SI_SI_NS9_4lessIxEEEE10hipError_tPvRmT0_T1_T2_T3_T4_T5_mmT6_P12ihipStream_tbEUlT_E_NS1_11comp_targetILNS1_3genE0ELNS1_11target_archE4294967295ELNS1_3gpuE0ELNS1_3repE0EEENS1_30default_config_static_selectorELNS0_4arch9wavefront6targetE1EEEvSP_
		.amdhsa_group_segment_fixed_size 0
		.amdhsa_private_segment_fixed_size 0
		.amdhsa_kernarg_size 48
		.amdhsa_user_sgpr_count 6
		.amdhsa_user_sgpr_private_segment_buffer 1
		.amdhsa_user_sgpr_dispatch_ptr 0
		.amdhsa_user_sgpr_queue_ptr 0
		.amdhsa_user_sgpr_kernarg_segment_ptr 1
		.amdhsa_user_sgpr_dispatch_id 0
		.amdhsa_user_sgpr_flat_scratch_init 0
		.amdhsa_user_sgpr_kernarg_preload_length 0
		.amdhsa_user_sgpr_kernarg_preload_offset 0
		.amdhsa_user_sgpr_private_segment_size 0
		.amdhsa_uses_dynamic_stack 0
		.amdhsa_system_sgpr_private_segment_wavefront_offset 0
		.amdhsa_system_sgpr_workgroup_id_x 1
		.amdhsa_system_sgpr_workgroup_id_y 0
		.amdhsa_system_sgpr_workgroup_id_z 0
		.amdhsa_system_sgpr_workgroup_info 0
		.amdhsa_system_vgpr_workitem_id 0
		.amdhsa_next_free_vgpr 1
		.amdhsa_next_free_sgpr 0
		.amdhsa_accum_offset 4
		.amdhsa_reserve_vcc 0
		.amdhsa_reserve_flat_scratch 0
		.amdhsa_float_round_mode_32 0
		.amdhsa_float_round_mode_16_64 0
		.amdhsa_float_denorm_mode_32 3
		.amdhsa_float_denorm_mode_16_64 3
		.amdhsa_dx10_clamp 1
		.amdhsa_ieee_mode 1
		.amdhsa_fp16_overflow 0
		.amdhsa_tg_split 0
		.amdhsa_exception_fp_ieee_invalid_op 0
		.amdhsa_exception_fp_denorm_src 0
		.amdhsa_exception_fp_ieee_div_zero 0
		.amdhsa_exception_fp_ieee_overflow 0
		.amdhsa_exception_fp_ieee_underflow 0
		.amdhsa_exception_fp_ieee_inexact 0
		.amdhsa_exception_int_div_zero 0
	.end_amdhsa_kernel
	.section	.text._ZN7rocprim17ROCPRIM_400000_NS6detail17trampoline_kernelINS0_14default_configENS1_21merge_config_selectorIxNS0_10empty_typeEEEZNS1_10merge_implIS3_N6thrust23THRUST_200600_302600_NS6detail15normal_iteratorINS9_10device_ptrIKxEEEESF_NSB_INSC_IxEEEEPS5_SI_SI_NS9_4lessIxEEEE10hipError_tPvRmT0_T1_T2_T3_T4_T5_mmT6_P12ihipStream_tbEUlT_E_NS1_11comp_targetILNS1_3genE0ELNS1_11target_archE4294967295ELNS1_3gpuE0ELNS1_3repE0EEENS1_30default_config_static_selectorELNS0_4arch9wavefront6targetE1EEEvSP_,"axG",@progbits,_ZN7rocprim17ROCPRIM_400000_NS6detail17trampoline_kernelINS0_14default_configENS1_21merge_config_selectorIxNS0_10empty_typeEEEZNS1_10merge_implIS3_N6thrust23THRUST_200600_302600_NS6detail15normal_iteratorINS9_10device_ptrIKxEEEESF_NSB_INSC_IxEEEEPS5_SI_SI_NS9_4lessIxEEEE10hipError_tPvRmT0_T1_T2_T3_T4_T5_mmT6_P12ihipStream_tbEUlT_E_NS1_11comp_targetILNS1_3genE0ELNS1_11target_archE4294967295ELNS1_3gpuE0ELNS1_3repE0EEENS1_30default_config_static_selectorELNS0_4arch9wavefront6targetE1EEEvSP_,comdat
.Lfunc_end207:
	.size	_ZN7rocprim17ROCPRIM_400000_NS6detail17trampoline_kernelINS0_14default_configENS1_21merge_config_selectorIxNS0_10empty_typeEEEZNS1_10merge_implIS3_N6thrust23THRUST_200600_302600_NS6detail15normal_iteratorINS9_10device_ptrIKxEEEESF_NSB_INSC_IxEEEEPS5_SI_SI_NS9_4lessIxEEEE10hipError_tPvRmT0_T1_T2_T3_T4_T5_mmT6_P12ihipStream_tbEUlT_E_NS1_11comp_targetILNS1_3genE0ELNS1_11target_archE4294967295ELNS1_3gpuE0ELNS1_3repE0EEENS1_30default_config_static_selectorELNS0_4arch9wavefront6targetE1EEEvSP_, .Lfunc_end207-_ZN7rocprim17ROCPRIM_400000_NS6detail17trampoline_kernelINS0_14default_configENS1_21merge_config_selectorIxNS0_10empty_typeEEEZNS1_10merge_implIS3_N6thrust23THRUST_200600_302600_NS6detail15normal_iteratorINS9_10device_ptrIKxEEEESF_NSB_INSC_IxEEEEPS5_SI_SI_NS9_4lessIxEEEE10hipError_tPvRmT0_T1_T2_T3_T4_T5_mmT6_P12ihipStream_tbEUlT_E_NS1_11comp_targetILNS1_3genE0ELNS1_11target_archE4294967295ELNS1_3gpuE0ELNS1_3repE0EEENS1_30default_config_static_selectorELNS0_4arch9wavefront6targetE1EEEvSP_
                                        ; -- End function
	.section	.AMDGPU.csdata,"",@progbits
; Kernel info:
; codeLenInByte = 0
; NumSgprs: 4
; NumVgprs: 0
; NumAgprs: 0
; TotalNumVgprs: 0
; ScratchSize: 0
; MemoryBound: 0
; FloatMode: 240
; IeeeMode: 1
; LDSByteSize: 0 bytes/workgroup (compile time only)
; SGPRBlocks: 0
; VGPRBlocks: 0
; NumSGPRsForWavesPerEU: 4
; NumVGPRsForWavesPerEU: 1
; AccumOffset: 4
; Occupancy: 8
; WaveLimiterHint : 0
; COMPUTE_PGM_RSRC2:SCRATCH_EN: 0
; COMPUTE_PGM_RSRC2:USER_SGPR: 6
; COMPUTE_PGM_RSRC2:TRAP_HANDLER: 0
; COMPUTE_PGM_RSRC2:TGID_X_EN: 1
; COMPUTE_PGM_RSRC2:TGID_Y_EN: 0
; COMPUTE_PGM_RSRC2:TGID_Z_EN: 0
; COMPUTE_PGM_RSRC2:TIDIG_COMP_CNT: 0
; COMPUTE_PGM_RSRC3_GFX90A:ACCUM_OFFSET: 0
; COMPUTE_PGM_RSRC3_GFX90A:TG_SPLIT: 0
	.section	.text._ZN7rocprim17ROCPRIM_400000_NS6detail17trampoline_kernelINS0_14default_configENS1_21merge_config_selectorIxNS0_10empty_typeEEEZNS1_10merge_implIS3_N6thrust23THRUST_200600_302600_NS6detail15normal_iteratorINS9_10device_ptrIKxEEEESF_NSB_INSC_IxEEEEPS5_SI_SI_NS9_4lessIxEEEE10hipError_tPvRmT0_T1_T2_T3_T4_T5_mmT6_P12ihipStream_tbEUlT_E_NS1_11comp_targetILNS1_3genE5ELNS1_11target_archE942ELNS1_3gpuE9ELNS1_3repE0EEENS1_30default_config_static_selectorELNS0_4arch9wavefront6targetE1EEEvSP_,"axG",@progbits,_ZN7rocprim17ROCPRIM_400000_NS6detail17trampoline_kernelINS0_14default_configENS1_21merge_config_selectorIxNS0_10empty_typeEEEZNS1_10merge_implIS3_N6thrust23THRUST_200600_302600_NS6detail15normal_iteratorINS9_10device_ptrIKxEEEESF_NSB_INSC_IxEEEEPS5_SI_SI_NS9_4lessIxEEEE10hipError_tPvRmT0_T1_T2_T3_T4_T5_mmT6_P12ihipStream_tbEUlT_E_NS1_11comp_targetILNS1_3genE5ELNS1_11target_archE942ELNS1_3gpuE9ELNS1_3repE0EEENS1_30default_config_static_selectorELNS0_4arch9wavefront6targetE1EEEvSP_,comdat
	.protected	_ZN7rocprim17ROCPRIM_400000_NS6detail17trampoline_kernelINS0_14default_configENS1_21merge_config_selectorIxNS0_10empty_typeEEEZNS1_10merge_implIS3_N6thrust23THRUST_200600_302600_NS6detail15normal_iteratorINS9_10device_ptrIKxEEEESF_NSB_INSC_IxEEEEPS5_SI_SI_NS9_4lessIxEEEE10hipError_tPvRmT0_T1_T2_T3_T4_T5_mmT6_P12ihipStream_tbEUlT_E_NS1_11comp_targetILNS1_3genE5ELNS1_11target_archE942ELNS1_3gpuE9ELNS1_3repE0EEENS1_30default_config_static_selectorELNS0_4arch9wavefront6targetE1EEEvSP_ ; -- Begin function _ZN7rocprim17ROCPRIM_400000_NS6detail17trampoline_kernelINS0_14default_configENS1_21merge_config_selectorIxNS0_10empty_typeEEEZNS1_10merge_implIS3_N6thrust23THRUST_200600_302600_NS6detail15normal_iteratorINS9_10device_ptrIKxEEEESF_NSB_INSC_IxEEEEPS5_SI_SI_NS9_4lessIxEEEE10hipError_tPvRmT0_T1_T2_T3_T4_T5_mmT6_P12ihipStream_tbEUlT_E_NS1_11comp_targetILNS1_3genE5ELNS1_11target_archE942ELNS1_3gpuE9ELNS1_3repE0EEENS1_30default_config_static_selectorELNS0_4arch9wavefront6targetE1EEEvSP_
	.globl	_ZN7rocprim17ROCPRIM_400000_NS6detail17trampoline_kernelINS0_14default_configENS1_21merge_config_selectorIxNS0_10empty_typeEEEZNS1_10merge_implIS3_N6thrust23THRUST_200600_302600_NS6detail15normal_iteratorINS9_10device_ptrIKxEEEESF_NSB_INSC_IxEEEEPS5_SI_SI_NS9_4lessIxEEEE10hipError_tPvRmT0_T1_T2_T3_T4_T5_mmT6_P12ihipStream_tbEUlT_E_NS1_11comp_targetILNS1_3genE5ELNS1_11target_archE942ELNS1_3gpuE9ELNS1_3repE0EEENS1_30default_config_static_selectorELNS0_4arch9wavefront6targetE1EEEvSP_
	.p2align	8
	.type	_ZN7rocprim17ROCPRIM_400000_NS6detail17trampoline_kernelINS0_14default_configENS1_21merge_config_selectorIxNS0_10empty_typeEEEZNS1_10merge_implIS3_N6thrust23THRUST_200600_302600_NS6detail15normal_iteratorINS9_10device_ptrIKxEEEESF_NSB_INSC_IxEEEEPS5_SI_SI_NS9_4lessIxEEEE10hipError_tPvRmT0_T1_T2_T3_T4_T5_mmT6_P12ihipStream_tbEUlT_E_NS1_11comp_targetILNS1_3genE5ELNS1_11target_archE942ELNS1_3gpuE9ELNS1_3repE0EEENS1_30default_config_static_selectorELNS0_4arch9wavefront6targetE1EEEvSP_,@function
_ZN7rocprim17ROCPRIM_400000_NS6detail17trampoline_kernelINS0_14default_configENS1_21merge_config_selectorIxNS0_10empty_typeEEEZNS1_10merge_implIS3_N6thrust23THRUST_200600_302600_NS6detail15normal_iteratorINS9_10device_ptrIKxEEEESF_NSB_INSC_IxEEEEPS5_SI_SI_NS9_4lessIxEEEE10hipError_tPvRmT0_T1_T2_T3_T4_T5_mmT6_P12ihipStream_tbEUlT_E_NS1_11comp_targetILNS1_3genE5ELNS1_11target_archE942ELNS1_3gpuE9ELNS1_3repE0EEENS1_30default_config_static_selectorELNS0_4arch9wavefront6targetE1EEEvSP_: ; @_ZN7rocprim17ROCPRIM_400000_NS6detail17trampoline_kernelINS0_14default_configENS1_21merge_config_selectorIxNS0_10empty_typeEEEZNS1_10merge_implIS3_N6thrust23THRUST_200600_302600_NS6detail15normal_iteratorINS9_10device_ptrIKxEEEESF_NSB_INSC_IxEEEEPS5_SI_SI_NS9_4lessIxEEEE10hipError_tPvRmT0_T1_T2_T3_T4_T5_mmT6_P12ihipStream_tbEUlT_E_NS1_11comp_targetILNS1_3genE5ELNS1_11target_archE942ELNS1_3gpuE9ELNS1_3repE0EEENS1_30default_config_static_selectorELNS0_4arch9wavefront6targetE1EEEvSP_
; %bb.0:
	.section	.rodata,"a",@progbits
	.p2align	6, 0x0
	.amdhsa_kernel _ZN7rocprim17ROCPRIM_400000_NS6detail17trampoline_kernelINS0_14default_configENS1_21merge_config_selectorIxNS0_10empty_typeEEEZNS1_10merge_implIS3_N6thrust23THRUST_200600_302600_NS6detail15normal_iteratorINS9_10device_ptrIKxEEEESF_NSB_INSC_IxEEEEPS5_SI_SI_NS9_4lessIxEEEE10hipError_tPvRmT0_T1_T2_T3_T4_T5_mmT6_P12ihipStream_tbEUlT_E_NS1_11comp_targetILNS1_3genE5ELNS1_11target_archE942ELNS1_3gpuE9ELNS1_3repE0EEENS1_30default_config_static_selectorELNS0_4arch9wavefront6targetE1EEEvSP_
		.amdhsa_group_segment_fixed_size 0
		.amdhsa_private_segment_fixed_size 0
		.amdhsa_kernarg_size 48
		.amdhsa_user_sgpr_count 6
		.amdhsa_user_sgpr_private_segment_buffer 1
		.amdhsa_user_sgpr_dispatch_ptr 0
		.amdhsa_user_sgpr_queue_ptr 0
		.amdhsa_user_sgpr_kernarg_segment_ptr 1
		.amdhsa_user_sgpr_dispatch_id 0
		.amdhsa_user_sgpr_flat_scratch_init 0
		.amdhsa_user_sgpr_kernarg_preload_length 0
		.amdhsa_user_sgpr_kernarg_preload_offset 0
		.amdhsa_user_sgpr_private_segment_size 0
		.amdhsa_uses_dynamic_stack 0
		.amdhsa_system_sgpr_private_segment_wavefront_offset 0
		.amdhsa_system_sgpr_workgroup_id_x 1
		.amdhsa_system_sgpr_workgroup_id_y 0
		.amdhsa_system_sgpr_workgroup_id_z 0
		.amdhsa_system_sgpr_workgroup_info 0
		.amdhsa_system_vgpr_workitem_id 0
		.amdhsa_next_free_vgpr 1
		.amdhsa_next_free_sgpr 0
		.amdhsa_accum_offset 4
		.amdhsa_reserve_vcc 0
		.amdhsa_reserve_flat_scratch 0
		.amdhsa_float_round_mode_32 0
		.amdhsa_float_round_mode_16_64 0
		.amdhsa_float_denorm_mode_32 3
		.amdhsa_float_denorm_mode_16_64 3
		.amdhsa_dx10_clamp 1
		.amdhsa_ieee_mode 1
		.amdhsa_fp16_overflow 0
		.amdhsa_tg_split 0
		.amdhsa_exception_fp_ieee_invalid_op 0
		.amdhsa_exception_fp_denorm_src 0
		.amdhsa_exception_fp_ieee_div_zero 0
		.amdhsa_exception_fp_ieee_overflow 0
		.amdhsa_exception_fp_ieee_underflow 0
		.amdhsa_exception_fp_ieee_inexact 0
		.amdhsa_exception_int_div_zero 0
	.end_amdhsa_kernel
	.section	.text._ZN7rocprim17ROCPRIM_400000_NS6detail17trampoline_kernelINS0_14default_configENS1_21merge_config_selectorIxNS0_10empty_typeEEEZNS1_10merge_implIS3_N6thrust23THRUST_200600_302600_NS6detail15normal_iteratorINS9_10device_ptrIKxEEEESF_NSB_INSC_IxEEEEPS5_SI_SI_NS9_4lessIxEEEE10hipError_tPvRmT0_T1_T2_T3_T4_T5_mmT6_P12ihipStream_tbEUlT_E_NS1_11comp_targetILNS1_3genE5ELNS1_11target_archE942ELNS1_3gpuE9ELNS1_3repE0EEENS1_30default_config_static_selectorELNS0_4arch9wavefront6targetE1EEEvSP_,"axG",@progbits,_ZN7rocprim17ROCPRIM_400000_NS6detail17trampoline_kernelINS0_14default_configENS1_21merge_config_selectorIxNS0_10empty_typeEEEZNS1_10merge_implIS3_N6thrust23THRUST_200600_302600_NS6detail15normal_iteratorINS9_10device_ptrIKxEEEESF_NSB_INSC_IxEEEEPS5_SI_SI_NS9_4lessIxEEEE10hipError_tPvRmT0_T1_T2_T3_T4_T5_mmT6_P12ihipStream_tbEUlT_E_NS1_11comp_targetILNS1_3genE5ELNS1_11target_archE942ELNS1_3gpuE9ELNS1_3repE0EEENS1_30default_config_static_selectorELNS0_4arch9wavefront6targetE1EEEvSP_,comdat
.Lfunc_end208:
	.size	_ZN7rocprim17ROCPRIM_400000_NS6detail17trampoline_kernelINS0_14default_configENS1_21merge_config_selectorIxNS0_10empty_typeEEEZNS1_10merge_implIS3_N6thrust23THRUST_200600_302600_NS6detail15normal_iteratorINS9_10device_ptrIKxEEEESF_NSB_INSC_IxEEEEPS5_SI_SI_NS9_4lessIxEEEE10hipError_tPvRmT0_T1_T2_T3_T4_T5_mmT6_P12ihipStream_tbEUlT_E_NS1_11comp_targetILNS1_3genE5ELNS1_11target_archE942ELNS1_3gpuE9ELNS1_3repE0EEENS1_30default_config_static_selectorELNS0_4arch9wavefront6targetE1EEEvSP_, .Lfunc_end208-_ZN7rocprim17ROCPRIM_400000_NS6detail17trampoline_kernelINS0_14default_configENS1_21merge_config_selectorIxNS0_10empty_typeEEEZNS1_10merge_implIS3_N6thrust23THRUST_200600_302600_NS6detail15normal_iteratorINS9_10device_ptrIKxEEEESF_NSB_INSC_IxEEEEPS5_SI_SI_NS9_4lessIxEEEE10hipError_tPvRmT0_T1_T2_T3_T4_T5_mmT6_P12ihipStream_tbEUlT_E_NS1_11comp_targetILNS1_3genE5ELNS1_11target_archE942ELNS1_3gpuE9ELNS1_3repE0EEENS1_30default_config_static_selectorELNS0_4arch9wavefront6targetE1EEEvSP_
                                        ; -- End function
	.section	.AMDGPU.csdata,"",@progbits
; Kernel info:
; codeLenInByte = 0
; NumSgprs: 4
; NumVgprs: 0
; NumAgprs: 0
; TotalNumVgprs: 0
; ScratchSize: 0
; MemoryBound: 0
; FloatMode: 240
; IeeeMode: 1
; LDSByteSize: 0 bytes/workgroup (compile time only)
; SGPRBlocks: 0
; VGPRBlocks: 0
; NumSGPRsForWavesPerEU: 4
; NumVGPRsForWavesPerEU: 1
; AccumOffset: 4
; Occupancy: 8
; WaveLimiterHint : 0
; COMPUTE_PGM_RSRC2:SCRATCH_EN: 0
; COMPUTE_PGM_RSRC2:USER_SGPR: 6
; COMPUTE_PGM_RSRC2:TRAP_HANDLER: 0
; COMPUTE_PGM_RSRC2:TGID_X_EN: 1
; COMPUTE_PGM_RSRC2:TGID_Y_EN: 0
; COMPUTE_PGM_RSRC2:TGID_Z_EN: 0
; COMPUTE_PGM_RSRC2:TIDIG_COMP_CNT: 0
; COMPUTE_PGM_RSRC3_GFX90A:ACCUM_OFFSET: 0
; COMPUTE_PGM_RSRC3_GFX90A:TG_SPLIT: 0
	.section	.text._ZN7rocprim17ROCPRIM_400000_NS6detail17trampoline_kernelINS0_14default_configENS1_21merge_config_selectorIxNS0_10empty_typeEEEZNS1_10merge_implIS3_N6thrust23THRUST_200600_302600_NS6detail15normal_iteratorINS9_10device_ptrIKxEEEESF_NSB_INSC_IxEEEEPS5_SI_SI_NS9_4lessIxEEEE10hipError_tPvRmT0_T1_T2_T3_T4_T5_mmT6_P12ihipStream_tbEUlT_E_NS1_11comp_targetILNS1_3genE4ELNS1_11target_archE910ELNS1_3gpuE8ELNS1_3repE0EEENS1_30default_config_static_selectorELNS0_4arch9wavefront6targetE1EEEvSP_,"axG",@progbits,_ZN7rocprim17ROCPRIM_400000_NS6detail17trampoline_kernelINS0_14default_configENS1_21merge_config_selectorIxNS0_10empty_typeEEEZNS1_10merge_implIS3_N6thrust23THRUST_200600_302600_NS6detail15normal_iteratorINS9_10device_ptrIKxEEEESF_NSB_INSC_IxEEEEPS5_SI_SI_NS9_4lessIxEEEE10hipError_tPvRmT0_T1_T2_T3_T4_T5_mmT6_P12ihipStream_tbEUlT_E_NS1_11comp_targetILNS1_3genE4ELNS1_11target_archE910ELNS1_3gpuE8ELNS1_3repE0EEENS1_30default_config_static_selectorELNS0_4arch9wavefront6targetE1EEEvSP_,comdat
	.protected	_ZN7rocprim17ROCPRIM_400000_NS6detail17trampoline_kernelINS0_14default_configENS1_21merge_config_selectorIxNS0_10empty_typeEEEZNS1_10merge_implIS3_N6thrust23THRUST_200600_302600_NS6detail15normal_iteratorINS9_10device_ptrIKxEEEESF_NSB_INSC_IxEEEEPS5_SI_SI_NS9_4lessIxEEEE10hipError_tPvRmT0_T1_T2_T3_T4_T5_mmT6_P12ihipStream_tbEUlT_E_NS1_11comp_targetILNS1_3genE4ELNS1_11target_archE910ELNS1_3gpuE8ELNS1_3repE0EEENS1_30default_config_static_selectorELNS0_4arch9wavefront6targetE1EEEvSP_ ; -- Begin function _ZN7rocprim17ROCPRIM_400000_NS6detail17trampoline_kernelINS0_14default_configENS1_21merge_config_selectorIxNS0_10empty_typeEEEZNS1_10merge_implIS3_N6thrust23THRUST_200600_302600_NS6detail15normal_iteratorINS9_10device_ptrIKxEEEESF_NSB_INSC_IxEEEEPS5_SI_SI_NS9_4lessIxEEEE10hipError_tPvRmT0_T1_T2_T3_T4_T5_mmT6_P12ihipStream_tbEUlT_E_NS1_11comp_targetILNS1_3genE4ELNS1_11target_archE910ELNS1_3gpuE8ELNS1_3repE0EEENS1_30default_config_static_selectorELNS0_4arch9wavefront6targetE1EEEvSP_
	.globl	_ZN7rocprim17ROCPRIM_400000_NS6detail17trampoline_kernelINS0_14default_configENS1_21merge_config_selectorIxNS0_10empty_typeEEEZNS1_10merge_implIS3_N6thrust23THRUST_200600_302600_NS6detail15normal_iteratorINS9_10device_ptrIKxEEEESF_NSB_INSC_IxEEEEPS5_SI_SI_NS9_4lessIxEEEE10hipError_tPvRmT0_T1_T2_T3_T4_T5_mmT6_P12ihipStream_tbEUlT_E_NS1_11comp_targetILNS1_3genE4ELNS1_11target_archE910ELNS1_3gpuE8ELNS1_3repE0EEENS1_30default_config_static_selectorELNS0_4arch9wavefront6targetE1EEEvSP_
	.p2align	8
	.type	_ZN7rocprim17ROCPRIM_400000_NS6detail17trampoline_kernelINS0_14default_configENS1_21merge_config_selectorIxNS0_10empty_typeEEEZNS1_10merge_implIS3_N6thrust23THRUST_200600_302600_NS6detail15normal_iteratorINS9_10device_ptrIKxEEEESF_NSB_INSC_IxEEEEPS5_SI_SI_NS9_4lessIxEEEE10hipError_tPvRmT0_T1_T2_T3_T4_T5_mmT6_P12ihipStream_tbEUlT_E_NS1_11comp_targetILNS1_3genE4ELNS1_11target_archE910ELNS1_3gpuE8ELNS1_3repE0EEENS1_30default_config_static_selectorELNS0_4arch9wavefront6targetE1EEEvSP_,@function
_ZN7rocprim17ROCPRIM_400000_NS6detail17trampoline_kernelINS0_14default_configENS1_21merge_config_selectorIxNS0_10empty_typeEEEZNS1_10merge_implIS3_N6thrust23THRUST_200600_302600_NS6detail15normal_iteratorINS9_10device_ptrIKxEEEESF_NSB_INSC_IxEEEEPS5_SI_SI_NS9_4lessIxEEEE10hipError_tPvRmT0_T1_T2_T3_T4_T5_mmT6_P12ihipStream_tbEUlT_E_NS1_11comp_targetILNS1_3genE4ELNS1_11target_archE910ELNS1_3gpuE8ELNS1_3repE0EEENS1_30default_config_static_selectorELNS0_4arch9wavefront6targetE1EEEvSP_: ; @_ZN7rocprim17ROCPRIM_400000_NS6detail17trampoline_kernelINS0_14default_configENS1_21merge_config_selectorIxNS0_10empty_typeEEEZNS1_10merge_implIS3_N6thrust23THRUST_200600_302600_NS6detail15normal_iteratorINS9_10device_ptrIKxEEEESF_NSB_INSC_IxEEEEPS5_SI_SI_NS9_4lessIxEEEE10hipError_tPvRmT0_T1_T2_T3_T4_T5_mmT6_P12ihipStream_tbEUlT_E_NS1_11comp_targetILNS1_3genE4ELNS1_11target_archE910ELNS1_3gpuE8ELNS1_3repE0EEENS1_30default_config_static_selectorELNS0_4arch9wavefront6targetE1EEEvSP_
; %bb.0:
	s_load_dword s7, s[4:5], 0x28
	s_load_dword s0, s[4:5], 0x3c
	s_load_dwordx4 s[8:11], s[4:5], 0x18
	s_waitcnt lgkmcnt(0)
	v_cvt_f32_u32_e32 v1, s7
	s_and_b32 s0, s0, 0xffff
	s_add_u32 s12, s10, s8
	s_addc_u32 s13, s11, s9
	v_rcp_iflag_f32_e32 v1, v1
	s_sub_i32 s1, 0, s7
	s_mul_i32 s6, s6, s0
	s_add_i32 s0, s7, s12
	v_mul_f32_e32 v1, 0x4f7ffffe, v1
	v_cvt_u32_f32_e32 v1, v1
	s_add_i32 s0, s0, -1
	v_add_u32_e32 v0, s6, v0
	v_readfirstlane_b32 s2, v1
	s_mul_i32 s1, s1, s2
	s_mul_hi_u32 s1, s2, s1
	s_add_i32 s2, s2, s1
	s_mul_hi_u32 s1, s0, s2
	s_mul_i32 s2, s1, s7
	s_sub_i32 s0, s0, s2
	s_add_i32 s3, s1, 1
	s_sub_i32 s2, s0, s7
	s_cmp_ge_u32 s0, s7
	s_cselect_b32 s1, s3, s1
	s_cselect_b32 s0, s2, s0
	s_add_i32 s2, s1, 1
	s_cmp_ge_u32 s0, s7
	s_cselect_b32 s0, s2, s1
	v_cmp_ge_u32_e32 vcc, s0, v0
	s_and_saveexec_b64 s[0:1], vcc
	s_cbranch_execz .LBB209_6
; %bb.1:
	v_mul_lo_u32 v2, v0, s7
	v_mov_b32_e32 v3, 0
	v_mov_b32_e32 v1, s13
	v_cmp_gt_u64_e32 vcc, s[12:13], v[2:3]
	v_cndmask_b32_e64 v7, v1, 0, vcc
	v_mov_b32_e32 v1, s12
	v_cndmask_b32_e32 v6, v1, v2, vcc
	v_mov_b32_e32 v1, s11
	v_subrev_co_u32_e32 v2, vcc, s10, v6
	v_subb_co_u32_e32 v3, vcc, v7, v1, vcc
	s_load_dwordx4 s[0:3], s[4:5], 0x0
	v_cmp_gt_u64_e32 vcc, v[2:3], v[6:7]
	v_cndmask_b32_e64 v3, v3, 0, vcc
	v_cndmask_b32_e64 v2, v2, 0, vcc
	v_mov_b32_e32 v1, s9
	v_cmp_gt_u64_e32 vcc, s[8:9], v[6:7]
	v_cndmask_b32_e32 v5, v1, v7, vcc
	v_mov_b32_e32 v1, s8
	v_cndmask_b32_e32 v4, v1, v6, vcc
	v_cmp_lt_u64_e32 vcc, v[2:3], v[4:5]
	s_and_saveexec_b64 s[6:7], vcc
	s_cbranch_execz .LBB209_5
; %bb.2:
	s_load_dwordx2 s[4:5], s[4:5], 0x10
	v_lshlrev_b64 v[6:7], 3, v[6:7]
	s_waitcnt lgkmcnt(0)
	v_mov_b32_e32 v8, s5
	v_add_co_u32_e32 v1, vcc, s4, v6
	v_addc_co_u32_e32 v6, vcc, v8, v7, vcc
	s_mov_b64 s[4:5], 0
	v_mov_b32_e32 v7, s3
.LBB209_3:                              ; =>This Inner Loop Header: Depth=1
	v_add_co_u32_e32 v8, vcc, v4, v2
	v_addc_co_u32_e32 v9, vcc, v5, v3, vcc
	v_lshrrev_b64 v[8:9], 1, v[8:9]
	v_lshlrev_b64 v[12:13], 3, v[8:9]
	v_not_b32_e32 v11, v9
	v_not_b32_e32 v10, v8
	v_add_co_u32_e32 v12, vcc, s2, v12
	v_addc_co_u32_e32 v13, vcc, v7, v13, vcc
	v_lshlrev_b64 v[10:11], 3, v[10:11]
	v_add_co_u32_e32 v10, vcc, v1, v10
	v_addc_co_u32_e32 v11, vcc, v6, v11, vcc
	global_load_dwordx2 v[12:13], v[12:13], off
	v_add_co_u32_e32 v14, vcc, 1, v8
	global_load_dwordx2 v[10:11], v[10:11], off
	v_addc_co_u32_e32 v15, vcc, 0, v9, vcc
	s_waitcnt vmcnt(0)
	v_cmp_lt_i64_e32 vcc, v[10:11], v[12:13]
	v_cndmask_b32_e32 v5, v5, v9, vcc
	v_cndmask_b32_e32 v4, v4, v8, vcc
	;; [unrolled: 1-line block ×4, first 2 shown]
	v_cmp_ge_u64_e32 vcc, v[2:3], v[4:5]
	s_or_b64 s[4:5], vcc, s[4:5]
	s_andn2_b64 exec, exec, s[4:5]
	s_cbranch_execnz .LBB209_3
; %bb.4:
	s_or_b64 exec, exec, s[4:5]
.LBB209_5:
	s_or_b64 exec, exec, s[6:7]
	v_mov_b32_e32 v1, 0
	v_lshlrev_b64 v[0:1], 2, v[0:1]
	s_waitcnt lgkmcnt(0)
	v_mov_b32_e32 v3, s1
	v_add_co_u32_e32 v0, vcc, s0, v0
	v_addc_co_u32_e32 v1, vcc, v3, v1, vcc
	global_store_dword v[0:1], v2, off
.LBB209_6:
	s_endpgm
	.section	.rodata,"a",@progbits
	.p2align	6, 0x0
	.amdhsa_kernel _ZN7rocprim17ROCPRIM_400000_NS6detail17trampoline_kernelINS0_14default_configENS1_21merge_config_selectorIxNS0_10empty_typeEEEZNS1_10merge_implIS3_N6thrust23THRUST_200600_302600_NS6detail15normal_iteratorINS9_10device_ptrIKxEEEESF_NSB_INSC_IxEEEEPS5_SI_SI_NS9_4lessIxEEEE10hipError_tPvRmT0_T1_T2_T3_T4_T5_mmT6_P12ihipStream_tbEUlT_E_NS1_11comp_targetILNS1_3genE4ELNS1_11target_archE910ELNS1_3gpuE8ELNS1_3repE0EEENS1_30default_config_static_selectorELNS0_4arch9wavefront6targetE1EEEvSP_
		.amdhsa_group_segment_fixed_size 0
		.amdhsa_private_segment_fixed_size 0
		.amdhsa_kernarg_size 304
		.amdhsa_user_sgpr_count 6
		.amdhsa_user_sgpr_private_segment_buffer 1
		.amdhsa_user_sgpr_dispatch_ptr 0
		.amdhsa_user_sgpr_queue_ptr 0
		.amdhsa_user_sgpr_kernarg_segment_ptr 1
		.amdhsa_user_sgpr_dispatch_id 0
		.amdhsa_user_sgpr_flat_scratch_init 0
		.amdhsa_user_sgpr_kernarg_preload_length 0
		.amdhsa_user_sgpr_kernarg_preload_offset 0
		.amdhsa_user_sgpr_private_segment_size 0
		.amdhsa_uses_dynamic_stack 0
		.amdhsa_system_sgpr_private_segment_wavefront_offset 0
		.amdhsa_system_sgpr_workgroup_id_x 1
		.amdhsa_system_sgpr_workgroup_id_y 0
		.amdhsa_system_sgpr_workgroup_id_z 0
		.amdhsa_system_sgpr_workgroup_info 0
		.amdhsa_system_vgpr_workitem_id 0
		.amdhsa_next_free_vgpr 16
		.amdhsa_next_free_sgpr 14
		.amdhsa_accum_offset 16
		.amdhsa_reserve_vcc 1
		.amdhsa_reserve_flat_scratch 0
		.amdhsa_float_round_mode_32 0
		.amdhsa_float_round_mode_16_64 0
		.amdhsa_float_denorm_mode_32 3
		.amdhsa_float_denorm_mode_16_64 3
		.amdhsa_dx10_clamp 1
		.amdhsa_ieee_mode 1
		.amdhsa_fp16_overflow 0
		.amdhsa_tg_split 0
		.amdhsa_exception_fp_ieee_invalid_op 0
		.amdhsa_exception_fp_denorm_src 0
		.amdhsa_exception_fp_ieee_div_zero 0
		.amdhsa_exception_fp_ieee_overflow 0
		.amdhsa_exception_fp_ieee_underflow 0
		.amdhsa_exception_fp_ieee_inexact 0
		.amdhsa_exception_int_div_zero 0
	.end_amdhsa_kernel
	.section	.text._ZN7rocprim17ROCPRIM_400000_NS6detail17trampoline_kernelINS0_14default_configENS1_21merge_config_selectorIxNS0_10empty_typeEEEZNS1_10merge_implIS3_N6thrust23THRUST_200600_302600_NS6detail15normal_iteratorINS9_10device_ptrIKxEEEESF_NSB_INSC_IxEEEEPS5_SI_SI_NS9_4lessIxEEEE10hipError_tPvRmT0_T1_T2_T3_T4_T5_mmT6_P12ihipStream_tbEUlT_E_NS1_11comp_targetILNS1_3genE4ELNS1_11target_archE910ELNS1_3gpuE8ELNS1_3repE0EEENS1_30default_config_static_selectorELNS0_4arch9wavefront6targetE1EEEvSP_,"axG",@progbits,_ZN7rocprim17ROCPRIM_400000_NS6detail17trampoline_kernelINS0_14default_configENS1_21merge_config_selectorIxNS0_10empty_typeEEEZNS1_10merge_implIS3_N6thrust23THRUST_200600_302600_NS6detail15normal_iteratorINS9_10device_ptrIKxEEEESF_NSB_INSC_IxEEEEPS5_SI_SI_NS9_4lessIxEEEE10hipError_tPvRmT0_T1_T2_T3_T4_T5_mmT6_P12ihipStream_tbEUlT_E_NS1_11comp_targetILNS1_3genE4ELNS1_11target_archE910ELNS1_3gpuE8ELNS1_3repE0EEENS1_30default_config_static_selectorELNS0_4arch9wavefront6targetE1EEEvSP_,comdat
.Lfunc_end209:
	.size	_ZN7rocprim17ROCPRIM_400000_NS6detail17trampoline_kernelINS0_14default_configENS1_21merge_config_selectorIxNS0_10empty_typeEEEZNS1_10merge_implIS3_N6thrust23THRUST_200600_302600_NS6detail15normal_iteratorINS9_10device_ptrIKxEEEESF_NSB_INSC_IxEEEEPS5_SI_SI_NS9_4lessIxEEEE10hipError_tPvRmT0_T1_T2_T3_T4_T5_mmT6_P12ihipStream_tbEUlT_E_NS1_11comp_targetILNS1_3genE4ELNS1_11target_archE910ELNS1_3gpuE8ELNS1_3repE0EEENS1_30default_config_static_selectorELNS0_4arch9wavefront6targetE1EEEvSP_, .Lfunc_end209-_ZN7rocprim17ROCPRIM_400000_NS6detail17trampoline_kernelINS0_14default_configENS1_21merge_config_selectorIxNS0_10empty_typeEEEZNS1_10merge_implIS3_N6thrust23THRUST_200600_302600_NS6detail15normal_iteratorINS9_10device_ptrIKxEEEESF_NSB_INSC_IxEEEEPS5_SI_SI_NS9_4lessIxEEEE10hipError_tPvRmT0_T1_T2_T3_T4_T5_mmT6_P12ihipStream_tbEUlT_E_NS1_11comp_targetILNS1_3genE4ELNS1_11target_archE910ELNS1_3gpuE8ELNS1_3repE0EEENS1_30default_config_static_selectorELNS0_4arch9wavefront6targetE1EEEvSP_
                                        ; -- End function
	.section	.AMDGPU.csdata,"",@progbits
; Kernel info:
; codeLenInByte = 472
; NumSgprs: 18
; NumVgprs: 16
; NumAgprs: 0
; TotalNumVgprs: 16
; ScratchSize: 0
; MemoryBound: 0
; FloatMode: 240
; IeeeMode: 1
; LDSByteSize: 0 bytes/workgroup (compile time only)
; SGPRBlocks: 2
; VGPRBlocks: 1
; NumSGPRsForWavesPerEU: 18
; NumVGPRsForWavesPerEU: 16
; AccumOffset: 16
; Occupancy: 8
; WaveLimiterHint : 0
; COMPUTE_PGM_RSRC2:SCRATCH_EN: 0
; COMPUTE_PGM_RSRC2:USER_SGPR: 6
; COMPUTE_PGM_RSRC2:TRAP_HANDLER: 0
; COMPUTE_PGM_RSRC2:TGID_X_EN: 1
; COMPUTE_PGM_RSRC2:TGID_Y_EN: 0
; COMPUTE_PGM_RSRC2:TGID_Z_EN: 0
; COMPUTE_PGM_RSRC2:TIDIG_COMP_CNT: 0
; COMPUTE_PGM_RSRC3_GFX90A:ACCUM_OFFSET: 3
; COMPUTE_PGM_RSRC3_GFX90A:TG_SPLIT: 0
	.section	.text._ZN7rocprim17ROCPRIM_400000_NS6detail17trampoline_kernelINS0_14default_configENS1_21merge_config_selectorIxNS0_10empty_typeEEEZNS1_10merge_implIS3_N6thrust23THRUST_200600_302600_NS6detail15normal_iteratorINS9_10device_ptrIKxEEEESF_NSB_INSC_IxEEEEPS5_SI_SI_NS9_4lessIxEEEE10hipError_tPvRmT0_T1_T2_T3_T4_T5_mmT6_P12ihipStream_tbEUlT_E_NS1_11comp_targetILNS1_3genE3ELNS1_11target_archE908ELNS1_3gpuE7ELNS1_3repE0EEENS1_30default_config_static_selectorELNS0_4arch9wavefront6targetE1EEEvSP_,"axG",@progbits,_ZN7rocprim17ROCPRIM_400000_NS6detail17trampoline_kernelINS0_14default_configENS1_21merge_config_selectorIxNS0_10empty_typeEEEZNS1_10merge_implIS3_N6thrust23THRUST_200600_302600_NS6detail15normal_iteratorINS9_10device_ptrIKxEEEESF_NSB_INSC_IxEEEEPS5_SI_SI_NS9_4lessIxEEEE10hipError_tPvRmT0_T1_T2_T3_T4_T5_mmT6_P12ihipStream_tbEUlT_E_NS1_11comp_targetILNS1_3genE3ELNS1_11target_archE908ELNS1_3gpuE7ELNS1_3repE0EEENS1_30default_config_static_selectorELNS0_4arch9wavefront6targetE1EEEvSP_,comdat
	.protected	_ZN7rocprim17ROCPRIM_400000_NS6detail17trampoline_kernelINS0_14default_configENS1_21merge_config_selectorIxNS0_10empty_typeEEEZNS1_10merge_implIS3_N6thrust23THRUST_200600_302600_NS6detail15normal_iteratorINS9_10device_ptrIKxEEEESF_NSB_INSC_IxEEEEPS5_SI_SI_NS9_4lessIxEEEE10hipError_tPvRmT0_T1_T2_T3_T4_T5_mmT6_P12ihipStream_tbEUlT_E_NS1_11comp_targetILNS1_3genE3ELNS1_11target_archE908ELNS1_3gpuE7ELNS1_3repE0EEENS1_30default_config_static_selectorELNS0_4arch9wavefront6targetE1EEEvSP_ ; -- Begin function _ZN7rocprim17ROCPRIM_400000_NS6detail17trampoline_kernelINS0_14default_configENS1_21merge_config_selectorIxNS0_10empty_typeEEEZNS1_10merge_implIS3_N6thrust23THRUST_200600_302600_NS6detail15normal_iteratorINS9_10device_ptrIKxEEEESF_NSB_INSC_IxEEEEPS5_SI_SI_NS9_4lessIxEEEE10hipError_tPvRmT0_T1_T2_T3_T4_T5_mmT6_P12ihipStream_tbEUlT_E_NS1_11comp_targetILNS1_3genE3ELNS1_11target_archE908ELNS1_3gpuE7ELNS1_3repE0EEENS1_30default_config_static_selectorELNS0_4arch9wavefront6targetE1EEEvSP_
	.globl	_ZN7rocprim17ROCPRIM_400000_NS6detail17trampoline_kernelINS0_14default_configENS1_21merge_config_selectorIxNS0_10empty_typeEEEZNS1_10merge_implIS3_N6thrust23THRUST_200600_302600_NS6detail15normal_iteratorINS9_10device_ptrIKxEEEESF_NSB_INSC_IxEEEEPS5_SI_SI_NS9_4lessIxEEEE10hipError_tPvRmT0_T1_T2_T3_T4_T5_mmT6_P12ihipStream_tbEUlT_E_NS1_11comp_targetILNS1_3genE3ELNS1_11target_archE908ELNS1_3gpuE7ELNS1_3repE0EEENS1_30default_config_static_selectorELNS0_4arch9wavefront6targetE1EEEvSP_
	.p2align	8
	.type	_ZN7rocprim17ROCPRIM_400000_NS6detail17trampoline_kernelINS0_14default_configENS1_21merge_config_selectorIxNS0_10empty_typeEEEZNS1_10merge_implIS3_N6thrust23THRUST_200600_302600_NS6detail15normal_iteratorINS9_10device_ptrIKxEEEESF_NSB_INSC_IxEEEEPS5_SI_SI_NS9_4lessIxEEEE10hipError_tPvRmT0_T1_T2_T3_T4_T5_mmT6_P12ihipStream_tbEUlT_E_NS1_11comp_targetILNS1_3genE3ELNS1_11target_archE908ELNS1_3gpuE7ELNS1_3repE0EEENS1_30default_config_static_selectorELNS0_4arch9wavefront6targetE1EEEvSP_,@function
_ZN7rocprim17ROCPRIM_400000_NS6detail17trampoline_kernelINS0_14default_configENS1_21merge_config_selectorIxNS0_10empty_typeEEEZNS1_10merge_implIS3_N6thrust23THRUST_200600_302600_NS6detail15normal_iteratorINS9_10device_ptrIKxEEEESF_NSB_INSC_IxEEEEPS5_SI_SI_NS9_4lessIxEEEE10hipError_tPvRmT0_T1_T2_T3_T4_T5_mmT6_P12ihipStream_tbEUlT_E_NS1_11comp_targetILNS1_3genE3ELNS1_11target_archE908ELNS1_3gpuE7ELNS1_3repE0EEENS1_30default_config_static_selectorELNS0_4arch9wavefront6targetE1EEEvSP_: ; @_ZN7rocprim17ROCPRIM_400000_NS6detail17trampoline_kernelINS0_14default_configENS1_21merge_config_selectorIxNS0_10empty_typeEEEZNS1_10merge_implIS3_N6thrust23THRUST_200600_302600_NS6detail15normal_iteratorINS9_10device_ptrIKxEEEESF_NSB_INSC_IxEEEEPS5_SI_SI_NS9_4lessIxEEEE10hipError_tPvRmT0_T1_T2_T3_T4_T5_mmT6_P12ihipStream_tbEUlT_E_NS1_11comp_targetILNS1_3genE3ELNS1_11target_archE908ELNS1_3gpuE7ELNS1_3repE0EEENS1_30default_config_static_selectorELNS0_4arch9wavefront6targetE1EEEvSP_
; %bb.0:
	.section	.rodata,"a",@progbits
	.p2align	6, 0x0
	.amdhsa_kernel _ZN7rocprim17ROCPRIM_400000_NS6detail17trampoline_kernelINS0_14default_configENS1_21merge_config_selectorIxNS0_10empty_typeEEEZNS1_10merge_implIS3_N6thrust23THRUST_200600_302600_NS6detail15normal_iteratorINS9_10device_ptrIKxEEEESF_NSB_INSC_IxEEEEPS5_SI_SI_NS9_4lessIxEEEE10hipError_tPvRmT0_T1_T2_T3_T4_T5_mmT6_P12ihipStream_tbEUlT_E_NS1_11comp_targetILNS1_3genE3ELNS1_11target_archE908ELNS1_3gpuE7ELNS1_3repE0EEENS1_30default_config_static_selectorELNS0_4arch9wavefront6targetE1EEEvSP_
		.amdhsa_group_segment_fixed_size 0
		.amdhsa_private_segment_fixed_size 0
		.amdhsa_kernarg_size 48
		.amdhsa_user_sgpr_count 6
		.amdhsa_user_sgpr_private_segment_buffer 1
		.amdhsa_user_sgpr_dispatch_ptr 0
		.amdhsa_user_sgpr_queue_ptr 0
		.amdhsa_user_sgpr_kernarg_segment_ptr 1
		.amdhsa_user_sgpr_dispatch_id 0
		.amdhsa_user_sgpr_flat_scratch_init 0
		.amdhsa_user_sgpr_kernarg_preload_length 0
		.amdhsa_user_sgpr_kernarg_preload_offset 0
		.amdhsa_user_sgpr_private_segment_size 0
		.amdhsa_uses_dynamic_stack 0
		.amdhsa_system_sgpr_private_segment_wavefront_offset 0
		.amdhsa_system_sgpr_workgroup_id_x 1
		.amdhsa_system_sgpr_workgroup_id_y 0
		.amdhsa_system_sgpr_workgroup_id_z 0
		.amdhsa_system_sgpr_workgroup_info 0
		.amdhsa_system_vgpr_workitem_id 0
		.amdhsa_next_free_vgpr 1
		.amdhsa_next_free_sgpr 0
		.amdhsa_accum_offset 4
		.amdhsa_reserve_vcc 0
		.amdhsa_reserve_flat_scratch 0
		.amdhsa_float_round_mode_32 0
		.amdhsa_float_round_mode_16_64 0
		.amdhsa_float_denorm_mode_32 3
		.amdhsa_float_denorm_mode_16_64 3
		.amdhsa_dx10_clamp 1
		.amdhsa_ieee_mode 1
		.amdhsa_fp16_overflow 0
		.amdhsa_tg_split 0
		.amdhsa_exception_fp_ieee_invalid_op 0
		.amdhsa_exception_fp_denorm_src 0
		.amdhsa_exception_fp_ieee_div_zero 0
		.amdhsa_exception_fp_ieee_overflow 0
		.amdhsa_exception_fp_ieee_underflow 0
		.amdhsa_exception_fp_ieee_inexact 0
		.amdhsa_exception_int_div_zero 0
	.end_amdhsa_kernel
	.section	.text._ZN7rocprim17ROCPRIM_400000_NS6detail17trampoline_kernelINS0_14default_configENS1_21merge_config_selectorIxNS0_10empty_typeEEEZNS1_10merge_implIS3_N6thrust23THRUST_200600_302600_NS6detail15normal_iteratorINS9_10device_ptrIKxEEEESF_NSB_INSC_IxEEEEPS5_SI_SI_NS9_4lessIxEEEE10hipError_tPvRmT0_T1_T2_T3_T4_T5_mmT6_P12ihipStream_tbEUlT_E_NS1_11comp_targetILNS1_3genE3ELNS1_11target_archE908ELNS1_3gpuE7ELNS1_3repE0EEENS1_30default_config_static_selectorELNS0_4arch9wavefront6targetE1EEEvSP_,"axG",@progbits,_ZN7rocprim17ROCPRIM_400000_NS6detail17trampoline_kernelINS0_14default_configENS1_21merge_config_selectorIxNS0_10empty_typeEEEZNS1_10merge_implIS3_N6thrust23THRUST_200600_302600_NS6detail15normal_iteratorINS9_10device_ptrIKxEEEESF_NSB_INSC_IxEEEEPS5_SI_SI_NS9_4lessIxEEEE10hipError_tPvRmT0_T1_T2_T3_T4_T5_mmT6_P12ihipStream_tbEUlT_E_NS1_11comp_targetILNS1_3genE3ELNS1_11target_archE908ELNS1_3gpuE7ELNS1_3repE0EEENS1_30default_config_static_selectorELNS0_4arch9wavefront6targetE1EEEvSP_,comdat
.Lfunc_end210:
	.size	_ZN7rocprim17ROCPRIM_400000_NS6detail17trampoline_kernelINS0_14default_configENS1_21merge_config_selectorIxNS0_10empty_typeEEEZNS1_10merge_implIS3_N6thrust23THRUST_200600_302600_NS6detail15normal_iteratorINS9_10device_ptrIKxEEEESF_NSB_INSC_IxEEEEPS5_SI_SI_NS9_4lessIxEEEE10hipError_tPvRmT0_T1_T2_T3_T4_T5_mmT6_P12ihipStream_tbEUlT_E_NS1_11comp_targetILNS1_3genE3ELNS1_11target_archE908ELNS1_3gpuE7ELNS1_3repE0EEENS1_30default_config_static_selectorELNS0_4arch9wavefront6targetE1EEEvSP_, .Lfunc_end210-_ZN7rocprim17ROCPRIM_400000_NS6detail17trampoline_kernelINS0_14default_configENS1_21merge_config_selectorIxNS0_10empty_typeEEEZNS1_10merge_implIS3_N6thrust23THRUST_200600_302600_NS6detail15normal_iteratorINS9_10device_ptrIKxEEEESF_NSB_INSC_IxEEEEPS5_SI_SI_NS9_4lessIxEEEE10hipError_tPvRmT0_T1_T2_T3_T4_T5_mmT6_P12ihipStream_tbEUlT_E_NS1_11comp_targetILNS1_3genE3ELNS1_11target_archE908ELNS1_3gpuE7ELNS1_3repE0EEENS1_30default_config_static_selectorELNS0_4arch9wavefront6targetE1EEEvSP_
                                        ; -- End function
	.section	.AMDGPU.csdata,"",@progbits
; Kernel info:
; codeLenInByte = 0
; NumSgprs: 4
; NumVgprs: 0
; NumAgprs: 0
; TotalNumVgprs: 0
; ScratchSize: 0
; MemoryBound: 0
; FloatMode: 240
; IeeeMode: 1
; LDSByteSize: 0 bytes/workgroup (compile time only)
; SGPRBlocks: 0
; VGPRBlocks: 0
; NumSGPRsForWavesPerEU: 4
; NumVGPRsForWavesPerEU: 1
; AccumOffset: 4
; Occupancy: 8
; WaveLimiterHint : 0
; COMPUTE_PGM_RSRC2:SCRATCH_EN: 0
; COMPUTE_PGM_RSRC2:USER_SGPR: 6
; COMPUTE_PGM_RSRC2:TRAP_HANDLER: 0
; COMPUTE_PGM_RSRC2:TGID_X_EN: 1
; COMPUTE_PGM_RSRC2:TGID_Y_EN: 0
; COMPUTE_PGM_RSRC2:TGID_Z_EN: 0
; COMPUTE_PGM_RSRC2:TIDIG_COMP_CNT: 0
; COMPUTE_PGM_RSRC3_GFX90A:ACCUM_OFFSET: 0
; COMPUTE_PGM_RSRC3_GFX90A:TG_SPLIT: 0
	.section	.text._ZN7rocprim17ROCPRIM_400000_NS6detail17trampoline_kernelINS0_14default_configENS1_21merge_config_selectorIxNS0_10empty_typeEEEZNS1_10merge_implIS3_N6thrust23THRUST_200600_302600_NS6detail15normal_iteratorINS9_10device_ptrIKxEEEESF_NSB_INSC_IxEEEEPS5_SI_SI_NS9_4lessIxEEEE10hipError_tPvRmT0_T1_T2_T3_T4_T5_mmT6_P12ihipStream_tbEUlT_E_NS1_11comp_targetILNS1_3genE2ELNS1_11target_archE906ELNS1_3gpuE6ELNS1_3repE0EEENS1_30default_config_static_selectorELNS0_4arch9wavefront6targetE1EEEvSP_,"axG",@progbits,_ZN7rocprim17ROCPRIM_400000_NS6detail17trampoline_kernelINS0_14default_configENS1_21merge_config_selectorIxNS0_10empty_typeEEEZNS1_10merge_implIS3_N6thrust23THRUST_200600_302600_NS6detail15normal_iteratorINS9_10device_ptrIKxEEEESF_NSB_INSC_IxEEEEPS5_SI_SI_NS9_4lessIxEEEE10hipError_tPvRmT0_T1_T2_T3_T4_T5_mmT6_P12ihipStream_tbEUlT_E_NS1_11comp_targetILNS1_3genE2ELNS1_11target_archE906ELNS1_3gpuE6ELNS1_3repE0EEENS1_30default_config_static_selectorELNS0_4arch9wavefront6targetE1EEEvSP_,comdat
	.protected	_ZN7rocprim17ROCPRIM_400000_NS6detail17trampoline_kernelINS0_14default_configENS1_21merge_config_selectorIxNS0_10empty_typeEEEZNS1_10merge_implIS3_N6thrust23THRUST_200600_302600_NS6detail15normal_iteratorINS9_10device_ptrIKxEEEESF_NSB_INSC_IxEEEEPS5_SI_SI_NS9_4lessIxEEEE10hipError_tPvRmT0_T1_T2_T3_T4_T5_mmT6_P12ihipStream_tbEUlT_E_NS1_11comp_targetILNS1_3genE2ELNS1_11target_archE906ELNS1_3gpuE6ELNS1_3repE0EEENS1_30default_config_static_selectorELNS0_4arch9wavefront6targetE1EEEvSP_ ; -- Begin function _ZN7rocprim17ROCPRIM_400000_NS6detail17trampoline_kernelINS0_14default_configENS1_21merge_config_selectorIxNS0_10empty_typeEEEZNS1_10merge_implIS3_N6thrust23THRUST_200600_302600_NS6detail15normal_iteratorINS9_10device_ptrIKxEEEESF_NSB_INSC_IxEEEEPS5_SI_SI_NS9_4lessIxEEEE10hipError_tPvRmT0_T1_T2_T3_T4_T5_mmT6_P12ihipStream_tbEUlT_E_NS1_11comp_targetILNS1_3genE2ELNS1_11target_archE906ELNS1_3gpuE6ELNS1_3repE0EEENS1_30default_config_static_selectorELNS0_4arch9wavefront6targetE1EEEvSP_
	.globl	_ZN7rocprim17ROCPRIM_400000_NS6detail17trampoline_kernelINS0_14default_configENS1_21merge_config_selectorIxNS0_10empty_typeEEEZNS1_10merge_implIS3_N6thrust23THRUST_200600_302600_NS6detail15normal_iteratorINS9_10device_ptrIKxEEEESF_NSB_INSC_IxEEEEPS5_SI_SI_NS9_4lessIxEEEE10hipError_tPvRmT0_T1_T2_T3_T4_T5_mmT6_P12ihipStream_tbEUlT_E_NS1_11comp_targetILNS1_3genE2ELNS1_11target_archE906ELNS1_3gpuE6ELNS1_3repE0EEENS1_30default_config_static_selectorELNS0_4arch9wavefront6targetE1EEEvSP_
	.p2align	8
	.type	_ZN7rocprim17ROCPRIM_400000_NS6detail17trampoline_kernelINS0_14default_configENS1_21merge_config_selectorIxNS0_10empty_typeEEEZNS1_10merge_implIS3_N6thrust23THRUST_200600_302600_NS6detail15normal_iteratorINS9_10device_ptrIKxEEEESF_NSB_INSC_IxEEEEPS5_SI_SI_NS9_4lessIxEEEE10hipError_tPvRmT0_T1_T2_T3_T4_T5_mmT6_P12ihipStream_tbEUlT_E_NS1_11comp_targetILNS1_3genE2ELNS1_11target_archE906ELNS1_3gpuE6ELNS1_3repE0EEENS1_30default_config_static_selectorELNS0_4arch9wavefront6targetE1EEEvSP_,@function
_ZN7rocprim17ROCPRIM_400000_NS6detail17trampoline_kernelINS0_14default_configENS1_21merge_config_selectorIxNS0_10empty_typeEEEZNS1_10merge_implIS3_N6thrust23THRUST_200600_302600_NS6detail15normal_iteratorINS9_10device_ptrIKxEEEESF_NSB_INSC_IxEEEEPS5_SI_SI_NS9_4lessIxEEEE10hipError_tPvRmT0_T1_T2_T3_T4_T5_mmT6_P12ihipStream_tbEUlT_E_NS1_11comp_targetILNS1_3genE2ELNS1_11target_archE906ELNS1_3gpuE6ELNS1_3repE0EEENS1_30default_config_static_selectorELNS0_4arch9wavefront6targetE1EEEvSP_: ; @_ZN7rocprim17ROCPRIM_400000_NS6detail17trampoline_kernelINS0_14default_configENS1_21merge_config_selectorIxNS0_10empty_typeEEEZNS1_10merge_implIS3_N6thrust23THRUST_200600_302600_NS6detail15normal_iteratorINS9_10device_ptrIKxEEEESF_NSB_INSC_IxEEEEPS5_SI_SI_NS9_4lessIxEEEE10hipError_tPvRmT0_T1_T2_T3_T4_T5_mmT6_P12ihipStream_tbEUlT_E_NS1_11comp_targetILNS1_3genE2ELNS1_11target_archE906ELNS1_3gpuE6ELNS1_3repE0EEENS1_30default_config_static_selectorELNS0_4arch9wavefront6targetE1EEEvSP_
; %bb.0:
	.section	.rodata,"a",@progbits
	.p2align	6, 0x0
	.amdhsa_kernel _ZN7rocprim17ROCPRIM_400000_NS6detail17trampoline_kernelINS0_14default_configENS1_21merge_config_selectorIxNS0_10empty_typeEEEZNS1_10merge_implIS3_N6thrust23THRUST_200600_302600_NS6detail15normal_iteratorINS9_10device_ptrIKxEEEESF_NSB_INSC_IxEEEEPS5_SI_SI_NS9_4lessIxEEEE10hipError_tPvRmT0_T1_T2_T3_T4_T5_mmT6_P12ihipStream_tbEUlT_E_NS1_11comp_targetILNS1_3genE2ELNS1_11target_archE906ELNS1_3gpuE6ELNS1_3repE0EEENS1_30default_config_static_selectorELNS0_4arch9wavefront6targetE1EEEvSP_
		.amdhsa_group_segment_fixed_size 0
		.amdhsa_private_segment_fixed_size 0
		.amdhsa_kernarg_size 48
		.amdhsa_user_sgpr_count 6
		.amdhsa_user_sgpr_private_segment_buffer 1
		.amdhsa_user_sgpr_dispatch_ptr 0
		.amdhsa_user_sgpr_queue_ptr 0
		.amdhsa_user_sgpr_kernarg_segment_ptr 1
		.amdhsa_user_sgpr_dispatch_id 0
		.amdhsa_user_sgpr_flat_scratch_init 0
		.amdhsa_user_sgpr_kernarg_preload_length 0
		.amdhsa_user_sgpr_kernarg_preload_offset 0
		.amdhsa_user_sgpr_private_segment_size 0
		.amdhsa_uses_dynamic_stack 0
		.amdhsa_system_sgpr_private_segment_wavefront_offset 0
		.amdhsa_system_sgpr_workgroup_id_x 1
		.amdhsa_system_sgpr_workgroup_id_y 0
		.amdhsa_system_sgpr_workgroup_id_z 0
		.amdhsa_system_sgpr_workgroup_info 0
		.amdhsa_system_vgpr_workitem_id 0
		.amdhsa_next_free_vgpr 1
		.amdhsa_next_free_sgpr 0
		.amdhsa_accum_offset 4
		.amdhsa_reserve_vcc 0
		.amdhsa_reserve_flat_scratch 0
		.amdhsa_float_round_mode_32 0
		.amdhsa_float_round_mode_16_64 0
		.amdhsa_float_denorm_mode_32 3
		.amdhsa_float_denorm_mode_16_64 3
		.amdhsa_dx10_clamp 1
		.amdhsa_ieee_mode 1
		.amdhsa_fp16_overflow 0
		.amdhsa_tg_split 0
		.amdhsa_exception_fp_ieee_invalid_op 0
		.amdhsa_exception_fp_denorm_src 0
		.amdhsa_exception_fp_ieee_div_zero 0
		.amdhsa_exception_fp_ieee_overflow 0
		.amdhsa_exception_fp_ieee_underflow 0
		.amdhsa_exception_fp_ieee_inexact 0
		.amdhsa_exception_int_div_zero 0
	.end_amdhsa_kernel
	.section	.text._ZN7rocprim17ROCPRIM_400000_NS6detail17trampoline_kernelINS0_14default_configENS1_21merge_config_selectorIxNS0_10empty_typeEEEZNS1_10merge_implIS3_N6thrust23THRUST_200600_302600_NS6detail15normal_iteratorINS9_10device_ptrIKxEEEESF_NSB_INSC_IxEEEEPS5_SI_SI_NS9_4lessIxEEEE10hipError_tPvRmT0_T1_T2_T3_T4_T5_mmT6_P12ihipStream_tbEUlT_E_NS1_11comp_targetILNS1_3genE2ELNS1_11target_archE906ELNS1_3gpuE6ELNS1_3repE0EEENS1_30default_config_static_selectorELNS0_4arch9wavefront6targetE1EEEvSP_,"axG",@progbits,_ZN7rocprim17ROCPRIM_400000_NS6detail17trampoline_kernelINS0_14default_configENS1_21merge_config_selectorIxNS0_10empty_typeEEEZNS1_10merge_implIS3_N6thrust23THRUST_200600_302600_NS6detail15normal_iteratorINS9_10device_ptrIKxEEEESF_NSB_INSC_IxEEEEPS5_SI_SI_NS9_4lessIxEEEE10hipError_tPvRmT0_T1_T2_T3_T4_T5_mmT6_P12ihipStream_tbEUlT_E_NS1_11comp_targetILNS1_3genE2ELNS1_11target_archE906ELNS1_3gpuE6ELNS1_3repE0EEENS1_30default_config_static_selectorELNS0_4arch9wavefront6targetE1EEEvSP_,comdat
.Lfunc_end211:
	.size	_ZN7rocprim17ROCPRIM_400000_NS6detail17trampoline_kernelINS0_14default_configENS1_21merge_config_selectorIxNS0_10empty_typeEEEZNS1_10merge_implIS3_N6thrust23THRUST_200600_302600_NS6detail15normal_iteratorINS9_10device_ptrIKxEEEESF_NSB_INSC_IxEEEEPS5_SI_SI_NS9_4lessIxEEEE10hipError_tPvRmT0_T1_T2_T3_T4_T5_mmT6_P12ihipStream_tbEUlT_E_NS1_11comp_targetILNS1_3genE2ELNS1_11target_archE906ELNS1_3gpuE6ELNS1_3repE0EEENS1_30default_config_static_selectorELNS0_4arch9wavefront6targetE1EEEvSP_, .Lfunc_end211-_ZN7rocprim17ROCPRIM_400000_NS6detail17trampoline_kernelINS0_14default_configENS1_21merge_config_selectorIxNS0_10empty_typeEEEZNS1_10merge_implIS3_N6thrust23THRUST_200600_302600_NS6detail15normal_iteratorINS9_10device_ptrIKxEEEESF_NSB_INSC_IxEEEEPS5_SI_SI_NS9_4lessIxEEEE10hipError_tPvRmT0_T1_T2_T3_T4_T5_mmT6_P12ihipStream_tbEUlT_E_NS1_11comp_targetILNS1_3genE2ELNS1_11target_archE906ELNS1_3gpuE6ELNS1_3repE0EEENS1_30default_config_static_selectorELNS0_4arch9wavefront6targetE1EEEvSP_
                                        ; -- End function
	.section	.AMDGPU.csdata,"",@progbits
; Kernel info:
; codeLenInByte = 0
; NumSgprs: 4
; NumVgprs: 0
; NumAgprs: 0
; TotalNumVgprs: 0
; ScratchSize: 0
; MemoryBound: 0
; FloatMode: 240
; IeeeMode: 1
; LDSByteSize: 0 bytes/workgroup (compile time only)
; SGPRBlocks: 0
; VGPRBlocks: 0
; NumSGPRsForWavesPerEU: 4
; NumVGPRsForWavesPerEU: 1
; AccumOffset: 4
; Occupancy: 8
; WaveLimiterHint : 0
; COMPUTE_PGM_RSRC2:SCRATCH_EN: 0
; COMPUTE_PGM_RSRC2:USER_SGPR: 6
; COMPUTE_PGM_RSRC2:TRAP_HANDLER: 0
; COMPUTE_PGM_RSRC2:TGID_X_EN: 1
; COMPUTE_PGM_RSRC2:TGID_Y_EN: 0
; COMPUTE_PGM_RSRC2:TGID_Z_EN: 0
; COMPUTE_PGM_RSRC2:TIDIG_COMP_CNT: 0
; COMPUTE_PGM_RSRC3_GFX90A:ACCUM_OFFSET: 0
; COMPUTE_PGM_RSRC3_GFX90A:TG_SPLIT: 0
	.section	.text._ZN7rocprim17ROCPRIM_400000_NS6detail17trampoline_kernelINS0_14default_configENS1_21merge_config_selectorIxNS0_10empty_typeEEEZNS1_10merge_implIS3_N6thrust23THRUST_200600_302600_NS6detail15normal_iteratorINS9_10device_ptrIKxEEEESF_NSB_INSC_IxEEEEPS5_SI_SI_NS9_4lessIxEEEE10hipError_tPvRmT0_T1_T2_T3_T4_T5_mmT6_P12ihipStream_tbEUlT_E_NS1_11comp_targetILNS1_3genE10ELNS1_11target_archE1201ELNS1_3gpuE5ELNS1_3repE0EEENS1_30default_config_static_selectorELNS0_4arch9wavefront6targetE1EEEvSP_,"axG",@progbits,_ZN7rocprim17ROCPRIM_400000_NS6detail17trampoline_kernelINS0_14default_configENS1_21merge_config_selectorIxNS0_10empty_typeEEEZNS1_10merge_implIS3_N6thrust23THRUST_200600_302600_NS6detail15normal_iteratorINS9_10device_ptrIKxEEEESF_NSB_INSC_IxEEEEPS5_SI_SI_NS9_4lessIxEEEE10hipError_tPvRmT0_T1_T2_T3_T4_T5_mmT6_P12ihipStream_tbEUlT_E_NS1_11comp_targetILNS1_3genE10ELNS1_11target_archE1201ELNS1_3gpuE5ELNS1_3repE0EEENS1_30default_config_static_selectorELNS0_4arch9wavefront6targetE1EEEvSP_,comdat
	.protected	_ZN7rocprim17ROCPRIM_400000_NS6detail17trampoline_kernelINS0_14default_configENS1_21merge_config_selectorIxNS0_10empty_typeEEEZNS1_10merge_implIS3_N6thrust23THRUST_200600_302600_NS6detail15normal_iteratorINS9_10device_ptrIKxEEEESF_NSB_INSC_IxEEEEPS5_SI_SI_NS9_4lessIxEEEE10hipError_tPvRmT0_T1_T2_T3_T4_T5_mmT6_P12ihipStream_tbEUlT_E_NS1_11comp_targetILNS1_3genE10ELNS1_11target_archE1201ELNS1_3gpuE5ELNS1_3repE0EEENS1_30default_config_static_selectorELNS0_4arch9wavefront6targetE1EEEvSP_ ; -- Begin function _ZN7rocprim17ROCPRIM_400000_NS6detail17trampoline_kernelINS0_14default_configENS1_21merge_config_selectorIxNS0_10empty_typeEEEZNS1_10merge_implIS3_N6thrust23THRUST_200600_302600_NS6detail15normal_iteratorINS9_10device_ptrIKxEEEESF_NSB_INSC_IxEEEEPS5_SI_SI_NS9_4lessIxEEEE10hipError_tPvRmT0_T1_T2_T3_T4_T5_mmT6_P12ihipStream_tbEUlT_E_NS1_11comp_targetILNS1_3genE10ELNS1_11target_archE1201ELNS1_3gpuE5ELNS1_3repE0EEENS1_30default_config_static_selectorELNS0_4arch9wavefront6targetE1EEEvSP_
	.globl	_ZN7rocprim17ROCPRIM_400000_NS6detail17trampoline_kernelINS0_14default_configENS1_21merge_config_selectorIxNS0_10empty_typeEEEZNS1_10merge_implIS3_N6thrust23THRUST_200600_302600_NS6detail15normal_iteratorINS9_10device_ptrIKxEEEESF_NSB_INSC_IxEEEEPS5_SI_SI_NS9_4lessIxEEEE10hipError_tPvRmT0_T1_T2_T3_T4_T5_mmT6_P12ihipStream_tbEUlT_E_NS1_11comp_targetILNS1_3genE10ELNS1_11target_archE1201ELNS1_3gpuE5ELNS1_3repE0EEENS1_30default_config_static_selectorELNS0_4arch9wavefront6targetE1EEEvSP_
	.p2align	8
	.type	_ZN7rocprim17ROCPRIM_400000_NS6detail17trampoline_kernelINS0_14default_configENS1_21merge_config_selectorIxNS0_10empty_typeEEEZNS1_10merge_implIS3_N6thrust23THRUST_200600_302600_NS6detail15normal_iteratorINS9_10device_ptrIKxEEEESF_NSB_INSC_IxEEEEPS5_SI_SI_NS9_4lessIxEEEE10hipError_tPvRmT0_T1_T2_T3_T4_T5_mmT6_P12ihipStream_tbEUlT_E_NS1_11comp_targetILNS1_3genE10ELNS1_11target_archE1201ELNS1_3gpuE5ELNS1_3repE0EEENS1_30default_config_static_selectorELNS0_4arch9wavefront6targetE1EEEvSP_,@function
_ZN7rocprim17ROCPRIM_400000_NS6detail17trampoline_kernelINS0_14default_configENS1_21merge_config_selectorIxNS0_10empty_typeEEEZNS1_10merge_implIS3_N6thrust23THRUST_200600_302600_NS6detail15normal_iteratorINS9_10device_ptrIKxEEEESF_NSB_INSC_IxEEEEPS5_SI_SI_NS9_4lessIxEEEE10hipError_tPvRmT0_T1_T2_T3_T4_T5_mmT6_P12ihipStream_tbEUlT_E_NS1_11comp_targetILNS1_3genE10ELNS1_11target_archE1201ELNS1_3gpuE5ELNS1_3repE0EEENS1_30default_config_static_selectorELNS0_4arch9wavefront6targetE1EEEvSP_: ; @_ZN7rocprim17ROCPRIM_400000_NS6detail17trampoline_kernelINS0_14default_configENS1_21merge_config_selectorIxNS0_10empty_typeEEEZNS1_10merge_implIS3_N6thrust23THRUST_200600_302600_NS6detail15normal_iteratorINS9_10device_ptrIKxEEEESF_NSB_INSC_IxEEEEPS5_SI_SI_NS9_4lessIxEEEE10hipError_tPvRmT0_T1_T2_T3_T4_T5_mmT6_P12ihipStream_tbEUlT_E_NS1_11comp_targetILNS1_3genE10ELNS1_11target_archE1201ELNS1_3gpuE5ELNS1_3repE0EEENS1_30default_config_static_selectorELNS0_4arch9wavefront6targetE1EEEvSP_
; %bb.0:
	.section	.rodata,"a",@progbits
	.p2align	6, 0x0
	.amdhsa_kernel _ZN7rocprim17ROCPRIM_400000_NS6detail17trampoline_kernelINS0_14default_configENS1_21merge_config_selectorIxNS0_10empty_typeEEEZNS1_10merge_implIS3_N6thrust23THRUST_200600_302600_NS6detail15normal_iteratorINS9_10device_ptrIKxEEEESF_NSB_INSC_IxEEEEPS5_SI_SI_NS9_4lessIxEEEE10hipError_tPvRmT0_T1_T2_T3_T4_T5_mmT6_P12ihipStream_tbEUlT_E_NS1_11comp_targetILNS1_3genE10ELNS1_11target_archE1201ELNS1_3gpuE5ELNS1_3repE0EEENS1_30default_config_static_selectorELNS0_4arch9wavefront6targetE1EEEvSP_
		.amdhsa_group_segment_fixed_size 0
		.amdhsa_private_segment_fixed_size 0
		.amdhsa_kernarg_size 48
		.amdhsa_user_sgpr_count 6
		.amdhsa_user_sgpr_private_segment_buffer 1
		.amdhsa_user_sgpr_dispatch_ptr 0
		.amdhsa_user_sgpr_queue_ptr 0
		.amdhsa_user_sgpr_kernarg_segment_ptr 1
		.amdhsa_user_sgpr_dispatch_id 0
		.amdhsa_user_sgpr_flat_scratch_init 0
		.amdhsa_user_sgpr_kernarg_preload_length 0
		.amdhsa_user_sgpr_kernarg_preload_offset 0
		.amdhsa_user_sgpr_private_segment_size 0
		.amdhsa_uses_dynamic_stack 0
		.amdhsa_system_sgpr_private_segment_wavefront_offset 0
		.amdhsa_system_sgpr_workgroup_id_x 1
		.amdhsa_system_sgpr_workgroup_id_y 0
		.amdhsa_system_sgpr_workgroup_id_z 0
		.amdhsa_system_sgpr_workgroup_info 0
		.amdhsa_system_vgpr_workitem_id 0
		.amdhsa_next_free_vgpr 1
		.amdhsa_next_free_sgpr 0
		.amdhsa_accum_offset 4
		.amdhsa_reserve_vcc 0
		.amdhsa_reserve_flat_scratch 0
		.amdhsa_float_round_mode_32 0
		.amdhsa_float_round_mode_16_64 0
		.amdhsa_float_denorm_mode_32 3
		.amdhsa_float_denorm_mode_16_64 3
		.amdhsa_dx10_clamp 1
		.amdhsa_ieee_mode 1
		.amdhsa_fp16_overflow 0
		.amdhsa_tg_split 0
		.amdhsa_exception_fp_ieee_invalid_op 0
		.amdhsa_exception_fp_denorm_src 0
		.amdhsa_exception_fp_ieee_div_zero 0
		.amdhsa_exception_fp_ieee_overflow 0
		.amdhsa_exception_fp_ieee_underflow 0
		.amdhsa_exception_fp_ieee_inexact 0
		.amdhsa_exception_int_div_zero 0
	.end_amdhsa_kernel
	.section	.text._ZN7rocprim17ROCPRIM_400000_NS6detail17trampoline_kernelINS0_14default_configENS1_21merge_config_selectorIxNS0_10empty_typeEEEZNS1_10merge_implIS3_N6thrust23THRUST_200600_302600_NS6detail15normal_iteratorINS9_10device_ptrIKxEEEESF_NSB_INSC_IxEEEEPS5_SI_SI_NS9_4lessIxEEEE10hipError_tPvRmT0_T1_T2_T3_T4_T5_mmT6_P12ihipStream_tbEUlT_E_NS1_11comp_targetILNS1_3genE10ELNS1_11target_archE1201ELNS1_3gpuE5ELNS1_3repE0EEENS1_30default_config_static_selectorELNS0_4arch9wavefront6targetE1EEEvSP_,"axG",@progbits,_ZN7rocprim17ROCPRIM_400000_NS6detail17trampoline_kernelINS0_14default_configENS1_21merge_config_selectorIxNS0_10empty_typeEEEZNS1_10merge_implIS3_N6thrust23THRUST_200600_302600_NS6detail15normal_iteratorINS9_10device_ptrIKxEEEESF_NSB_INSC_IxEEEEPS5_SI_SI_NS9_4lessIxEEEE10hipError_tPvRmT0_T1_T2_T3_T4_T5_mmT6_P12ihipStream_tbEUlT_E_NS1_11comp_targetILNS1_3genE10ELNS1_11target_archE1201ELNS1_3gpuE5ELNS1_3repE0EEENS1_30default_config_static_selectorELNS0_4arch9wavefront6targetE1EEEvSP_,comdat
.Lfunc_end212:
	.size	_ZN7rocprim17ROCPRIM_400000_NS6detail17trampoline_kernelINS0_14default_configENS1_21merge_config_selectorIxNS0_10empty_typeEEEZNS1_10merge_implIS3_N6thrust23THRUST_200600_302600_NS6detail15normal_iteratorINS9_10device_ptrIKxEEEESF_NSB_INSC_IxEEEEPS5_SI_SI_NS9_4lessIxEEEE10hipError_tPvRmT0_T1_T2_T3_T4_T5_mmT6_P12ihipStream_tbEUlT_E_NS1_11comp_targetILNS1_3genE10ELNS1_11target_archE1201ELNS1_3gpuE5ELNS1_3repE0EEENS1_30default_config_static_selectorELNS0_4arch9wavefront6targetE1EEEvSP_, .Lfunc_end212-_ZN7rocprim17ROCPRIM_400000_NS6detail17trampoline_kernelINS0_14default_configENS1_21merge_config_selectorIxNS0_10empty_typeEEEZNS1_10merge_implIS3_N6thrust23THRUST_200600_302600_NS6detail15normal_iteratorINS9_10device_ptrIKxEEEESF_NSB_INSC_IxEEEEPS5_SI_SI_NS9_4lessIxEEEE10hipError_tPvRmT0_T1_T2_T3_T4_T5_mmT6_P12ihipStream_tbEUlT_E_NS1_11comp_targetILNS1_3genE10ELNS1_11target_archE1201ELNS1_3gpuE5ELNS1_3repE0EEENS1_30default_config_static_selectorELNS0_4arch9wavefront6targetE1EEEvSP_
                                        ; -- End function
	.section	.AMDGPU.csdata,"",@progbits
; Kernel info:
; codeLenInByte = 0
; NumSgprs: 4
; NumVgprs: 0
; NumAgprs: 0
; TotalNumVgprs: 0
; ScratchSize: 0
; MemoryBound: 0
; FloatMode: 240
; IeeeMode: 1
; LDSByteSize: 0 bytes/workgroup (compile time only)
; SGPRBlocks: 0
; VGPRBlocks: 0
; NumSGPRsForWavesPerEU: 4
; NumVGPRsForWavesPerEU: 1
; AccumOffset: 4
; Occupancy: 8
; WaveLimiterHint : 0
; COMPUTE_PGM_RSRC2:SCRATCH_EN: 0
; COMPUTE_PGM_RSRC2:USER_SGPR: 6
; COMPUTE_PGM_RSRC2:TRAP_HANDLER: 0
; COMPUTE_PGM_RSRC2:TGID_X_EN: 1
; COMPUTE_PGM_RSRC2:TGID_Y_EN: 0
; COMPUTE_PGM_RSRC2:TGID_Z_EN: 0
; COMPUTE_PGM_RSRC2:TIDIG_COMP_CNT: 0
; COMPUTE_PGM_RSRC3_GFX90A:ACCUM_OFFSET: 0
; COMPUTE_PGM_RSRC3_GFX90A:TG_SPLIT: 0
	.section	.text._ZN7rocprim17ROCPRIM_400000_NS6detail17trampoline_kernelINS0_14default_configENS1_21merge_config_selectorIxNS0_10empty_typeEEEZNS1_10merge_implIS3_N6thrust23THRUST_200600_302600_NS6detail15normal_iteratorINS9_10device_ptrIKxEEEESF_NSB_INSC_IxEEEEPS5_SI_SI_NS9_4lessIxEEEE10hipError_tPvRmT0_T1_T2_T3_T4_T5_mmT6_P12ihipStream_tbEUlT_E_NS1_11comp_targetILNS1_3genE10ELNS1_11target_archE1200ELNS1_3gpuE4ELNS1_3repE0EEENS1_30default_config_static_selectorELNS0_4arch9wavefront6targetE1EEEvSP_,"axG",@progbits,_ZN7rocprim17ROCPRIM_400000_NS6detail17trampoline_kernelINS0_14default_configENS1_21merge_config_selectorIxNS0_10empty_typeEEEZNS1_10merge_implIS3_N6thrust23THRUST_200600_302600_NS6detail15normal_iteratorINS9_10device_ptrIKxEEEESF_NSB_INSC_IxEEEEPS5_SI_SI_NS9_4lessIxEEEE10hipError_tPvRmT0_T1_T2_T3_T4_T5_mmT6_P12ihipStream_tbEUlT_E_NS1_11comp_targetILNS1_3genE10ELNS1_11target_archE1200ELNS1_3gpuE4ELNS1_3repE0EEENS1_30default_config_static_selectorELNS0_4arch9wavefront6targetE1EEEvSP_,comdat
	.protected	_ZN7rocprim17ROCPRIM_400000_NS6detail17trampoline_kernelINS0_14default_configENS1_21merge_config_selectorIxNS0_10empty_typeEEEZNS1_10merge_implIS3_N6thrust23THRUST_200600_302600_NS6detail15normal_iteratorINS9_10device_ptrIKxEEEESF_NSB_INSC_IxEEEEPS5_SI_SI_NS9_4lessIxEEEE10hipError_tPvRmT0_T1_T2_T3_T4_T5_mmT6_P12ihipStream_tbEUlT_E_NS1_11comp_targetILNS1_3genE10ELNS1_11target_archE1200ELNS1_3gpuE4ELNS1_3repE0EEENS1_30default_config_static_selectorELNS0_4arch9wavefront6targetE1EEEvSP_ ; -- Begin function _ZN7rocprim17ROCPRIM_400000_NS6detail17trampoline_kernelINS0_14default_configENS1_21merge_config_selectorIxNS0_10empty_typeEEEZNS1_10merge_implIS3_N6thrust23THRUST_200600_302600_NS6detail15normal_iteratorINS9_10device_ptrIKxEEEESF_NSB_INSC_IxEEEEPS5_SI_SI_NS9_4lessIxEEEE10hipError_tPvRmT0_T1_T2_T3_T4_T5_mmT6_P12ihipStream_tbEUlT_E_NS1_11comp_targetILNS1_3genE10ELNS1_11target_archE1200ELNS1_3gpuE4ELNS1_3repE0EEENS1_30default_config_static_selectorELNS0_4arch9wavefront6targetE1EEEvSP_
	.globl	_ZN7rocprim17ROCPRIM_400000_NS6detail17trampoline_kernelINS0_14default_configENS1_21merge_config_selectorIxNS0_10empty_typeEEEZNS1_10merge_implIS3_N6thrust23THRUST_200600_302600_NS6detail15normal_iteratorINS9_10device_ptrIKxEEEESF_NSB_INSC_IxEEEEPS5_SI_SI_NS9_4lessIxEEEE10hipError_tPvRmT0_T1_T2_T3_T4_T5_mmT6_P12ihipStream_tbEUlT_E_NS1_11comp_targetILNS1_3genE10ELNS1_11target_archE1200ELNS1_3gpuE4ELNS1_3repE0EEENS1_30default_config_static_selectorELNS0_4arch9wavefront6targetE1EEEvSP_
	.p2align	8
	.type	_ZN7rocprim17ROCPRIM_400000_NS6detail17trampoline_kernelINS0_14default_configENS1_21merge_config_selectorIxNS0_10empty_typeEEEZNS1_10merge_implIS3_N6thrust23THRUST_200600_302600_NS6detail15normal_iteratorINS9_10device_ptrIKxEEEESF_NSB_INSC_IxEEEEPS5_SI_SI_NS9_4lessIxEEEE10hipError_tPvRmT0_T1_T2_T3_T4_T5_mmT6_P12ihipStream_tbEUlT_E_NS1_11comp_targetILNS1_3genE10ELNS1_11target_archE1200ELNS1_3gpuE4ELNS1_3repE0EEENS1_30default_config_static_selectorELNS0_4arch9wavefront6targetE1EEEvSP_,@function
_ZN7rocprim17ROCPRIM_400000_NS6detail17trampoline_kernelINS0_14default_configENS1_21merge_config_selectorIxNS0_10empty_typeEEEZNS1_10merge_implIS3_N6thrust23THRUST_200600_302600_NS6detail15normal_iteratorINS9_10device_ptrIKxEEEESF_NSB_INSC_IxEEEEPS5_SI_SI_NS9_4lessIxEEEE10hipError_tPvRmT0_T1_T2_T3_T4_T5_mmT6_P12ihipStream_tbEUlT_E_NS1_11comp_targetILNS1_3genE10ELNS1_11target_archE1200ELNS1_3gpuE4ELNS1_3repE0EEENS1_30default_config_static_selectorELNS0_4arch9wavefront6targetE1EEEvSP_: ; @_ZN7rocprim17ROCPRIM_400000_NS6detail17trampoline_kernelINS0_14default_configENS1_21merge_config_selectorIxNS0_10empty_typeEEEZNS1_10merge_implIS3_N6thrust23THRUST_200600_302600_NS6detail15normal_iteratorINS9_10device_ptrIKxEEEESF_NSB_INSC_IxEEEEPS5_SI_SI_NS9_4lessIxEEEE10hipError_tPvRmT0_T1_T2_T3_T4_T5_mmT6_P12ihipStream_tbEUlT_E_NS1_11comp_targetILNS1_3genE10ELNS1_11target_archE1200ELNS1_3gpuE4ELNS1_3repE0EEENS1_30default_config_static_selectorELNS0_4arch9wavefront6targetE1EEEvSP_
; %bb.0:
	.section	.rodata,"a",@progbits
	.p2align	6, 0x0
	.amdhsa_kernel _ZN7rocprim17ROCPRIM_400000_NS6detail17trampoline_kernelINS0_14default_configENS1_21merge_config_selectorIxNS0_10empty_typeEEEZNS1_10merge_implIS3_N6thrust23THRUST_200600_302600_NS6detail15normal_iteratorINS9_10device_ptrIKxEEEESF_NSB_INSC_IxEEEEPS5_SI_SI_NS9_4lessIxEEEE10hipError_tPvRmT0_T1_T2_T3_T4_T5_mmT6_P12ihipStream_tbEUlT_E_NS1_11comp_targetILNS1_3genE10ELNS1_11target_archE1200ELNS1_3gpuE4ELNS1_3repE0EEENS1_30default_config_static_selectorELNS0_4arch9wavefront6targetE1EEEvSP_
		.amdhsa_group_segment_fixed_size 0
		.amdhsa_private_segment_fixed_size 0
		.amdhsa_kernarg_size 48
		.amdhsa_user_sgpr_count 6
		.amdhsa_user_sgpr_private_segment_buffer 1
		.amdhsa_user_sgpr_dispatch_ptr 0
		.amdhsa_user_sgpr_queue_ptr 0
		.amdhsa_user_sgpr_kernarg_segment_ptr 1
		.amdhsa_user_sgpr_dispatch_id 0
		.amdhsa_user_sgpr_flat_scratch_init 0
		.amdhsa_user_sgpr_kernarg_preload_length 0
		.amdhsa_user_sgpr_kernarg_preload_offset 0
		.amdhsa_user_sgpr_private_segment_size 0
		.amdhsa_uses_dynamic_stack 0
		.amdhsa_system_sgpr_private_segment_wavefront_offset 0
		.amdhsa_system_sgpr_workgroup_id_x 1
		.amdhsa_system_sgpr_workgroup_id_y 0
		.amdhsa_system_sgpr_workgroup_id_z 0
		.amdhsa_system_sgpr_workgroup_info 0
		.amdhsa_system_vgpr_workitem_id 0
		.amdhsa_next_free_vgpr 1
		.amdhsa_next_free_sgpr 0
		.amdhsa_accum_offset 4
		.amdhsa_reserve_vcc 0
		.amdhsa_reserve_flat_scratch 0
		.amdhsa_float_round_mode_32 0
		.amdhsa_float_round_mode_16_64 0
		.amdhsa_float_denorm_mode_32 3
		.amdhsa_float_denorm_mode_16_64 3
		.amdhsa_dx10_clamp 1
		.amdhsa_ieee_mode 1
		.amdhsa_fp16_overflow 0
		.amdhsa_tg_split 0
		.amdhsa_exception_fp_ieee_invalid_op 0
		.amdhsa_exception_fp_denorm_src 0
		.amdhsa_exception_fp_ieee_div_zero 0
		.amdhsa_exception_fp_ieee_overflow 0
		.amdhsa_exception_fp_ieee_underflow 0
		.amdhsa_exception_fp_ieee_inexact 0
		.amdhsa_exception_int_div_zero 0
	.end_amdhsa_kernel
	.section	.text._ZN7rocprim17ROCPRIM_400000_NS6detail17trampoline_kernelINS0_14default_configENS1_21merge_config_selectorIxNS0_10empty_typeEEEZNS1_10merge_implIS3_N6thrust23THRUST_200600_302600_NS6detail15normal_iteratorINS9_10device_ptrIKxEEEESF_NSB_INSC_IxEEEEPS5_SI_SI_NS9_4lessIxEEEE10hipError_tPvRmT0_T1_T2_T3_T4_T5_mmT6_P12ihipStream_tbEUlT_E_NS1_11comp_targetILNS1_3genE10ELNS1_11target_archE1200ELNS1_3gpuE4ELNS1_3repE0EEENS1_30default_config_static_selectorELNS0_4arch9wavefront6targetE1EEEvSP_,"axG",@progbits,_ZN7rocprim17ROCPRIM_400000_NS6detail17trampoline_kernelINS0_14default_configENS1_21merge_config_selectorIxNS0_10empty_typeEEEZNS1_10merge_implIS3_N6thrust23THRUST_200600_302600_NS6detail15normal_iteratorINS9_10device_ptrIKxEEEESF_NSB_INSC_IxEEEEPS5_SI_SI_NS9_4lessIxEEEE10hipError_tPvRmT0_T1_T2_T3_T4_T5_mmT6_P12ihipStream_tbEUlT_E_NS1_11comp_targetILNS1_3genE10ELNS1_11target_archE1200ELNS1_3gpuE4ELNS1_3repE0EEENS1_30default_config_static_selectorELNS0_4arch9wavefront6targetE1EEEvSP_,comdat
.Lfunc_end213:
	.size	_ZN7rocprim17ROCPRIM_400000_NS6detail17trampoline_kernelINS0_14default_configENS1_21merge_config_selectorIxNS0_10empty_typeEEEZNS1_10merge_implIS3_N6thrust23THRUST_200600_302600_NS6detail15normal_iteratorINS9_10device_ptrIKxEEEESF_NSB_INSC_IxEEEEPS5_SI_SI_NS9_4lessIxEEEE10hipError_tPvRmT0_T1_T2_T3_T4_T5_mmT6_P12ihipStream_tbEUlT_E_NS1_11comp_targetILNS1_3genE10ELNS1_11target_archE1200ELNS1_3gpuE4ELNS1_3repE0EEENS1_30default_config_static_selectorELNS0_4arch9wavefront6targetE1EEEvSP_, .Lfunc_end213-_ZN7rocprim17ROCPRIM_400000_NS6detail17trampoline_kernelINS0_14default_configENS1_21merge_config_selectorIxNS0_10empty_typeEEEZNS1_10merge_implIS3_N6thrust23THRUST_200600_302600_NS6detail15normal_iteratorINS9_10device_ptrIKxEEEESF_NSB_INSC_IxEEEEPS5_SI_SI_NS9_4lessIxEEEE10hipError_tPvRmT0_T1_T2_T3_T4_T5_mmT6_P12ihipStream_tbEUlT_E_NS1_11comp_targetILNS1_3genE10ELNS1_11target_archE1200ELNS1_3gpuE4ELNS1_3repE0EEENS1_30default_config_static_selectorELNS0_4arch9wavefront6targetE1EEEvSP_
                                        ; -- End function
	.section	.AMDGPU.csdata,"",@progbits
; Kernel info:
; codeLenInByte = 0
; NumSgprs: 4
; NumVgprs: 0
; NumAgprs: 0
; TotalNumVgprs: 0
; ScratchSize: 0
; MemoryBound: 0
; FloatMode: 240
; IeeeMode: 1
; LDSByteSize: 0 bytes/workgroup (compile time only)
; SGPRBlocks: 0
; VGPRBlocks: 0
; NumSGPRsForWavesPerEU: 4
; NumVGPRsForWavesPerEU: 1
; AccumOffset: 4
; Occupancy: 8
; WaveLimiterHint : 0
; COMPUTE_PGM_RSRC2:SCRATCH_EN: 0
; COMPUTE_PGM_RSRC2:USER_SGPR: 6
; COMPUTE_PGM_RSRC2:TRAP_HANDLER: 0
; COMPUTE_PGM_RSRC2:TGID_X_EN: 1
; COMPUTE_PGM_RSRC2:TGID_Y_EN: 0
; COMPUTE_PGM_RSRC2:TGID_Z_EN: 0
; COMPUTE_PGM_RSRC2:TIDIG_COMP_CNT: 0
; COMPUTE_PGM_RSRC3_GFX90A:ACCUM_OFFSET: 0
; COMPUTE_PGM_RSRC3_GFX90A:TG_SPLIT: 0
	.section	.text._ZN7rocprim17ROCPRIM_400000_NS6detail17trampoline_kernelINS0_14default_configENS1_21merge_config_selectorIxNS0_10empty_typeEEEZNS1_10merge_implIS3_N6thrust23THRUST_200600_302600_NS6detail15normal_iteratorINS9_10device_ptrIKxEEEESF_NSB_INSC_IxEEEEPS5_SI_SI_NS9_4lessIxEEEE10hipError_tPvRmT0_T1_T2_T3_T4_T5_mmT6_P12ihipStream_tbEUlT_E_NS1_11comp_targetILNS1_3genE9ELNS1_11target_archE1100ELNS1_3gpuE3ELNS1_3repE0EEENS1_30default_config_static_selectorELNS0_4arch9wavefront6targetE1EEEvSP_,"axG",@progbits,_ZN7rocprim17ROCPRIM_400000_NS6detail17trampoline_kernelINS0_14default_configENS1_21merge_config_selectorIxNS0_10empty_typeEEEZNS1_10merge_implIS3_N6thrust23THRUST_200600_302600_NS6detail15normal_iteratorINS9_10device_ptrIKxEEEESF_NSB_INSC_IxEEEEPS5_SI_SI_NS9_4lessIxEEEE10hipError_tPvRmT0_T1_T2_T3_T4_T5_mmT6_P12ihipStream_tbEUlT_E_NS1_11comp_targetILNS1_3genE9ELNS1_11target_archE1100ELNS1_3gpuE3ELNS1_3repE0EEENS1_30default_config_static_selectorELNS0_4arch9wavefront6targetE1EEEvSP_,comdat
	.protected	_ZN7rocprim17ROCPRIM_400000_NS6detail17trampoline_kernelINS0_14default_configENS1_21merge_config_selectorIxNS0_10empty_typeEEEZNS1_10merge_implIS3_N6thrust23THRUST_200600_302600_NS6detail15normal_iteratorINS9_10device_ptrIKxEEEESF_NSB_INSC_IxEEEEPS5_SI_SI_NS9_4lessIxEEEE10hipError_tPvRmT0_T1_T2_T3_T4_T5_mmT6_P12ihipStream_tbEUlT_E_NS1_11comp_targetILNS1_3genE9ELNS1_11target_archE1100ELNS1_3gpuE3ELNS1_3repE0EEENS1_30default_config_static_selectorELNS0_4arch9wavefront6targetE1EEEvSP_ ; -- Begin function _ZN7rocprim17ROCPRIM_400000_NS6detail17trampoline_kernelINS0_14default_configENS1_21merge_config_selectorIxNS0_10empty_typeEEEZNS1_10merge_implIS3_N6thrust23THRUST_200600_302600_NS6detail15normal_iteratorINS9_10device_ptrIKxEEEESF_NSB_INSC_IxEEEEPS5_SI_SI_NS9_4lessIxEEEE10hipError_tPvRmT0_T1_T2_T3_T4_T5_mmT6_P12ihipStream_tbEUlT_E_NS1_11comp_targetILNS1_3genE9ELNS1_11target_archE1100ELNS1_3gpuE3ELNS1_3repE0EEENS1_30default_config_static_selectorELNS0_4arch9wavefront6targetE1EEEvSP_
	.globl	_ZN7rocprim17ROCPRIM_400000_NS6detail17trampoline_kernelINS0_14default_configENS1_21merge_config_selectorIxNS0_10empty_typeEEEZNS1_10merge_implIS3_N6thrust23THRUST_200600_302600_NS6detail15normal_iteratorINS9_10device_ptrIKxEEEESF_NSB_INSC_IxEEEEPS5_SI_SI_NS9_4lessIxEEEE10hipError_tPvRmT0_T1_T2_T3_T4_T5_mmT6_P12ihipStream_tbEUlT_E_NS1_11comp_targetILNS1_3genE9ELNS1_11target_archE1100ELNS1_3gpuE3ELNS1_3repE0EEENS1_30default_config_static_selectorELNS0_4arch9wavefront6targetE1EEEvSP_
	.p2align	8
	.type	_ZN7rocprim17ROCPRIM_400000_NS6detail17trampoline_kernelINS0_14default_configENS1_21merge_config_selectorIxNS0_10empty_typeEEEZNS1_10merge_implIS3_N6thrust23THRUST_200600_302600_NS6detail15normal_iteratorINS9_10device_ptrIKxEEEESF_NSB_INSC_IxEEEEPS5_SI_SI_NS9_4lessIxEEEE10hipError_tPvRmT0_T1_T2_T3_T4_T5_mmT6_P12ihipStream_tbEUlT_E_NS1_11comp_targetILNS1_3genE9ELNS1_11target_archE1100ELNS1_3gpuE3ELNS1_3repE0EEENS1_30default_config_static_selectorELNS0_4arch9wavefront6targetE1EEEvSP_,@function
_ZN7rocprim17ROCPRIM_400000_NS6detail17trampoline_kernelINS0_14default_configENS1_21merge_config_selectorIxNS0_10empty_typeEEEZNS1_10merge_implIS3_N6thrust23THRUST_200600_302600_NS6detail15normal_iteratorINS9_10device_ptrIKxEEEESF_NSB_INSC_IxEEEEPS5_SI_SI_NS9_4lessIxEEEE10hipError_tPvRmT0_T1_T2_T3_T4_T5_mmT6_P12ihipStream_tbEUlT_E_NS1_11comp_targetILNS1_3genE9ELNS1_11target_archE1100ELNS1_3gpuE3ELNS1_3repE0EEENS1_30default_config_static_selectorELNS0_4arch9wavefront6targetE1EEEvSP_: ; @_ZN7rocprim17ROCPRIM_400000_NS6detail17trampoline_kernelINS0_14default_configENS1_21merge_config_selectorIxNS0_10empty_typeEEEZNS1_10merge_implIS3_N6thrust23THRUST_200600_302600_NS6detail15normal_iteratorINS9_10device_ptrIKxEEEESF_NSB_INSC_IxEEEEPS5_SI_SI_NS9_4lessIxEEEE10hipError_tPvRmT0_T1_T2_T3_T4_T5_mmT6_P12ihipStream_tbEUlT_E_NS1_11comp_targetILNS1_3genE9ELNS1_11target_archE1100ELNS1_3gpuE3ELNS1_3repE0EEENS1_30default_config_static_selectorELNS0_4arch9wavefront6targetE1EEEvSP_
; %bb.0:
	.section	.rodata,"a",@progbits
	.p2align	6, 0x0
	.amdhsa_kernel _ZN7rocprim17ROCPRIM_400000_NS6detail17trampoline_kernelINS0_14default_configENS1_21merge_config_selectorIxNS0_10empty_typeEEEZNS1_10merge_implIS3_N6thrust23THRUST_200600_302600_NS6detail15normal_iteratorINS9_10device_ptrIKxEEEESF_NSB_INSC_IxEEEEPS5_SI_SI_NS9_4lessIxEEEE10hipError_tPvRmT0_T1_T2_T3_T4_T5_mmT6_P12ihipStream_tbEUlT_E_NS1_11comp_targetILNS1_3genE9ELNS1_11target_archE1100ELNS1_3gpuE3ELNS1_3repE0EEENS1_30default_config_static_selectorELNS0_4arch9wavefront6targetE1EEEvSP_
		.amdhsa_group_segment_fixed_size 0
		.amdhsa_private_segment_fixed_size 0
		.amdhsa_kernarg_size 48
		.amdhsa_user_sgpr_count 6
		.amdhsa_user_sgpr_private_segment_buffer 1
		.amdhsa_user_sgpr_dispatch_ptr 0
		.amdhsa_user_sgpr_queue_ptr 0
		.amdhsa_user_sgpr_kernarg_segment_ptr 1
		.amdhsa_user_sgpr_dispatch_id 0
		.amdhsa_user_sgpr_flat_scratch_init 0
		.amdhsa_user_sgpr_kernarg_preload_length 0
		.amdhsa_user_sgpr_kernarg_preload_offset 0
		.amdhsa_user_sgpr_private_segment_size 0
		.amdhsa_uses_dynamic_stack 0
		.amdhsa_system_sgpr_private_segment_wavefront_offset 0
		.amdhsa_system_sgpr_workgroup_id_x 1
		.amdhsa_system_sgpr_workgroup_id_y 0
		.amdhsa_system_sgpr_workgroup_id_z 0
		.amdhsa_system_sgpr_workgroup_info 0
		.amdhsa_system_vgpr_workitem_id 0
		.amdhsa_next_free_vgpr 1
		.amdhsa_next_free_sgpr 0
		.amdhsa_accum_offset 4
		.amdhsa_reserve_vcc 0
		.amdhsa_reserve_flat_scratch 0
		.amdhsa_float_round_mode_32 0
		.amdhsa_float_round_mode_16_64 0
		.amdhsa_float_denorm_mode_32 3
		.amdhsa_float_denorm_mode_16_64 3
		.amdhsa_dx10_clamp 1
		.amdhsa_ieee_mode 1
		.amdhsa_fp16_overflow 0
		.amdhsa_tg_split 0
		.amdhsa_exception_fp_ieee_invalid_op 0
		.amdhsa_exception_fp_denorm_src 0
		.amdhsa_exception_fp_ieee_div_zero 0
		.amdhsa_exception_fp_ieee_overflow 0
		.amdhsa_exception_fp_ieee_underflow 0
		.amdhsa_exception_fp_ieee_inexact 0
		.amdhsa_exception_int_div_zero 0
	.end_amdhsa_kernel
	.section	.text._ZN7rocprim17ROCPRIM_400000_NS6detail17trampoline_kernelINS0_14default_configENS1_21merge_config_selectorIxNS0_10empty_typeEEEZNS1_10merge_implIS3_N6thrust23THRUST_200600_302600_NS6detail15normal_iteratorINS9_10device_ptrIKxEEEESF_NSB_INSC_IxEEEEPS5_SI_SI_NS9_4lessIxEEEE10hipError_tPvRmT0_T1_T2_T3_T4_T5_mmT6_P12ihipStream_tbEUlT_E_NS1_11comp_targetILNS1_3genE9ELNS1_11target_archE1100ELNS1_3gpuE3ELNS1_3repE0EEENS1_30default_config_static_selectorELNS0_4arch9wavefront6targetE1EEEvSP_,"axG",@progbits,_ZN7rocprim17ROCPRIM_400000_NS6detail17trampoline_kernelINS0_14default_configENS1_21merge_config_selectorIxNS0_10empty_typeEEEZNS1_10merge_implIS3_N6thrust23THRUST_200600_302600_NS6detail15normal_iteratorINS9_10device_ptrIKxEEEESF_NSB_INSC_IxEEEEPS5_SI_SI_NS9_4lessIxEEEE10hipError_tPvRmT0_T1_T2_T3_T4_T5_mmT6_P12ihipStream_tbEUlT_E_NS1_11comp_targetILNS1_3genE9ELNS1_11target_archE1100ELNS1_3gpuE3ELNS1_3repE0EEENS1_30default_config_static_selectorELNS0_4arch9wavefront6targetE1EEEvSP_,comdat
.Lfunc_end214:
	.size	_ZN7rocprim17ROCPRIM_400000_NS6detail17trampoline_kernelINS0_14default_configENS1_21merge_config_selectorIxNS0_10empty_typeEEEZNS1_10merge_implIS3_N6thrust23THRUST_200600_302600_NS6detail15normal_iteratorINS9_10device_ptrIKxEEEESF_NSB_INSC_IxEEEEPS5_SI_SI_NS9_4lessIxEEEE10hipError_tPvRmT0_T1_T2_T3_T4_T5_mmT6_P12ihipStream_tbEUlT_E_NS1_11comp_targetILNS1_3genE9ELNS1_11target_archE1100ELNS1_3gpuE3ELNS1_3repE0EEENS1_30default_config_static_selectorELNS0_4arch9wavefront6targetE1EEEvSP_, .Lfunc_end214-_ZN7rocprim17ROCPRIM_400000_NS6detail17trampoline_kernelINS0_14default_configENS1_21merge_config_selectorIxNS0_10empty_typeEEEZNS1_10merge_implIS3_N6thrust23THRUST_200600_302600_NS6detail15normal_iteratorINS9_10device_ptrIKxEEEESF_NSB_INSC_IxEEEEPS5_SI_SI_NS9_4lessIxEEEE10hipError_tPvRmT0_T1_T2_T3_T4_T5_mmT6_P12ihipStream_tbEUlT_E_NS1_11comp_targetILNS1_3genE9ELNS1_11target_archE1100ELNS1_3gpuE3ELNS1_3repE0EEENS1_30default_config_static_selectorELNS0_4arch9wavefront6targetE1EEEvSP_
                                        ; -- End function
	.section	.AMDGPU.csdata,"",@progbits
; Kernel info:
; codeLenInByte = 0
; NumSgprs: 4
; NumVgprs: 0
; NumAgprs: 0
; TotalNumVgprs: 0
; ScratchSize: 0
; MemoryBound: 0
; FloatMode: 240
; IeeeMode: 1
; LDSByteSize: 0 bytes/workgroup (compile time only)
; SGPRBlocks: 0
; VGPRBlocks: 0
; NumSGPRsForWavesPerEU: 4
; NumVGPRsForWavesPerEU: 1
; AccumOffset: 4
; Occupancy: 8
; WaveLimiterHint : 0
; COMPUTE_PGM_RSRC2:SCRATCH_EN: 0
; COMPUTE_PGM_RSRC2:USER_SGPR: 6
; COMPUTE_PGM_RSRC2:TRAP_HANDLER: 0
; COMPUTE_PGM_RSRC2:TGID_X_EN: 1
; COMPUTE_PGM_RSRC2:TGID_Y_EN: 0
; COMPUTE_PGM_RSRC2:TGID_Z_EN: 0
; COMPUTE_PGM_RSRC2:TIDIG_COMP_CNT: 0
; COMPUTE_PGM_RSRC3_GFX90A:ACCUM_OFFSET: 0
; COMPUTE_PGM_RSRC3_GFX90A:TG_SPLIT: 0
	.section	.text._ZN7rocprim17ROCPRIM_400000_NS6detail17trampoline_kernelINS0_14default_configENS1_21merge_config_selectorIxNS0_10empty_typeEEEZNS1_10merge_implIS3_N6thrust23THRUST_200600_302600_NS6detail15normal_iteratorINS9_10device_ptrIKxEEEESF_NSB_INSC_IxEEEEPS5_SI_SI_NS9_4lessIxEEEE10hipError_tPvRmT0_T1_T2_T3_T4_T5_mmT6_P12ihipStream_tbEUlT_E_NS1_11comp_targetILNS1_3genE8ELNS1_11target_archE1030ELNS1_3gpuE2ELNS1_3repE0EEENS1_30default_config_static_selectorELNS0_4arch9wavefront6targetE1EEEvSP_,"axG",@progbits,_ZN7rocprim17ROCPRIM_400000_NS6detail17trampoline_kernelINS0_14default_configENS1_21merge_config_selectorIxNS0_10empty_typeEEEZNS1_10merge_implIS3_N6thrust23THRUST_200600_302600_NS6detail15normal_iteratorINS9_10device_ptrIKxEEEESF_NSB_INSC_IxEEEEPS5_SI_SI_NS9_4lessIxEEEE10hipError_tPvRmT0_T1_T2_T3_T4_T5_mmT6_P12ihipStream_tbEUlT_E_NS1_11comp_targetILNS1_3genE8ELNS1_11target_archE1030ELNS1_3gpuE2ELNS1_3repE0EEENS1_30default_config_static_selectorELNS0_4arch9wavefront6targetE1EEEvSP_,comdat
	.protected	_ZN7rocprim17ROCPRIM_400000_NS6detail17trampoline_kernelINS0_14default_configENS1_21merge_config_selectorIxNS0_10empty_typeEEEZNS1_10merge_implIS3_N6thrust23THRUST_200600_302600_NS6detail15normal_iteratorINS9_10device_ptrIKxEEEESF_NSB_INSC_IxEEEEPS5_SI_SI_NS9_4lessIxEEEE10hipError_tPvRmT0_T1_T2_T3_T4_T5_mmT6_P12ihipStream_tbEUlT_E_NS1_11comp_targetILNS1_3genE8ELNS1_11target_archE1030ELNS1_3gpuE2ELNS1_3repE0EEENS1_30default_config_static_selectorELNS0_4arch9wavefront6targetE1EEEvSP_ ; -- Begin function _ZN7rocprim17ROCPRIM_400000_NS6detail17trampoline_kernelINS0_14default_configENS1_21merge_config_selectorIxNS0_10empty_typeEEEZNS1_10merge_implIS3_N6thrust23THRUST_200600_302600_NS6detail15normal_iteratorINS9_10device_ptrIKxEEEESF_NSB_INSC_IxEEEEPS5_SI_SI_NS9_4lessIxEEEE10hipError_tPvRmT0_T1_T2_T3_T4_T5_mmT6_P12ihipStream_tbEUlT_E_NS1_11comp_targetILNS1_3genE8ELNS1_11target_archE1030ELNS1_3gpuE2ELNS1_3repE0EEENS1_30default_config_static_selectorELNS0_4arch9wavefront6targetE1EEEvSP_
	.globl	_ZN7rocprim17ROCPRIM_400000_NS6detail17trampoline_kernelINS0_14default_configENS1_21merge_config_selectorIxNS0_10empty_typeEEEZNS1_10merge_implIS3_N6thrust23THRUST_200600_302600_NS6detail15normal_iteratorINS9_10device_ptrIKxEEEESF_NSB_INSC_IxEEEEPS5_SI_SI_NS9_4lessIxEEEE10hipError_tPvRmT0_T1_T2_T3_T4_T5_mmT6_P12ihipStream_tbEUlT_E_NS1_11comp_targetILNS1_3genE8ELNS1_11target_archE1030ELNS1_3gpuE2ELNS1_3repE0EEENS1_30default_config_static_selectorELNS0_4arch9wavefront6targetE1EEEvSP_
	.p2align	8
	.type	_ZN7rocprim17ROCPRIM_400000_NS6detail17trampoline_kernelINS0_14default_configENS1_21merge_config_selectorIxNS0_10empty_typeEEEZNS1_10merge_implIS3_N6thrust23THRUST_200600_302600_NS6detail15normal_iteratorINS9_10device_ptrIKxEEEESF_NSB_INSC_IxEEEEPS5_SI_SI_NS9_4lessIxEEEE10hipError_tPvRmT0_T1_T2_T3_T4_T5_mmT6_P12ihipStream_tbEUlT_E_NS1_11comp_targetILNS1_3genE8ELNS1_11target_archE1030ELNS1_3gpuE2ELNS1_3repE0EEENS1_30default_config_static_selectorELNS0_4arch9wavefront6targetE1EEEvSP_,@function
_ZN7rocprim17ROCPRIM_400000_NS6detail17trampoline_kernelINS0_14default_configENS1_21merge_config_selectorIxNS0_10empty_typeEEEZNS1_10merge_implIS3_N6thrust23THRUST_200600_302600_NS6detail15normal_iteratorINS9_10device_ptrIKxEEEESF_NSB_INSC_IxEEEEPS5_SI_SI_NS9_4lessIxEEEE10hipError_tPvRmT0_T1_T2_T3_T4_T5_mmT6_P12ihipStream_tbEUlT_E_NS1_11comp_targetILNS1_3genE8ELNS1_11target_archE1030ELNS1_3gpuE2ELNS1_3repE0EEENS1_30default_config_static_selectorELNS0_4arch9wavefront6targetE1EEEvSP_: ; @_ZN7rocprim17ROCPRIM_400000_NS6detail17trampoline_kernelINS0_14default_configENS1_21merge_config_selectorIxNS0_10empty_typeEEEZNS1_10merge_implIS3_N6thrust23THRUST_200600_302600_NS6detail15normal_iteratorINS9_10device_ptrIKxEEEESF_NSB_INSC_IxEEEEPS5_SI_SI_NS9_4lessIxEEEE10hipError_tPvRmT0_T1_T2_T3_T4_T5_mmT6_P12ihipStream_tbEUlT_E_NS1_11comp_targetILNS1_3genE8ELNS1_11target_archE1030ELNS1_3gpuE2ELNS1_3repE0EEENS1_30default_config_static_selectorELNS0_4arch9wavefront6targetE1EEEvSP_
; %bb.0:
	.section	.rodata,"a",@progbits
	.p2align	6, 0x0
	.amdhsa_kernel _ZN7rocprim17ROCPRIM_400000_NS6detail17trampoline_kernelINS0_14default_configENS1_21merge_config_selectorIxNS0_10empty_typeEEEZNS1_10merge_implIS3_N6thrust23THRUST_200600_302600_NS6detail15normal_iteratorINS9_10device_ptrIKxEEEESF_NSB_INSC_IxEEEEPS5_SI_SI_NS9_4lessIxEEEE10hipError_tPvRmT0_T1_T2_T3_T4_T5_mmT6_P12ihipStream_tbEUlT_E_NS1_11comp_targetILNS1_3genE8ELNS1_11target_archE1030ELNS1_3gpuE2ELNS1_3repE0EEENS1_30default_config_static_selectorELNS0_4arch9wavefront6targetE1EEEvSP_
		.amdhsa_group_segment_fixed_size 0
		.amdhsa_private_segment_fixed_size 0
		.amdhsa_kernarg_size 48
		.amdhsa_user_sgpr_count 6
		.amdhsa_user_sgpr_private_segment_buffer 1
		.amdhsa_user_sgpr_dispatch_ptr 0
		.amdhsa_user_sgpr_queue_ptr 0
		.amdhsa_user_sgpr_kernarg_segment_ptr 1
		.amdhsa_user_sgpr_dispatch_id 0
		.amdhsa_user_sgpr_flat_scratch_init 0
		.amdhsa_user_sgpr_kernarg_preload_length 0
		.amdhsa_user_sgpr_kernarg_preload_offset 0
		.amdhsa_user_sgpr_private_segment_size 0
		.amdhsa_uses_dynamic_stack 0
		.amdhsa_system_sgpr_private_segment_wavefront_offset 0
		.amdhsa_system_sgpr_workgroup_id_x 1
		.amdhsa_system_sgpr_workgroup_id_y 0
		.amdhsa_system_sgpr_workgroup_id_z 0
		.amdhsa_system_sgpr_workgroup_info 0
		.amdhsa_system_vgpr_workitem_id 0
		.amdhsa_next_free_vgpr 1
		.amdhsa_next_free_sgpr 0
		.amdhsa_accum_offset 4
		.amdhsa_reserve_vcc 0
		.amdhsa_reserve_flat_scratch 0
		.amdhsa_float_round_mode_32 0
		.amdhsa_float_round_mode_16_64 0
		.amdhsa_float_denorm_mode_32 3
		.amdhsa_float_denorm_mode_16_64 3
		.amdhsa_dx10_clamp 1
		.amdhsa_ieee_mode 1
		.amdhsa_fp16_overflow 0
		.amdhsa_tg_split 0
		.amdhsa_exception_fp_ieee_invalid_op 0
		.amdhsa_exception_fp_denorm_src 0
		.amdhsa_exception_fp_ieee_div_zero 0
		.amdhsa_exception_fp_ieee_overflow 0
		.amdhsa_exception_fp_ieee_underflow 0
		.amdhsa_exception_fp_ieee_inexact 0
		.amdhsa_exception_int_div_zero 0
	.end_amdhsa_kernel
	.section	.text._ZN7rocprim17ROCPRIM_400000_NS6detail17trampoline_kernelINS0_14default_configENS1_21merge_config_selectorIxNS0_10empty_typeEEEZNS1_10merge_implIS3_N6thrust23THRUST_200600_302600_NS6detail15normal_iteratorINS9_10device_ptrIKxEEEESF_NSB_INSC_IxEEEEPS5_SI_SI_NS9_4lessIxEEEE10hipError_tPvRmT0_T1_T2_T3_T4_T5_mmT6_P12ihipStream_tbEUlT_E_NS1_11comp_targetILNS1_3genE8ELNS1_11target_archE1030ELNS1_3gpuE2ELNS1_3repE0EEENS1_30default_config_static_selectorELNS0_4arch9wavefront6targetE1EEEvSP_,"axG",@progbits,_ZN7rocprim17ROCPRIM_400000_NS6detail17trampoline_kernelINS0_14default_configENS1_21merge_config_selectorIxNS0_10empty_typeEEEZNS1_10merge_implIS3_N6thrust23THRUST_200600_302600_NS6detail15normal_iteratorINS9_10device_ptrIKxEEEESF_NSB_INSC_IxEEEEPS5_SI_SI_NS9_4lessIxEEEE10hipError_tPvRmT0_T1_T2_T3_T4_T5_mmT6_P12ihipStream_tbEUlT_E_NS1_11comp_targetILNS1_3genE8ELNS1_11target_archE1030ELNS1_3gpuE2ELNS1_3repE0EEENS1_30default_config_static_selectorELNS0_4arch9wavefront6targetE1EEEvSP_,comdat
.Lfunc_end215:
	.size	_ZN7rocprim17ROCPRIM_400000_NS6detail17trampoline_kernelINS0_14default_configENS1_21merge_config_selectorIxNS0_10empty_typeEEEZNS1_10merge_implIS3_N6thrust23THRUST_200600_302600_NS6detail15normal_iteratorINS9_10device_ptrIKxEEEESF_NSB_INSC_IxEEEEPS5_SI_SI_NS9_4lessIxEEEE10hipError_tPvRmT0_T1_T2_T3_T4_T5_mmT6_P12ihipStream_tbEUlT_E_NS1_11comp_targetILNS1_3genE8ELNS1_11target_archE1030ELNS1_3gpuE2ELNS1_3repE0EEENS1_30default_config_static_selectorELNS0_4arch9wavefront6targetE1EEEvSP_, .Lfunc_end215-_ZN7rocprim17ROCPRIM_400000_NS6detail17trampoline_kernelINS0_14default_configENS1_21merge_config_selectorIxNS0_10empty_typeEEEZNS1_10merge_implIS3_N6thrust23THRUST_200600_302600_NS6detail15normal_iteratorINS9_10device_ptrIKxEEEESF_NSB_INSC_IxEEEEPS5_SI_SI_NS9_4lessIxEEEE10hipError_tPvRmT0_T1_T2_T3_T4_T5_mmT6_P12ihipStream_tbEUlT_E_NS1_11comp_targetILNS1_3genE8ELNS1_11target_archE1030ELNS1_3gpuE2ELNS1_3repE0EEENS1_30default_config_static_selectorELNS0_4arch9wavefront6targetE1EEEvSP_
                                        ; -- End function
	.section	.AMDGPU.csdata,"",@progbits
; Kernel info:
; codeLenInByte = 0
; NumSgprs: 4
; NumVgprs: 0
; NumAgprs: 0
; TotalNumVgprs: 0
; ScratchSize: 0
; MemoryBound: 0
; FloatMode: 240
; IeeeMode: 1
; LDSByteSize: 0 bytes/workgroup (compile time only)
; SGPRBlocks: 0
; VGPRBlocks: 0
; NumSGPRsForWavesPerEU: 4
; NumVGPRsForWavesPerEU: 1
; AccumOffset: 4
; Occupancy: 8
; WaveLimiterHint : 0
; COMPUTE_PGM_RSRC2:SCRATCH_EN: 0
; COMPUTE_PGM_RSRC2:USER_SGPR: 6
; COMPUTE_PGM_RSRC2:TRAP_HANDLER: 0
; COMPUTE_PGM_RSRC2:TGID_X_EN: 1
; COMPUTE_PGM_RSRC2:TGID_Y_EN: 0
; COMPUTE_PGM_RSRC2:TGID_Z_EN: 0
; COMPUTE_PGM_RSRC2:TIDIG_COMP_CNT: 0
; COMPUTE_PGM_RSRC3_GFX90A:ACCUM_OFFSET: 0
; COMPUTE_PGM_RSRC3_GFX90A:TG_SPLIT: 0
	.section	.text._ZN7rocprim17ROCPRIM_400000_NS6detail17trampoline_kernelINS0_14default_configENS1_21merge_config_selectorIxNS0_10empty_typeEEEZNS1_10merge_implIS3_N6thrust23THRUST_200600_302600_NS6detail15normal_iteratorINS9_10device_ptrIKxEEEESF_NSB_INSC_IxEEEEPS5_SI_SI_NS9_4lessIxEEEE10hipError_tPvRmT0_T1_T2_T3_T4_T5_mmT6_P12ihipStream_tbEUlT_E0_NS1_11comp_targetILNS1_3genE0ELNS1_11target_archE4294967295ELNS1_3gpuE0ELNS1_3repE0EEENS1_30default_config_static_selectorELNS0_4arch9wavefront6targetE1EEEvSP_,"axG",@progbits,_ZN7rocprim17ROCPRIM_400000_NS6detail17trampoline_kernelINS0_14default_configENS1_21merge_config_selectorIxNS0_10empty_typeEEEZNS1_10merge_implIS3_N6thrust23THRUST_200600_302600_NS6detail15normal_iteratorINS9_10device_ptrIKxEEEESF_NSB_INSC_IxEEEEPS5_SI_SI_NS9_4lessIxEEEE10hipError_tPvRmT0_T1_T2_T3_T4_T5_mmT6_P12ihipStream_tbEUlT_E0_NS1_11comp_targetILNS1_3genE0ELNS1_11target_archE4294967295ELNS1_3gpuE0ELNS1_3repE0EEENS1_30default_config_static_selectorELNS0_4arch9wavefront6targetE1EEEvSP_,comdat
	.protected	_ZN7rocprim17ROCPRIM_400000_NS6detail17trampoline_kernelINS0_14default_configENS1_21merge_config_selectorIxNS0_10empty_typeEEEZNS1_10merge_implIS3_N6thrust23THRUST_200600_302600_NS6detail15normal_iteratorINS9_10device_ptrIKxEEEESF_NSB_INSC_IxEEEEPS5_SI_SI_NS9_4lessIxEEEE10hipError_tPvRmT0_T1_T2_T3_T4_T5_mmT6_P12ihipStream_tbEUlT_E0_NS1_11comp_targetILNS1_3genE0ELNS1_11target_archE4294967295ELNS1_3gpuE0ELNS1_3repE0EEENS1_30default_config_static_selectorELNS0_4arch9wavefront6targetE1EEEvSP_ ; -- Begin function _ZN7rocprim17ROCPRIM_400000_NS6detail17trampoline_kernelINS0_14default_configENS1_21merge_config_selectorIxNS0_10empty_typeEEEZNS1_10merge_implIS3_N6thrust23THRUST_200600_302600_NS6detail15normal_iteratorINS9_10device_ptrIKxEEEESF_NSB_INSC_IxEEEEPS5_SI_SI_NS9_4lessIxEEEE10hipError_tPvRmT0_T1_T2_T3_T4_T5_mmT6_P12ihipStream_tbEUlT_E0_NS1_11comp_targetILNS1_3genE0ELNS1_11target_archE4294967295ELNS1_3gpuE0ELNS1_3repE0EEENS1_30default_config_static_selectorELNS0_4arch9wavefront6targetE1EEEvSP_
	.globl	_ZN7rocprim17ROCPRIM_400000_NS6detail17trampoline_kernelINS0_14default_configENS1_21merge_config_selectorIxNS0_10empty_typeEEEZNS1_10merge_implIS3_N6thrust23THRUST_200600_302600_NS6detail15normal_iteratorINS9_10device_ptrIKxEEEESF_NSB_INSC_IxEEEEPS5_SI_SI_NS9_4lessIxEEEE10hipError_tPvRmT0_T1_T2_T3_T4_T5_mmT6_P12ihipStream_tbEUlT_E0_NS1_11comp_targetILNS1_3genE0ELNS1_11target_archE4294967295ELNS1_3gpuE0ELNS1_3repE0EEENS1_30default_config_static_selectorELNS0_4arch9wavefront6targetE1EEEvSP_
	.p2align	8
	.type	_ZN7rocprim17ROCPRIM_400000_NS6detail17trampoline_kernelINS0_14default_configENS1_21merge_config_selectorIxNS0_10empty_typeEEEZNS1_10merge_implIS3_N6thrust23THRUST_200600_302600_NS6detail15normal_iteratorINS9_10device_ptrIKxEEEESF_NSB_INSC_IxEEEEPS5_SI_SI_NS9_4lessIxEEEE10hipError_tPvRmT0_T1_T2_T3_T4_T5_mmT6_P12ihipStream_tbEUlT_E0_NS1_11comp_targetILNS1_3genE0ELNS1_11target_archE4294967295ELNS1_3gpuE0ELNS1_3repE0EEENS1_30default_config_static_selectorELNS0_4arch9wavefront6targetE1EEEvSP_,@function
_ZN7rocprim17ROCPRIM_400000_NS6detail17trampoline_kernelINS0_14default_configENS1_21merge_config_selectorIxNS0_10empty_typeEEEZNS1_10merge_implIS3_N6thrust23THRUST_200600_302600_NS6detail15normal_iteratorINS9_10device_ptrIKxEEEESF_NSB_INSC_IxEEEEPS5_SI_SI_NS9_4lessIxEEEE10hipError_tPvRmT0_T1_T2_T3_T4_T5_mmT6_P12ihipStream_tbEUlT_E0_NS1_11comp_targetILNS1_3genE0ELNS1_11target_archE4294967295ELNS1_3gpuE0ELNS1_3repE0EEENS1_30default_config_static_selectorELNS0_4arch9wavefront6targetE1EEEvSP_: ; @_ZN7rocprim17ROCPRIM_400000_NS6detail17trampoline_kernelINS0_14default_configENS1_21merge_config_selectorIxNS0_10empty_typeEEEZNS1_10merge_implIS3_N6thrust23THRUST_200600_302600_NS6detail15normal_iteratorINS9_10device_ptrIKxEEEESF_NSB_INSC_IxEEEEPS5_SI_SI_NS9_4lessIxEEEE10hipError_tPvRmT0_T1_T2_T3_T4_T5_mmT6_P12ihipStream_tbEUlT_E0_NS1_11comp_targetILNS1_3genE0ELNS1_11target_archE4294967295ELNS1_3gpuE0ELNS1_3repE0EEENS1_30default_config_static_selectorELNS0_4arch9wavefront6targetE1EEEvSP_
; %bb.0:
	.section	.rodata,"a",@progbits
	.p2align	6, 0x0
	.amdhsa_kernel _ZN7rocprim17ROCPRIM_400000_NS6detail17trampoline_kernelINS0_14default_configENS1_21merge_config_selectorIxNS0_10empty_typeEEEZNS1_10merge_implIS3_N6thrust23THRUST_200600_302600_NS6detail15normal_iteratorINS9_10device_ptrIKxEEEESF_NSB_INSC_IxEEEEPS5_SI_SI_NS9_4lessIxEEEE10hipError_tPvRmT0_T1_T2_T3_T4_T5_mmT6_P12ihipStream_tbEUlT_E0_NS1_11comp_targetILNS1_3genE0ELNS1_11target_archE4294967295ELNS1_3gpuE0ELNS1_3repE0EEENS1_30default_config_static_selectorELNS0_4arch9wavefront6targetE1EEEvSP_
		.amdhsa_group_segment_fixed_size 0
		.amdhsa_private_segment_fixed_size 0
		.amdhsa_kernarg_size 88
		.amdhsa_user_sgpr_count 6
		.amdhsa_user_sgpr_private_segment_buffer 1
		.amdhsa_user_sgpr_dispatch_ptr 0
		.amdhsa_user_sgpr_queue_ptr 0
		.amdhsa_user_sgpr_kernarg_segment_ptr 1
		.amdhsa_user_sgpr_dispatch_id 0
		.amdhsa_user_sgpr_flat_scratch_init 0
		.amdhsa_user_sgpr_kernarg_preload_length 0
		.amdhsa_user_sgpr_kernarg_preload_offset 0
		.amdhsa_user_sgpr_private_segment_size 0
		.amdhsa_uses_dynamic_stack 0
		.amdhsa_system_sgpr_private_segment_wavefront_offset 0
		.amdhsa_system_sgpr_workgroup_id_x 1
		.amdhsa_system_sgpr_workgroup_id_y 0
		.amdhsa_system_sgpr_workgroup_id_z 0
		.amdhsa_system_sgpr_workgroup_info 0
		.amdhsa_system_vgpr_workitem_id 0
		.amdhsa_next_free_vgpr 1
		.amdhsa_next_free_sgpr 0
		.amdhsa_accum_offset 4
		.amdhsa_reserve_vcc 0
		.amdhsa_reserve_flat_scratch 0
		.amdhsa_float_round_mode_32 0
		.amdhsa_float_round_mode_16_64 0
		.amdhsa_float_denorm_mode_32 3
		.amdhsa_float_denorm_mode_16_64 3
		.amdhsa_dx10_clamp 1
		.amdhsa_ieee_mode 1
		.amdhsa_fp16_overflow 0
		.amdhsa_tg_split 0
		.amdhsa_exception_fp_ieee_invalid_op 0
		.amdhsa_exception_fp_denorm_src 0
		.amdhsa_exception_fp_ieee_div_zero 0
		.amdhsa_exception_fp_ieee_overflow 0
		.amdhsa_exception_fp_ieee_underflow 0
		.amdhsa_exception_fp_ieee_inexact 0
		.amdhsa_exception_int_div_zero 0
	.end_amdhsa_kernel
	.section	.text._ZN7rocprim17ROCPRIM_400000_NS6detail17trampoline_kernelINS0_14default_configENS1_21merge_config_selectorIxNS0_10empty_typeEEEZNS1_10merge_implIS3_N6thrust23THRUST_200600_302600_NS6detail15normal_iteratorINS9_10device_ptrIKxEEEESF_NSB_INSC_IxEEEEPS5_SI_SI_NS9_4lessIxEEEE10hipError_tPvRmT0_T1_T2_T3_T4_T5_mmT6_P12ihipStream_tbEUlT_E0_NS1_11comp_targetILNS1_3genE0ELNS1_11target_archE4294967295ELNS1_3gpuE0ELNS1_3repE0EEENS1_30default_config_static_selectorELNS0_4arch9wavefront6targetE1EEEvSP_,"axG",@progbits,_ZN7rocprim17ROCPRIM_400000_NS6detail17trampoline_kernelINS0_14default_configENS1_21merge_config_selectorIxNS0_10empty_typeEEEZNS1_10merge_implIS3_N6thrust23THRUST_200600_302600_NS6detail15normal_iteratorINS9_10device_ptrIKxEEEESF_NSB_INSC_IxEEEEPS5_SI_SI_NS9_4lessIxEEEE10hipError_tPvRmT0_T1_T2_T3_T4_T5_mmT6_P12ihipStream_tbEUlT_E0_NS1_11comp_targetILNS1_3genE0ELNS1_11target_archE4294967295ELNS1_3gpuE0ELNS1_3repE0EEENS1_30default_config_static_selectorELNS0_4arch9wavefront6targetE1EEEvSP_,comdat
.Lfunc_end216:
	.size	_ZN7rocprim17ROCPRIM_400000_NS6detail17trampoline_kernelINS0_14default_configENS1_21merge_config_selectorIxNS0_10empty_typeEEEZNS1_10merge_implIS3_N6thrust23THRUST_200600_302600_NS6detail15normal_iteratorINS9_10device_ptrIKxEEEESF_NSB_INSC_IxEEEEPS5_SI_SI_NS9_4lessIxEEEE10hipError_tPvRmT0_T1_T2_T3_T4_T5_mmT6_P12ihipStream_tbEUlT_E0_NS1_11comp_targetILNS1_3genE0ELNS1_11target_archE4294967295ELNS1_3gpuE0ELNS1_3repE0EEENS1_30default_config_static_selectorELNS0_4arch9wavefront6targetE1EEEvSP_, .Lfunc_end216-_ZN7rocprim17ROCPRIM_400000_NS6detail17trampoline_kernelINS0_14default_configENS1_21merge_config_selectorIxNS0_10empty_typeEEEZNS1_10merge_implIS3_N6thrust23THRUST_200600_302600_NS6detail15normal_iteratorINS9_10device_ptrIKxEEEESF_NSB_INSC_IxEEEEPS5_SI_SI_NS9_4lessIxEEEE10hipError_tPvRmT0_T1_T2_T3_T4_T5_mmT6_P12ihipStream_tbEUlT_E0_NS1_11comp_targetILNS1_3genE0ELNS1_11target_archE4294967295ELNS1_3gpuE0ELNS1_3repE0EEENS1_30default_config_static_selectorELNS0_4arch9wavefront6targetE1EEEvSP_
                                        ; -- End function
	.section	.AMDGPU.csdata,"",@progbits
; Kernel info:
; codeLenInByte = 0
; NumSgprs: 4
; NumVgprs: 0
; NumAgprs: 0
; TotalNumVgprs: 0
; ScratchSize: 0
; MemoryBound: 0
; FloatMode: 240
; IeeeMode: 1
; LDSByteSize: 0 bytes/workgroup (compile time only)
; SGPRBlocks: 0
; VGPRBlocks: 0
; NumSGPRsForWavesPerEU: 4
; NumVGPRsForWavesPerEU: 1
; AccumOffset: 4
; Occupancy: 8
; WaveLimiterHint : 0
; COMPUTE_PGM_RSRC2:SCRATCH_EN: 0
; COMPUTE_PGM_RSRC2:USER_SGPR: 6
; COMPUTE_PGM_RSRC2:TRAP_HANDLER: 0
; COMPUTE_PGM_RSRC2:TGID_X_EN: 1
; COMPUTE_PGM_RSRC2:TGID_Y_EN: 0
; COMPUTE_PGM_RSRC2:TGID_Z_EN: 0
; COMPUTE_PGM_RSRC2:TIDIG_COMP_CNT: 0
; COMPUTE_PGM_RSRC3_GFX90A:ACCUM_OFFSET: 0
; COMPUTE_PGM_RSRC3_GFX90A:TG_SPLIT: 0
	.section	.text._ZN7rocprim17ROCPRIM_400000_NS6detail17trampoline_kernelINS0_14default_configENS1_21merge_config_selectorIxNS0_10empty_typeEEEZNS1_10merge_implIS3_N6thrust23THRUST_200600_302600_NS6detail15normal_iteratorINS9_10device_ptrIKxEEEESF_NSB_INSC_IxEEEEPS5_SI_SI_NS9_4lessIxEEEE10hipError_tPvRmT0_T1_T2_T3_T4_T5_mmT6_P12ihipStream_tbEUlT_E0_NS1_11comp_targetILNS1_3genE5ELNS1_11target_archE942ELNS1_3gpuE9ELNS1_3repE0EEENS1_30default_config_static_selectorELNS0_4arch9wavefront6targetE1EEEvSP_,"axG",@progbits,_ZN7rocprim17ROCPRIM_400000_NS6detail17trampoline_kernelINS0_14default_configENS1_21merge_config_selectorIxNS0_10empty_typeEEEZNS1_10merge_implIS3_N6thrust23THRUST_200600_302600_NS6detail15normal_iteratorINS9_10device_ptrIKxEEEESF_NSB_INSC_IxEEEEPS5_SI_SI_NS9_4lessIxEEEE10hipError_tPvRmT0_T1_T2_T3_T4_T5_mmT6_P12ihipStream_tbEUlT_E0_NS1_11comp_targetILNS1_3genE5ELNS1_11target_archE942ELNS1_3gpuE9ELNS1_3repE0EEENS1_30default_config_static_selectorELNS0_4arch9wavefront6targetE1EEEvSP_,comdat
	.protected	_ZN7rocprim17ROCPRIM_400000_NS6detail17trampoline_kernelINS0_14default_configENS1_21merge_config_selectorIxNS0_10empty_typeEEEZNS1_10merge_implIS3_N6thrust23THRUST_200600_302600_NS6detail15normal_iteratorINS9_10device_ptrIKxEEEESF_NSB_INSC_IxEEEEPS5_SI_SI_NS9_4lessIxEEEE10hipError_tPvRmT0_T1_T2_T3_T4_T5_mmT6_P12ihipStream_tbEUlT_E0_NS1_11comp_targetILNS1_3genE5ELNS1_11target_archE942ELNS1_3gpuE9ELNS1_3repE0EEENS1_30default_config_static_selectorELNS0_4arch9wavefront6targetE1EEEvSP_ ; -- Begin function _ZN7rocprim17ROCPRIM_400000_NS6detail17trampoline_kernelINS0_14default_configENS1_21merge_config_selectorIxNS0_10empty_typeEEEZNS1_10merge_implIS3_N6thrust23THRUST_200600_302600_NS6detail15normal_iteratorINS9_10device_ptrIKxEEEESF_NSB_INSC_IxEEEEPS5_SI_SI_NS9_4lessIxEEEE10hipError_tPvRmT0_T1_T2_T3_T4_T5_mmT6_P12ihipStream_tbEUlT_E0_NS1_11comp_targetILNS1_3genE5ELNS1_11target_archE942ELNS1_3gpuE9ELNS1_3repE0EEENS1_30default_config_static_selectorELNS0_4arch9wavefront6targetE1EEEvSP_
	.globl	_ZN7rocprim17ROCPRIM_400000_NS6detail17trampoline_kernelINS0_14default_configENS1_21merge_config_selectorIxNS0_10empty_typeEEEZNS1_10merge_implIS3_N6thrust23THRUST_200600_302600_NS6detail15normal_iteratorINS9_10device_ptrIKxEEEESF_NSB_INSC_IxEEEEPS5_SI_SI_NS9_4lessIxEEEE10hipError_tPvRmT0_T1_T2_T3_T4_T5_mmT6_P12ihipStream_tbEUlT_E0_NS1_11comp_targetILNS1_3genE5ELNS1_11target_archE942ELNS1_3gpuE9ELNS1_3repE0EEENS1_30default_config_static_selectorELNS0_4arch9wavefront6targetE1EEEvSP_
	.p2align	8
	.type	_ZN7rocprim17ROCPRIM_400000_NS6detail17trampoline_kernelINS0_14default_configENS1_21merge_config_selectorIxNS0_10empty_typeEEEZNS1_10merge_implIS3_N6thrust23THRUST_200600_302600_NS6detail15normal_iteratorINS9_10device_ptrIKxEEEESF_NSB_INSC_IxEEEEPS5_SI_SI_NS9_4lessIxEEEE10hipError_tPvRmT0_T1_T2_T3_T4_T5_mmT6_P12ihipStream_tbEUlT_E0_NS1_11comp_targetILNS1_3genE5ELNS1_11target_archE942ELNS1_3gpuE9ELNS1_3repE0EEENS1_30default_config_static_selectorELNS0_4arch9wavefront6targetE1EEEvSP_,@function
_ZN7rocprim17ROCPRIM_400000_NS6detail17trampoline_kernelINS0_14default_configENS1_21merge_config_selectorIxNS0_10empty_typeEEEZNS1_10merge_implIS3_N6thrust23THRUST_200600_302600_NS6detail15normal_iteratorINS9_10device_ptrIKxEEEESF_NSB_INSC_IxEEEEPS5_SI_SI_NS9_4lessIxEEEE10hipError_tPvRmT0_T1_T2_T3_T4_T5_mmT6_P12ihipStream_tbEUlT_E0_NS1_11comp_targetILNS1_3genE5ELNS1_11target_archE942ELNS1_3gpuE9ELNS1_3repE0EEENS1_30default_config_static_selectorELNS0_4arch9wavefront6targetE1EEEvSP_: ; @_ZN7rocprim17ROCPRIM_400000_NS6detail17trampoline_kernelINS0_14default_configENS1_21merge_config_selectorIxNS0_10empty_typeEEEZNS1_10merge_implIS3_N6thrust23THRUST_200600_302600_NS6detail15normal_iteratorINS9_10device_ptrIKxEEEESF_NSB_INSC_IxEEEEPS5_SI_SI_NS9_4lessIxEEEE10hipError_tPvRmT0_T1_T2_T3_T4_T5_mmT6_P12ihipStream_tbEUlT_E0_NS1_11comp_targetILNS1_3genE5ELNS1_11target_archE942ELNS1_3gpuE9ELNS1_3repE0EEENS1_30default_config_static_selectorELNS0_4arch9wavefront6targetE1EEEvSP_
; %bb.0:
	.section	.rodata,"a",@progbits
	.p2align	6, 0x0
	.amdhsa_kernel _ZN7rocprim17ROCPRIM_400000_NS6detail17trampoline_kernelINS0_14default_configENS1_21merge_config_selectorIxNS0_10empty_typeEEEZNS1_10merge_implIS3_N6thrust23THRUST_200600_302600_NS6detail15normal_iteratorINS9_10device_ptrIKxEEEESF_NSB_INSC_IxEEEEPS5_SI_SI_NS9_4lessIxEEEE10hipError_tPvRmT0_T1_T2_T3_T4_T5_mmT6_P12ihipStream_tbEUlT_E0_NS1_11comp_targetILNS1_3genE5ELNS1_11target_archE942ELNS1_3gpuE9ELNS1_3repE0EEENS1_30default_config_static_selectorELNS0_4arch9wavefront6targetE1EEEvSP_
		.amdhsa_group_segment_fixed_size 0
		.amdhsa_private_segment_fixed_size 0
		.amdhsa_kernarg_size 88
		.amdhsa_user_sgpr_count 6
		.amdhsa_user_sgpr_private_segment_buffer 1
		.amdhsa_user_sgpr_dispatch_ptr 0
		.amdhsa_user_sgpr_queue_ptr 0
		.amdhsa_user_sgpr_kernarg_segment_ptr 1
		.amdhsa_user_sgpr_dispatch_id 0
		.amdhsa_user_sgpr_flat_scratch_init 0
		.amdhsa_user_sgpr_kernarg_preload_length 0
		.amdhsa_user_sgpr_kernarg_preload_offset 0
		.amdhsa_user_sgpr_private_segment_size 0
		.amdhsa_uses_dynamic_stack 0
		.amdhsa_system_sgpr_private_segment_wavefront_offset 0
		.amdhsa_system_sgpr_workgroup_id_x 1
		.amdhsa_system_sgpr_workgroup_id_y 0
		.amdhsa_system_sgpr_workgroup_id_z 0
		.amdhsa_system_sgpr_workgroup_info 0
		.amdhsa_system_vgpr_workitem_id 0
		.amdhsa_next_free_vgpr 1
		.amdhsa_next_free_sgpr 0
		.amdhsa_accum_offset 4
		.amdhsa_reserve_vcc 0
		.amdhsa_reserve_flat_scratch 0
		.amdhsa_float_round_mode_32 0
		.amdhsa_float_round_mode_16_64 0
		.amdhsa_float_denorm_mode_32 3
		.amdhsa_float_denorm_mode_16_64 3
		.amdhsa_dx10_clamp 1
		.amdhsa_ieee_mode 1
		.amdhsa_fp16_overflow 0
		.amdhsa_tg_split 0
		.amdhsa_exception_fp_ieee_invalid_op 0
		.amdhsa_exception_fp_denorm_src 0
		.amdhsa_exception_fp_ieee_div_zero 0
		.amdhsa_exception_fp_ieee_overflow 0
		.amdhsa_exception_fp_ieee_underflow 0
		.amdhsa_exception_fp_ieee_inexact 0
		.amdhsa_exception_int_div_zero 0
	.end_amdhsa_kernel
	.section	.text._ZN7rocprim17ROCPRIM_400000_NS6detail17trampoline_kernelINS0_14default_configENS1_21merge_config_selectorIxNS0_10empty_typeEEEZNS1_10merge_implIS3_N6thrust23THRUST_200600_302600_NS6detail15normal_iteratorINS9_10device_ptrIKxEEEESF_NSB_INSC_IxEEEEPS5_SI_SI_NS9_4lessIxEEEE10hipError_tPvRmT0_T1_T2_T3_T4_T5_mmT6_P12ihipStream_tbEUlT_E0_NS1_11comp_targetILNS1_3genE5ELNS1_11target_archE942ELNS1_3gpuE9ELNS1_3repE0EEENS1_30default_config_static_selectorELNS0_4arch9wavefront6targetE1EEEvSP_,"axG",@progbits,_ZN7rocprim17ROCPRIM_400000_NS6detail17trampoline_kernelINS0_14default_configENS1_21merge_config_selectorIxNS0_10empty_typeEEEZNS1_10merge_implIS3_N6thrust23THRUST_200600_302600_NS6detail15normal_iteratorINS9_10device_ptrIKxEEEESF_NSB_INSC_IxEEEEPS5_SI_SI_NS9_4lessIxEEEE10hipError_tPvRmT0_T1_T2_T3_T4_T5_mmT6_P12ihipStream_tbEUlT_E0_NS1_11comp_targetILNS1_3genE5ELNS1_11target_archE942ELNS1_3gpuE9ELNS1_3repE0EEENS1_30default_config_static_selectorELNS0_4arch9wavefront6targetE1EEEvSP_,comdat
.Lfunc_end217:
	.size	_ZN7rocprim17ROCPRIM_400000_NS6detail17trampoline_kernelINS0_14default_configENS1_21merge_config_selectorIxNS0_10empty_typeEEEZNS1_10merge_implIS3_N6thrust23THRUST_200600_302600_NS6detail15normal_iteratorINS9_10device_ptrIKxEEEESF_NSB_INSC_IxEEEEPS5_SI_SI_NS9_4lessIxEEEE10hipError_tPvRmT0_T1_T2_T3_T4_T5_mmT6_P12ihipStream_tbEUlT_E0_NS1_11comp_targetILNS1_3genE5ELNS1_11target_archE942ELNS1_3gpuE9ELNS1_3repE0EEENS1_30default_config_static_selectorELNS0_4arch9wavefront6targetE1EEEvSP_, .Lfunc_end217-_ZN7rocprim17ROCPRIM_400000_NS6detail17trampoline_kernelINS0_14default_configENS1_21merge_config_selectorIxNS0_10empty_typeEEEZNS1_10merge_implIS3_N6thrust23THRUST_200600_302600_NS6detail15normal_iteratorINS9_10device_ptrIKxEEEESF_NSB_INSC_IxEEEEPS5_SI_SI_NS9_4lessIxEEEE10hipError_tPvRmT0_T1_T2_T3_T4_T5_mmT6_P12ihipStream_tbEUlT_E0_NS1_11comp_targetILNS1_3genE5ELNS1_11target_archE942ELNS1_3gpuE9ELNS1_3repE0EEENS1_30default_config_static_selectorELNS0_4arch9wavefront6targetE1EEEvSP_
                                        ; -- End function
	.section	.AMDGPU.csdata,"",@progbits
; Kernel info:
; codeLenInByte = 0
; NumSgprs: 4
; NumVgprs: 0
; NumAgprs: 0
; TotalNumVgprs: 0
; ScratchSize: 0
; MemoryBound: 0
; FloatMode: 240
; IeeeMode: 1
; LDSByteSize: 0 bytes/workgroup (compile time only)
; SGPRBlocks: 0
; VGPRBlocks: 0
; NumSGPRsForWavesPerEU: 4
; NumVGPRsForWavesPerEU: 1
; AccumOffset: 4
; Occupancy: 8
; WaveLimiterHint : 0
; COMPUTE_PGM_RSRC2:SCRATCH_EN: 0
; COMPUTE_PGM_RSRC2:USER_SGPR: 6
; COMPUTE_PGM_RSRC2:TRAP_HANDLER: 0
; COMPUTE_PGM_RSRC2:TGID_X_EN: 1
; COMPUTE_PGM_RSRC2:TGID_Y_EN: 0
; COMPUTE_PGM_RSRC2:TGID_Z_EN: 0
; COMPUTE_PGM_RSRC2:TIDIG_COMP_CNT: 0
; COMPUTE_PGM_RSRC3_GFX90A:ACCUM_OFFSET: 0
; COMPUTE_PGM_RSRC3_GFX90A:TG_SPLIT: 0
	.section	.text._ZN7rocprim17ROCPRIM_400000_NS6detail17trampoline_kernelINS0_14default_configENS1_21merge_config_selectorIxNS0_10empty_typeEEEZNS1_10merge_implIS3_N6thrust23THRUST_200600_302600_NS6detail15normal_iteratorINS9_10device_ptrIKxEEEESF_NSB_INSC_IxEEEEPS5_SI_SI_NS9_4lessIxEEEE10hipError_tPvRmT0_T1_T2_T3_T4_T5_mmT6_P12ihipStream_tbEUlT_E0_NS1_11comp_targetILNS1_3genE4ELNS1_11target_archE910ELNS1_3gpuE8ELNS1_3repE0EEENS1_30default_config_static_selectorELNS0_4arch9wavefront6targetE1EEEvSP_,"axG",@progbits,_ZN7rocprim17ROCPRIM_400000_NS6detail17trampoline_kernelINS0_14default_configENS1_21merge_config_selectorIxNS0_10empty_typeEEEZNS1_10merge_implIS3_N6thrust23THRUST_200600_302600_NS6detail15normal_iteratorINS9_10device_ptrIKxEEEESF_NSB_INSC_IxEEEEPS5_SI_SI_NS9_4lessIxEEEE10hipError_tPvRmT0_T1_T2_T3_T4_T5_mmT6_P12ihipStream_tbEUlT_E0_NS1_11comp_targetILNS1_3genE4ELNS1_11target_archE910ELNS1_3gpuE8ELNS1_3repE0EEENS1_30default_config_static_selectorELNS0_4arch9wavefront6targetE1EEEvSP_,comdat
	.protected	_ZN7rocprim17ROCPRIM_400000_NS6detail17trampoline_kernelINS0_14default_configENS1_21merge_config_selectorIxNS0_10empty_typeEEEZNS1_10merge_implIS3_N6thrust23THRUST_200600_302600_NS6detail15normal_iteratorINS9_10device_ptrIKxEEEESF_NSB_INSC_IxEEEEPS5_SI_SI_NS9_4lessIxEEEE10hipError_tPvRmT0_T1_T2_T3_T4_T5_mmT6_P12ihipStream_tbEUlT_E0_NS1_11comp_targetILNS1_3genE4ELNS1_11target_archE910ELNS1_3gpuE8ELNS1_3repE0EEENS1_30default_config_static_selectorELNS0_4arch9wavefront6targetE1EEEvSP_ ; -- Begin function _ZN7rocprim17ROCPRIM_400000_NS6detail17trampoline_kernelINS0_14default_configENS1_21merge_config_selectorIxNS0_10empty_typeEEEZNS1_10merge_implIS3_N6thrust23THRUST_200600_302600_NS6detail15normal_iteratorINS9_10device_ptrIKxEEEESF_NSB_INSC_IxEEEEPS5_SI_SI_NS9_4lessIxEEEE10hipError_tPvRmT0_T1_T2_T3_T4_T5_mmT6_P12ihipStream_tbEUlT_E0_NS1_11comp_targetILNS1_3genE4ELNS1_11target_archE910ELNS1_3gpuE8ELNS1_3repE0EEENS1_30default_config_static_selectorELNS0_4arch9wavefront6targetE1EEEvSP_
	.globl	_ZN7rocprim17ROCPRIM_400000_NS6detail17trampoline_kernelINS0_14default_configENS1_21merge_config_selectorIxNS0_10empty_typeEEEZNS1_10merge_implIS3_N6thrust23THRUST_200600_302600_NS6detail15normal_iteratorINS9_10device_ptrIKxEEEESF_NSB_INSC_IxEEEEPS5_SI_SI_NS9_4lessIxEEEE10hipError_tPvRmT0_T1_T2_T3_T4_T5_mmT6_P12ihipStream_tbEUlT_E0_NS1_11comp_targetILNS1_3genE4ELNS1_11target_archE910ELNS1_3gpuE8ELNS1_3repE0EEENS1_30default_config_static_selectorELNS0_4arch9wavefront6targetE1EEEvSP_
	.p2align	8
	.type	_ZN7rocprim17ROCPRIM_400000_NS6detail17trampoline_kernelINS0_14default_configENS1_21merge_config_selectorIxNS0_10empty_typeEEEZNS1_10merge_implIS3_N6thrust23THRUST_200600_302600_NS6detail15normal_iteratorINS9_10device_ptrIKxEEEESF_NSB_INSC_IxEEEEPS5_SI_SI_NS9_4lessIxEEEE10hipError_tPvRmT0_T1_T2_T3_T4_T5_mmT6_P12ihipStream_tbEUlT_E0_NS1_11comp_targetILNS1_3genE4ELNS1_11target_archE910ELNS1_3gpuE8ELNS1_3repE0EEENS1_30default_config_static_selectorELNS0_4arch9wavefront6targetE1EEEvSP_,@function
_ZN7rocprim17ROCPRIM_400000_NS6detail17trampoline_kernelINS0_14default_configENS1_21merge_config_selectorIxNS0_10empty_typeEEEZNS1_10merge_implIS3_N6thrust23THRUST_200600_302600_NS6detail15normal_iteratorINS9_10device_ptrIKxEEEESF_NSB_INSC_IxEEEEPS5_SI_SI_NS9_4lessIxEEEE10hipError_tPvRmT0_T1_T2_T3_T4_T5_mmT6_P12ihipStream_tbEUlT_E0_NS1_11comp_targetILNS1_3genE4ELNS1_11target_archE910ELNS1_3gpuE8ELNS1_3repE0EEENS1_30default_config_static_selectorELNS0_4arch9wavefront6targetE1EEEvSP_: ; @_ZN7rocprim17ROCPRIM_400000_NS6detail17trampoline_kernelINS0_14default_configENS1_21merge_config_selectorIxNS0_10empty_typeEEEZNS1_10merge_implIS3_N6thrust23THRUST_200600_302600_NS6detail15normal_iteratorINS9_10device_ptrIKxEEEESF_NSB_INSC_IxEEEEPS5_SI_SI_NS9_4lessIxEEEE10hipError_tPvRmT0_T1_T2_T3_T4_T5_mmT6_P12ihipStream_tbEUlT_E0_NS1_11comp_targetILNS1_3genE4ELNS1_11target_archE910ELNS1_3gpuE8ELNS1_3repE0EEENS1_30default_config_static_selectorELNS0_4arch9wavefront6targetE1EEEvSP_
; %bb.0:
	s_load_dwordx4 s[0:3], s[4:5], 0x40
	s_load_dwordx8 s[8:15], s[4:5], 0x8
	s_lshl_b32 s16, s6, 10
	s_mov_b32 s7, 0
	s_waitcnt lgkmcnt(0)
	s_mov_b32 s3, s7
	s_add_i32 s17, s2, s0
	s_add_i32 s0, s17, 0x3ff
	s_lshr_b32 s0, s0, 10
	s_min_u32 s1, s6, s0
	s_lshl_b32 s1, s1, 2
	s_add_i32 s6, s6, 1
	s_min_u32 s0, s6, s0
	s_load_dword s6, s[8:9], s1 offset:0x0
	s_lshl_b32 s0, s0, 2
	s_load_dword s8, s[8:9], s0 offset:0x0
	s_add_i32 s0, s16, 0x400
	s_min_u32 s9, s17, s0
	s_waitcnt lgkmcnt(0)
	s_sub_i32 s2, s16, s6
	s_lshl_b64 s[0:1], s[6:7], 3
	s_add_u32 s0, s10, s0
	s_addc_u32 s1, s11, s1
	s_lshl_b64 s[4:5], s[2:3], 3
	s_add_u32 s11, s12, s4
	s_addc_u32 s12, s13, s5
	s_add_i32 s2, s2, s8
	s_sub_i32 s6, s8, s6
	s_sub_i32 s10, s9, s2
	s_add_u32 s2, s10, s6
	s_addc_u32 s3, 0, 0
	v_mov_b32_e32 v1, 0
	v_cmp_le_u32_e32 vcc, s6, v0
	s_and_saveexec_b64 s[4:5], vcc
	s_xor_b64 s[4:5], exec, s[4:5]
	s_cbranch_execz .LBB218_4
; %bb.1:
	v_cmp_gt_u64_e32 vcc, s[2:3], v[0:1]
	s_and_saveexec_b64 s[8:9], vcc
	s_cbranch_execz .LBB218_3
; %bb.2:
	v_mov_b32_e32 v1, s7
	v_subrev_co_u32_e32 v2, vcc, s6, v0
	v_subb_co_u32_e32 v3, vcc, 0, v1, vcc
	v_lshlrev_b64 v[2:3], 3, v[2:3]
	v_mov_b32_e32 v1, s12
	v_add_co_u32_e32 v2, vcc, s11, v2
	v_addc_co_u32_e32 v3, vcc, v1, v3, vcc
	global_load_dwordx2 v[2:3], v[2:3], off
	v_lshlrev_b32_e32 v1, 3, v0
	s_waitcnt vmcnt(0)
	ds_write_b64 v1, v[2:3]
.LBB218_3:
	s_or_b64 exec, exec, s[8:9]
.LBB218_4:
	s_or_saveexec_b64 s[4:5], s[4:5]
	v_lshlrev_b32_e32 v1, 3, v0
	s_xor_b64 exec, exec, s[4:5]
	s_cbranch_execz .LBB218_6
; %bb.5:
	global_load_dwordx2 v[2:3], v1, s[0:1]
	s_waitcnt vmcnt(0)
	ds_write_b64 v1, v[2:3]
.LBB218_6:
	s_or_b64 exec, exec, s[4:5]
	v_or_b32_e32 v10, 0x100, v0
	v_mov_b32_e32 v11, 0
	v_cmp_le_u32_e32 vcc, s6, v10
	s_and_saveexec_b64 s[4:5], vcc
	s_xor_b64 s[4:5], exec, s[4:5]
	s_cbranch_execz .LBB218_10
; %bb.7:
	v_cmp_gt_u64_e32 vcc, s[2:3], v[10:11]
	s_and_saveexec_b64 s[8:9], vcc
	s_cbranch_execz .LBB218_9
; %bb.8:
	v_mov_b32_e32 v3, s7
	v_subrev_co_u32_e32 v2, vcc, s6, v0
	v_subb_co_u32_e32 v3, vcc, 0, v3, vcc
	v_lshlrev_b64 v[2:3], 3, v[2:3]
	v_mov_b32_e32 v4, s12
	v_add_co_u32_e32 v2, vcc, s11, v2
	v_addc_co_u32_e32 v3, vcc, v4, v3, vcc
	global_load_dwordx2 v[2:3], v[2:3], off offset:2048
	s_waitcnt vmcnt(0)
	ds_write_b64 v1, v[2:3] offset:2048
.LBB218_9:
	s_or_b64 exec, exec, s[8:9]
.LBB218_10:
	s_andn2_saveexec_b64 s[4:5], s[4:5]
	s_cbranch_execz .LBB218_12
; %bb.11:
	global_load_dwordx2 v[2:3], v1, s[0:1] offset:2048
	s_waitcnt vmcnt(0)
	ds_write_b64 v1, v[2:3] offset:2048
.LBB218_12:
	s_or_b64 exec, exec, s[4:5]
	v_or_b32_e32 v12, 0x200, v0
	v_mov_b32_e32 v13, 0
	v_cmp_le_u32_e32 vcc, s6, v12
	s_and_saveexec_b64 s[4:5], vcc
	s_xor_b64 s[4:5], exec, s[4:5]
	s_cbranch_execz .LBB218_16
; %bb.13:
	v_cmp_gt_u64_e32 vcc, s[2:3], v[12:13]
	s_and_saveexec_b64 s[8:9], vcc
	s_cbranch_execz .LBB218_15
; %bb.14:
	v_mov_b32_e32 v3, s7
	v_subrev_co_u32_e32 v2, vcc, s6, v12
	v_subb_co_u32_e32 v3, vcc, 0, v3, vcc
	v_lshlrev_b64 v[2:3], 3, v[2:3]
	v_mov_b32_e32 v4, s12
	v_add_co_u32_e32 v2, vcc, s11, v2
	v_addc_co_u32_e32 v3, vcc, v4, v3, vcc
	global_load_dwordx2 v[2:3], v[2:3], off
	s_waitcnt vmcnt(0)
	ds_write_b64 v1, v[2:3] offset:4096
.LBB218_15:
	s_or_b64 exec, exec, s[8:9]
.LBB218_16:
	s_andn2_saveexec_b64 s[4:5], s[4:5]
	s_cbranch_execz .LBB218_18
; %bb.17:
	v_lshlrev_b32_e32 v2, 3, v12
	global_load_dwordx2 v[2:3], v2, s[0:1]
	s_waitcnt vmcnt(0)
	ds_write_b64 v1, v[2:3] offset:4096
.LBB218_18:
	s_or_b64 exec, exec, s[4:5]
	v_or_b32_e32 v14, 0x300, v0
	v_mov_b32_e32 v15, 0
	v_cmp_le_u32_e32 vcc, s6, v14
	s_and_saveexec_b64 s[4:5], vcc
	s_xor_b64 s[4:5], exec, s[4:5]
	s_cbranch_execz .LBB218_22
; %bb.19:
	v_cmp_gt_u64_e32 vcc, s[2:3], v[14:15]
	s_and_saveexec_b64 s[2:3], vcc
	s_cbranch_execz .LBB218_21
; %bb.20:
	v_mov_b32_e32 v3, s7
	v_subrev_co_u32_e32 v2, vcc, s6, v14
	v_subb_co_u32_e32 v3, vcc, 0, v3, vcc
	v_lshlrev_b64 v[2:3], 3, v[2:3]
	v_mov_b32_e32 v4, s12
	v_add_co_u32_e32 v2, vcc, s11, v2
	v_addc_co_u32_e32 v3, vcc, v4, v3, vcc
	global_load_dwordx2 v[2:3], v[2:3], off
	s_waitcnt vmcnt(0)
	ds_write_b64 v1, v[2:3] offset:6144
.LBB218_21:
	s_or_b64 exec, exec, s[2:3]
.LBB218_22:
	s_andn2_saveexec_b64 s[2:3], s[4:5]
	s_cbranch_execz .LBB218_24
; %bb.23:
	v_lshlrev_b32_e32 v2, 3, v14
	global_load_dwordx2 v[2:3], v2, s[0:1]
	s_waitcnt vmcnt(0)
	ds_write_b64 v1, v[2:3] offset:6144
.LBB218_24:
	s_or_b64 exec, exec, s[2:3]
	v_lshlrev_b32_e32 v11, 2, v0
	v_sub_u32_e64 v13, v11, s10 clamp
	v_min_u32_e32 v2, s6, v11
	v_cmp_lt_u32_e32 vcc, v13, v2
	s_waitcnt lgkmcnt(0)
	s_barrier
	s_and_saveexec_b64 s[0:1], vcc
	s_cbranch_execz .LBB218_28
; %bb.25:
	v_lshlrev_b32_e32 v3, 3, v11
	v_lshl_add_u32 v3, s6, 3, v3
	s_mov_b64 s[2:3], 0
.LBB218_26:                             ; =>This Inner Loop Header: Depth=1
	v_add_u32_e32 v4, v2, v13
	v_lshrrev_b32_e32 v8, 1, v4
	v_not_b32_e32 v4, v8
	v_lshlrev_b32_e32 v5, 3, v8
	v_lshl_add_u32 v6, v4, 3, v3
	ds_read_b64 v[4:5], v5
	ds_read_b64 v[6:7], v6
	v_add_u32_e32 v9, 1, v8
	s_waitcnt lgkmcnt(0)
	v_cmp_lt_i64_e32 vcc, v[6:7], v[4:5]
	v_cndmask_b32_e32 v2, v2, v8, vcc
	v_cndmask_b32_e32 v13, v9, v13, vcc
	v_cmp_ge_u32_e32 vcc, v13, v2
	s_or_b64 s[2:3], vcc, s[2:3]
	s_andn2_b64 exec, exec, s[2:3]
	s_cbranch_execnz .LBB218_26
; %bb.27:
	s_or_b64 exec, exec, s[2:3]
.LBB218_28:
	s_or_b64 exec, exec, s[0:1]
	v_add_u32_e32 v2, s6, v11
	s_add_i32 s7, s10, s6
	v_sub_u32_e32 v15, v2, v13
	v_cmp_ge_u32_e32 vcc, s6, v13
	v_cmp_ge_u32_e64 s[0:1], s7, v15
	s_or_b64 s[0:1], vcc, s[0:1]
                                        ; implicit-def: $vgpr18_vgpr19
                                        ; implicit-def: $vgpr16_vgpr17
	s_and_saveexec_b64 s[8:9], s[0:1]
                                        ; implicit-def: $vgpr6_vgpr7_vgpr8_vgpr9
                                        ; implicit-def: $vgpr2_vgpr3_vgpr4_vgpr5
	s_cbranch_execz .LBB218_34
; %bb.29:
	v_cmp_gt_u32_e32 vcc, s6, v13
                                        ; implicit-def: $vgpr2_vgpr3
	s_and_saveexec_b64 s[0:1], vcc
	s_cbranch_execz .LBB218_31
; %bb.30:
	v_lshlrev_b32_e32 v2, 3, v13
	ds_read_b64 v[2:3], v2
.LBB218_31:
	s_or_b64 exec, exec, s[0:1]
	v_cmp_le_u32_e64 s[0:1], s7, v15
	v_cmp_gt_u32_e64 s[2:3], s7, v15
                                        ; implicit-def: $vgpr4_vgpr5
	s_and_saveexec_b64 s[4:5], s[2:3]
	s_cbranch_execz .LBB218_33
; %bb.32:
	v_lshlrev_b32_e32 v4, 3, v15
	ds_read_b64 v[4:5], v4
.LBB218_33:
	s_or_b64 exec, exec, s[4:5]
	s_waitcnt lgkmcnt(0)
	v_cmp_ge_i64_e64 s[2:3], v[4:5], v[2:3]
	s_and_b64 s[2:3], vcc, s[2:3]
	s_or_b64 vcc, s[0:1], s[2:3]
	v_mov_b32_e32 v20, s7
	v_mov_b32_e32 v21, s6
	v_cndmask_b32_e32 v6, v15, v13, vcc
	v_cndmask_b32_e32 v7, v20, v21, vcc
	v_add_u32_e32 v16, 1, v6
	v_add_u32_e32 v6, -1, v7
	v_min_u32_e32 v6, v16, v6
	v_lshlrev_b32_e32 v6, 3, v6
	ds_read_b64 v[6:7], v6
	v_cndmask_b32_e32 v13, v13, v16, vcc
	v_cndmask_b32_e32 v15, v16, v15, vcc
	v_cmp_gt_u32_e64 s[2:3], s6, v13
	v_cmp_le_u32_e64 s[0:1], s7, v15
	s_waitcnt lgkmcnt(0)
	v_cndmask_b32_e32 v9, v7, v5, vcc
	v_cndmask_b32_e32 v8, v6, v4, vcc
	;; [unrolled: 1-line block ×4, first 2 shown]
	v_cmp_ge_i64_e64 s[4:5], v[8:9], v[6:7]
	s_and_b64 s[2:3], s[2:3], s[4:5]
	s_or_b64 s[0:1], s[0:1], s[2:3]
	v_cndmask_b32_e64 v16, v15, v13, s[0:1]
	v_cndmask_b32_e64 v17, v20, v21, s[0:1]
	v_add_u32_e32 v22, 1, v16
	v_add_u32_e32 v16, -1, v17
	v_min_u32_e32 v16, v22, v16
	v_lshlrev_b32_e32 v16, 3, v16
	ds_read_b64 v[16:17], v16
	v_cndmask_b32_e32 v3, v5, v3, vcc
	v_cndmask_b32_e32 v2, v4, v2, vcc
	v_cndmask_b32_e64 v13, v13, v22, s[0:1]
	v_cndmask_b32_e64 v15, v22, v15, s[0:1]
	s_waitcnt lgkmcnt(0)
	v_cndmask_b32_e64 v5, v17, v9, s[0:1]
	v_cndmask_b32_e64 v4, v16, v8, s[0:1]
	;; [unrolled: 1-line block ×4, first 2 shown]
	v_cmp_gt_u32_e64 s[2:3], s6, v13
	v_cmp_ge_i64_e64 s[4:5], v[4:5], v[18:19]
	v_cmp_le_u32_e32 vcc, s7, v15
	s_and_b64 s[2:3], s[2:3], s[4:5]
	s_or_b64 vcc, vcc, s[2:3]
	v_cndmask_b32_e32 v16, v15, v13, vcc
	v_cndmask_b32_e32 v17, v20, v21, vcc
	v_add_u32_e32 v22, 1, v16
	v_add_u32_e32 v16, -1, v17
	v_min_u32_e32 v16, v22, v16
	v_lshlrev_b32_e32 v16, 3, v16
	ds_read_b64 v[20:21], v16
	v_cndmask_b32_e64 v17, v9, v7, s[0:1]
	v_cndmask_b32_e64 v16, v8, v6, s[0:1]
	v_cndmask_b32_e32 v7, v5, v19, vcc
	v_cndmask_b32_e32 v6, v4, v18, vcc
	s_waitcnt lgkmcnt(0)
	v_cndmask_b32_e32 v5, v21, v5, vcc
	v_cndmask_b32_e32 v4, v20, v4, vcc
	;; [unrolled: 1-line block ×6, first 2 shown]
	v_cmp_gt_u32_e64 s[0:1], s6, v13
	v_cmp_ge_i64_e64 s[2:3], v[4:5], v[8:9]
	v_cmp_le_u32_e32 vcc, s7, v15
	s_and_b64 s[0:1], s[0:1], s[2:3]
	s_or_b64 vcc, vcc, s[0:1]
	v_cndmask_b32_e32 v19, v5, v9, vcc
	v_cndmask_b32_e32 v18, v4, v8, vcc
.LBB218_34:
	s_or_b64 exec, exec, s[8:9]
	s_sub_i32 s6, s17, s16
	s_mov_b32 s17, 0
	s_lshl_b64 s[0:1], s[16:17], 3
	s_add_u32 s0, s14, s0
	v_and_b32_e32 v4, 0xf8, v0
	s_addc_u32 s1, s15, s1
	v_lshl_add_u32 v4, v11, 3, v4
	s_cmpk_gt_u32 s6, 0x3ff
	s_barrier
	ds_write2_b64 v4, v[2:3], v[16:17] offset1:1
	ds_write2_b64 v4, v[6:7], v[18:19] offset0:2 offset1:3
	v_lshrrev_b32_e32 v6, 5, v10
	v_lshrrev_b32_e32 v5, 5, v12
	;; [unrolled: 1-line block ×3, first 2 shown]
	s_waitcnt lgkmcnt(0)
	s_cbranch_scc0 .LBB218_36
; %bb.35:
	v_lshrrev_b32_e32 v2, 5, v0
	v_add_lshl_u32 v2, v2, v0, 3
	v_add_lshl_u32 v3, v6, v0, 3
	s_barrier
	v_add_lshl_u32 v7, v5, v0, 3
	v_add_lshl_u32 v11, v4, v0, 3
	ds_read_b64 v[8:9], v2
	ds_read_b64 v[16:17], v3 offset:2048
	ds_read_b64 v[18:19], v7 offset:4096
	;; [unrolled: 1-line block ×3, first 2 shown]
	v_mov_b32_e32 v7, s1
	v_add_co_u32_e32 v11, vcc, s0, v1
	v_addc_co_u32_e32 v7, vcc, 0, v7, vcc
	s_waitcnt lgkmcnt(3)
	global_store_dwordx2 v1, v[8:9], s[0:1]
	s_waitcnt lgkmcnt(2)
	global_store_dwordx2 v1, v[16:17], s[0:1] offset:2048
	v_add_co_u32_e32 v8, vcc, 0x1000, v11
	v_addc_co_u32_e32 v9, vcc, 0, v7, vcc
	s_waitcnt lgkmcnt(1)
	global_store_dwordx2 v[8:9], v[18:19], off
	s_mov_b64 s[2:3], -1
	s_cbranch_execz .LBB218_37
	s_branch .LBB218_42
.LBB218_36:
	s_mov_b64 s[2:3], 0
                                        ; implicit-def: $vgpr2_vgpr3
.LBB218_37:
	s_waitcnt lgkmcnt(0)
	v_add_lshl_u32 v2, v6, v0, 3
	v_add_lshl_u32 v3, v5, v0, 3
	s_barrier
	v_add_lshl_u32 v6, v4, v0, 3
	ds_read_b64 v[8:9], v2 offset:2048
	ds_read_b64 v[4:5], v3 offset:4096
	;; [unrolled: 1-line block ×3, first 2 shown]
	v_mov_b32_e32 v7, s1
	v_add_co_u32_e32 v6, vcc, s0, v1
	v_addc_co_u32_e32 v7, vcc, 0, v7, vcc
	v_cmp_gt_u32_e32 vcc, s6, v0
	s_and_saveexec_b64 s[2:3], vcc
	s_cbranch_execnz .LBB218_45
; %bb.38:
	s_or_b64 exec, exec, s[2:3]
	v_cmp_gt_u32_e32 vcc, s6, v10
	s_and_saveexec_b64 s[2:3], vcc
	s_cbranch_execnz .LBB218_46
.LBB218_39:
	s_or_b64 exec, exec, s[2:3]
	v_cmp_gt_u32_e32 vcc, s6, v12
	s_and_saveexec_b64 s[2:3], vcc
	s_cbranch_execz .LBB218_41
.LBB218_40:
	v_add_co_u32_e32 v6, vcc, 0x1000, v6
	v_addc_co_u32_e32 v7, vcc, 0, v7, vcc
	s_waitcnt lgkmcnt(1)
	global_store_dwordx2 v[6:7], v[4:5], off
.LBB218_41:
	s_or_b64 exec, exec, s[2:3]
	v_cmp_gt_u32_e64 s[2:3], s6, v14
.LBB218_42:
	s_and_saveexec_b64 s[4:5], s[2:3]
	s_cbranch_execnz .LBB218_44
; %bb.43:
	s_endpgm
.LBB218_44:
	v_mov_b32_e32 v0, s1
	v_add_co_u32_e32 v1, vcc, s0, v1
	s_waitcnt lgkmcnt(1)
	v_addc_co_u32_e32 v4, vcc, 0, v0, vcc
	v_add_co_u32_e32 v0, vcc, 0x1000, v1
	v_addc_co_u32_e32 v1, vcc, 0, v4, vcc
	s_waitcnt lgkmcnt(0)
	global_store_dwordx2 v[0:1], v[2:3], off offset:2048
	s_endpgm
.LBB218_45:
	v_lshrrev_b32_e32 v11, 5, v0
	v_add_lshl_u32 v0, v11, v0, 3
	ds_read_b64 v[16:17], v0
	s_waitcnt lgkmcnt(0)
	global_store_dwordx2 v[6:7], v[16:17], off
	s_or_b64 exec, exec, s[2:3]
	v_cmp_gt_u32_e32 vcc, s6, v10
	s_and_saveexec_b64 s[2:3], vcc
	s_cbranch_execz .LBB218_39
.LBB218_46:
	s_waitcnt lgkmcnt(2)
	global_store_dwordx2 v[6:7], v[8:9], off offset:2048
	s_or_b64 exec, exec, s[2:3]
	v_cmp_gt_u32_e32 vcc, s6, v12
	s_and_saveexec_b64 s[2:3], vcc
	s_cbranch_execnz .LBB218_40
	s_branch .LBB218_41
	.section	.rodata,"a",@progbits
	.p2align	6, 0x0
	.amdhsa_kernel _ZN7rocprim17ROCPRIM_400000_NS6detail17trampoline_kernelINS0_14default_configENS1_21merge_config_selectorIxNS0_10empty_typeEEEZNS1_10merge_implIS3_N6thrust23THRUST_200600_302600_NS6detail15normal_iteratorINS9_10device_ptrIKxEEEESF_NSB_INSC_IxEEEEPS5_SI_SI_NS9_4lessIxEEEE10hipError_tPvRmT0_T1_T2_T3_T4_T5_mmT6_P12ihipStream_tbEUlT_E0_NS1_11comp_targetILNS1_3genE4ELNS1_11target_archE910ELNS1_3gpuE8ELNS1_3repE0EEENS1_30default_config_static_selectorELNS0_4arch9wavefront6targetE1EEEvSP_
		.amdhsa_group_segment_fixed_size 8448
		.amdhsa_private_segment_fixed_size 0
		.amdhsa_kernarg_size 88
		.amdhsa_user_sgpr_count 6
		.amdhsa_user_sgpr_private_segment_buffer 1
		.amdhsa_user_sgpr_dispatch_ptr 0
		.amdhsa_user_sgpr_queue_ptr 0
		.amdhsa_user_sgpr_kernarg_segment_ptr 1
		.amdhsa_user_sgpr_dispatch_id 0
		.amdhsa_user_sgpr_flat_scratch_init 0
		.amdhsa_user_sgpr_kernarg_preload_length 0
		.amdhsa_user_sgpr_kernarg_preload_offset 0
		.amdhsa_user_sgpr_private_segment_size 0
		.amdhsa_uses_dynamic_stack 0
		.amdhsa_system_sgpr_private_segment_wavefront_offset 0
		.amdhsa_system_sgpr_workgroup_id_x 1
		.amdhsa_system_sgpr_workgroup_id_y 0
		.amdhsa_system_sgpr_workgroup_id_z 0
		.amdhsa_system_sgpr_workgroup_info 0
		.amdhsa_system_vgpr_workitem_id 0
		.amdhsa_next_free_vgpr 23
		.amdhsa_next_free_sgpr 18
		.amdhsa_accum_offset 24
		.amdhsa_reserve_vcc 1
		.amdhsa_reserve_flat_scratch 0
		.amdhsa_float_round_mode_32 0
		.amdhsa_float_round_mode_16_64 0
		.amdhsa_float_denorm_mode_32 3
		.amdhsa_float_denorm_mode_16_64 3
		.amdhsa_dx10_clamp 1
		.amdhsa_ieee_mode 1
		.amdhsa_fp16_overflow 0
		.amdhsa_tg_split 0
		.amdhsa_exception_fp_ieee_invalid_op 0
		.amdhsa_exception_fp_denorm_src 0
		.amdhsa_exception_fp_ieee_div_zero 0
		.amdhsa_exception_fp_ieee_overflow 0
		.amdhsa_exception_fp_ieee_underflow 0
		.amdhsa_exception_fp_ieee_inexact 0
		.amdhsa_exception_int_div_zero 0
	.end_amdhsa_kernel
	.section	.text._ZN7rocprim17ROCPRIM_400000_NS6detail17trampoline_kernelINS0_14default_configENS1_21merge_config_selectorIxNS0_10empty_typeEEEZNS1_10merge_implIS3_N6thrust23THRUST_200600_302600_NS6detail15normal_iteratorINS9_10device_ptrIKxEEEESF_NSB_INSC_IxEEEEPS5_SI_SI_NS9_4lessIxEEEE10hipError_tPvRmT0_T1_T2_T3_T4_T5_mmT6_P12ihipStream_tbEUlT_E0_NS1_11comp_targetILNS1_3genE4ELNS1_11target_archE910ELNS1_3gpuE8ELNS1_3repE0EEENS1_30default_config_static_selectorELNS0_4arch9wavefront6targetE1EEEvSP_,"axG",@progbits,_ZN7rocprim17ROCPRIM_400000_NS6detail17trampoline_kernelINS0_14default_configENS1_21merge_config_selectorIxNS0_10empty_typeEEEZNS1_10merge_implIS3_N6thrust23THRUST_200600_302600_NS6detail15normal_iteratorINS9_10device_ptrIKxEEEESF_NSB_INSC_IxEEEEPS5_SI_SI_NS9_4lessIxEEEE10hipError_tPvRmT0_T1_T2_T3_T4_T5_mmT6_P12ihipStream_tbEUlT_E0_NS1_11comp_targetILNS1_3genE4ELNS1_11target_archE910ELNS1_3gpuE8ELNS1_3repE0EEENS1_30default_config_static_selectorELNS0_4arch9wavefront6targetE1EEEvSP_,comdat
.Lfunc_end218:
	.size	_ZN7rocprim17ROCPRIM_400000_NS6detail17trampoline_kernelINS0_14default_configENS1_21merge_config_selectorIxNS0_10empty_typeEEEZNS1_10merge_implIS3_N6thrust23THRUST_200600_302600_NS6detail15normal_iteratorINS9_10device_ptrIKxEEEESF_NSB_INSC_IxEEEEPS5_SI_SI_NS9_4lessIxEEEE10hipError_tPvRmT0_T1_T2_T3_T4_T5_mmT6_P12ihipStream_tbEUlT_E0_NS1_11comp_targetILNS1_3genE4ELNS1_11target_archE910ELNS1_3gpuE8ELNS1_3repE0EEENS1_30default_config_static_selectorELNS0_4arch9wavefront6targetE1EEEvSP_, .Lfunc_end218-_ZN7rocprim17ROCPRIM_400000_NS6detail17trampoline_kernelINS0_14default_configENS1_21merge_config_selectorIxNS0_10empty_typeEEEZNS1_10merge_implIS3_N6thrust23THRUST_200600_302600_NS6detail15normal_iteratorINS9_10device_ptrIKxEEEESF_NSB_INSC_IxEEEEPS5_SI_SI_NS9_4lessIxEEEE10hipError_tPvRmT0_T1_T2_T3_T4_T5_mmT6_P12ihipStream_tbEUlT_E0_NS1_11comp_targetILNS1_3genE4ELNS1_11target_archE910ELNS1_3gpuE8ELNS1_3repE0EEENS1_30default_config_static_selectorELNS0_4arch9wavefront6targetE1EEEvSP_
                                        ; -- End function
	.section	.AMDGPU.csdata,"",@progbits
; Kernel info:
; codeLenInByte = 1796
; NumSgprs: 22
; NumVgprs: 23
; NumAgprs: 0
; TotalNumVgprs: 23
; ScratchSize: 0
; MemoryBound: 0
; FloatMode: 240
; IeeeMode: 1
; LDSByteSize: 8448 bytes/workgroup (compile time only)
; SGPRBlocks: 2
; VGPRBlocks: 2
; NumSGPRsForWavesPerEU: 22
; NumVGPRsForWavesPerEU: 23
; AccumOffset: 24
; Occupancy: 7
; WaveLimiterHint : 1
; COMPUTE_PGM_RSRC2:SCRATCH_EN: 0
; COMPUTE_PGM_RSRC2:USER_SGPR: 6
; COMPUTE_PGM_RSRC2:TRAP_HANDLER: 0
; COMPUTE_PGM_RSRC2:TGID_X_EN: 1
; COMPUTE_PGM_RSRC2:TGID_Y_EN: 0
; COMPUTE_PGM_RSRC2:TGID_Z_EN: 0
; COMPUTE_PGM_RSRC2:TIDIG_COMP_CNT: 0
; COMPUTE_PGM_RSRC3_GFX90A:ACCUM_OFFSET: 5
; COMPUTE_PGM_RSRC3_GFX90A:TG_SPLIT: 0
	.section	.text._ZN7rocprim17ROCPRIM_400000_NS6detail17trampoline_kernelINS0_14default_configENS1_21merge_config_selectorIxNS0_10empty_typeEEEZNS1_10merge_implIS3_N6thrust23THRUST_200600_302600_NS6detail15normal_iteratorINS9_10device_ptrIKxEEEESF_NSB_INSC_IxEEEEPS5_SI_SI_NS9_4lessIxEEEE10hipError_tPvRmT0_T1_T2_T3_T4_T5_mmT6_P12ihipStream_tbEUlT_E0_NS1_11comp_targetILNS1_3genE3ELNS1_11target_archE908ELNS1_3gpuE7ELNS1_3repE0EEENS1_30default_config_static_selectorELNS0_4arch9wavefront6targetE1EEEvSP_,"axG",@progbits,_ZN7rocprim17ROCPRIM_400000_NS6detail17trampoline_kernelINS0_14default_configENS1_21merge_config_selectorIxNS0_10empty_typeEEEZNS1_10merge_implIS3_N6thrust23THRUST_200600_302600_NS6detail15normal_iteratorINS9_10device_ptrIKxEEEESF_NSB_INSC_IxEEEEPS5_SI_SI_NS9_4lessIxEEEE10hipError_tPvRmT0_T1_T2_T3_T4_T5_mmT6_P12ihipStream_tbEUlT_E0_NS1_11comp_targetILNS1_3genE3ELNS1_11target_archE908ELNS1_3gpuE7ELNS1_3repE0EEENS1_30default_config_static_selectorELNS0_4arch9wavefront6targetE1EEEvSP_,comdat
	.protected	_ZN7rocprim17ROCPRIM_400000_NS6detail17trampoline_kernelINS0_14default_configENS1_21merge_config_selectorIxNS0_10empty_typeEEEZNS1_10merge_implIS3_N6thrust23THRUST_200600_302600_NS6detail15normal_iteratorINS9_10device_ptrIKxEEEESF_NSB_INSC_IxEEEEPS5_SI_SI_NS9_4lessIxEEEE10hipError_tPvRmT0_T1_T2_T3_T4_T5_mmT6_P12ihipStream_tbEUlT_E0_NS1_11comp_targetILNS1_3genE3ELNS1_11target_archE908ELNS1_3gpuE7ELNS1_3repE0EEENS1_30default_config_static_selectorELNS0_4arch9wavefront6targetE1EEEvSP_ ; -- Begin function _ZN7rocprim17ROCPRIM_400000_NS6detail17trampoline_kernelINS0_14default_configENS1_21merge_config_selectorIxNS0_10empty_typeEEEZNS1_10merge_implIS3_N6thrust23THRUST_200600_302600_NS6detail15normal_iteratorINS9_10device_ptrIKxEEEESF_NSB_INSC_IxEEEEPS5_SI_SI_NS9_4lessIxEEEE10hipError_tPvRmT0_T1_T2_T3_T4_T5_mmT6_P12ihipStream_tbEUlT_E0_NS1_11comp_targetILNS1_3genE3ELNS1_11target_archE908ELNS1_3gpuE7ELNS1_3repE0EEENS1_30default_config_static_selectorELNS0_4arch9wavefront6targetE1EEEvSP_
	.globl	_ZN7rocprim17ROCPRIM_400000_NS6detail17trampoline_kernelINS0_14default_configENS1_21merge_config_selectorIxNS0_10empty_typeEEEZNS1_10merge_implIS3_N6thrust23THRUST_200600_302600_NS6detail15normal_iteratorINS9_10device_ptrIKxEEEESF_NSB_INSC_IxEEEEPS5_SI_SI_NS9_4lessIxEEEE10hipError_tPvRmT0_T1_T2_T3_T4_T5_mmT6_P12ihipStream_tbEUlT_E0_NS1_11comp_targetILNS1_3genE3ELNS1_11target_archE908ELNS1_3gpuE7ELNS1_3repE0EEENS1_30default_config_static_selectorELNS0_4arch9wavefront6targetE1EEEvSP_
	.p2align	8
	.type	_ZN7rocprim17ROCPRIM_400000_NS6detail17trampoline_kernelINS0_14default_configENS1_21merge_config_selectorIxNS0_10empty_typeEEEZNS1_10merge_implIS3_N6thrust23THRUST_200600_302600_NS6detail15normal_iteratorINS9_10device_ptrIKxEEEESF_NSB_INSC_IxEEEEPS5_SI_SI_NS9_4lessIxEEEE10hipError_tPvRmT0_T1_T2_T3_T4_T5_mmT6_P12ihipStream_tbEUlT_E0_NS1_11comp_targetILNS1_3genE3ELNS1_11target_archE908ELNS1_3gpuE7ELNS1_3repE0EEENS1_30default_config_static_selectorELNS0_4arch9wavefront6targetE1EEEvSP_,@function
_ZN7rocprim17ROCPRIM_400000_NS6detail17trampoline_kernelINS0_14default_configENS1_21merge_config_selectorIxNS0_10empty_typeEEEZNS1_10merge_implIS3_N6thrust23THRUST_200600_302600_NS6detail15normal_iteratorINS9_10device_ptrIKxEEEESF_NSB_INSC_IxEEEEPS5_SI_SI_NS9_4lessIxEEEE10hipError_tPvRmT0_T1_T2_T3_T4_T5_mmT6_P12ihipStream_tbEUlT_E0_NS1_11comp_targetILNS1_3genE3ELNS1_11target_archE908ELNS1_3gpuE7ELNS1_3repE0EEENS1_30default_config_static_selectorELNS0_4arch9wavefront6targetE1EEEvSP_: ; @_ZN7rocprim17ROCPRIM_400000_NS6detail17trampoline_kernelINS0_14default_configENS1_21merge_config_selectorIxNS0_10empty_typeEEEZNS1_10merge_implIS3_N6thrust23THRUST_200600_302600_NS6detail15normal_iteratorINS9_10device_ptrIKxEEEESF_NSB_INSC_IxEEEEPS5_SI_SI_NS9_4lessIxEEEE10hipError_tPvRmT0_T1_T2_T3_T4_T5_mmT6_P12ihipStream_tbEUlT_E0_NS1_11comp_targetILNS1_3genE3ELNS1_11target_archE908ELNS1_3gpuE7ELNS1_3repE0EEENS1_30default_config_static_selectorELNS0_4arch9wavefront6targetE1EEEvSP_
; %bb.0:
	.section	.rodata,"a",@progbits
	.p2align	6, 0x0
	.amdhsa_kernel _ZN7rocprim17ROCPRIM_400000_NS6detail17trampoline_kernelINS0_14default_configENS1_21merge_config_selectorIxNS0_10empty_typeEEEZNS1_10merge_implIS3_N6thrust23THRUST_200600_302600_NS6detail15normal_iteratorINS9_10device_ptrIKxEEEESF_NSB_INSC_IxEEEEPS5_SI_SI_NS9_4lessIxEEEE10hipError_tPvRmT0_T1_T2_T3_T4_T5_mmT6_P12ihipStream_tbEUlT_E0_NS1_11comp_targetILNS1_3genE3ELNS1_11target_archE908ELNS1_3gpuE7ELNS1_3repE0EEENS1_30default_config_static_selectorELNS0_4arch9wavefront6targetE1EEEvSP_
		.amdhsa_group_segment_fixed_size 0
		.amdhsa_private_segment_fixed_size 0
		.amdhsa_kernarg_size 88
		.amdhsa_user_sgpr_count 6
		.amdhsa_user_sgpr_private_segment_buffer 1
		.amdhsa_user_sgpr_dispatch_ptr 0
		.amdhsa_user_sgpr_queue_ptr 0
		.amdhsa_user_sgpr_kernarg_segment_ptr 1
		.amdhsa_user_sgpr_dispatch_id 0
		.amdhsa_user_sgpr_flat_scratch_init 0
		.amdhsa_user_sgpr_kernarg_preload_length 0
		.amdhsa_user_sgpr_kernarg_preload_offset 0
		.amdhsa_user_sgpr_private_segment_size 0
		.amdhsa_uses_dynamic_stack 0
		.amdhsa_system_sgpr_private_segment_wavefront_offset 0
		.amdhsa_system_sgpr_workgroup_id_x 1
		.amdhsa_system_sgpr_workgroup_id_y 0
		.amdhsa_system_sgpr_workgroup_id_z 0
		.amdhsa_system_sgpr_workgroup_info 0
		.amdhsa_system_vgpr_workitem_id 0
		.amdhsa_next_free_vgpr 1
		.amdhsa_next_free_sgpr 0
		.amdhsa_accum_offset 4
		.amdhsa_reserve_vcc 0
		.amdhsa_reserve_flat_scratch 0
		.amdhsa_float_round_mode_32 0
		.amdhsa_float_round_mode_16_64 0
		.amdhsa_float_denorm_mode_32 3
		.amdhsa_float_denorm_mode_16_64 3
		.amdhsa_dx10_clamp 1
		.amdhsa_ieee_mode 1
		.amdhsa_fp16_overflow 0
		.amdhsa_tg_split 0
		.amdhsa_exception_fp_ieee_invalid_op 0
		.amdhsa_exception_fp_denorm_src 0
		.amdhsa_exception_fp_ieee_div_zero 0
		.amdhsa_exception_fp_ieee_overflow 0
		.amdhsa_exception_fp_ieee_underflow 0
		.amdhsa_exception_fp_ieee_inexact 0
		.amdhsa_exception_int_div_zero 0
	.end_amdhsa_kernel
	.section	.text._ZN7rocprim17ROCPRIM_400000_NS6detail17trampoline_kernelINS0_14default_configENS1_21merge_config_selectorIxNS0_10empty_typeEEEZNS1_10merge_implIS3_N6thrust23THRUST_200600_302600_NS6detail15normal_iteratorINS9_10device_ptrIKxEEEESF_NSB_INSC_IxEEEEPS5_SI_SI_NS9_4lessIxEEEE10hipError_tPvRmT0_T1_T2_T3_T4_T5_mmT6_P12ihipStream_tbEUlT_E0_NS1_11comp_targetILNS1_3genE3ELNS1_11target_archE908ELNS1_3gpuE7ELNS1_3repE0EEENS1_30default_config_static_selectorELNS0_4arch9wavefront6targetE1EEEvSP_,"axG",@progbits,_ZN7rocprim17ROCPRIM_400000_NS6detail17trampoline_kernelINS0_14default_configENS1_21merge_config_selectorIxNS0_10empty_typeEEEZNS1_10merge_implIS3_N6thrust23THRUST_200600_302600_NS6detail15normal_iteratorINS9_10device_ptrIKxEEEESF_NSB_INSC_IxEEEEPS5_SI_SI_NS9_4lessIxEEEE10hipError_tPvRmT0_T1_T2_T3_T4_T5_mmT6_P12ihipStream_tbEUlT_E0_NS1_11comp_targetILNS1_3genE3ELNS1_11target_archE908ELNS1_3gpuE7ELNS1_3repE0EEENS1_30default_config_static_selectorELNS0_4arch9wavefront6targetE1EEEvSP_,comdat
.Lfunc_end219:
	.size	_ZN7rocprim17ROCPRIM_400000_NS6detail17trampoline_kernelINS0_14default_configENS1_21merge_config_selectorIxNS0_10empty_typeEEEZNS1_10merge_implIS3_N6thrust23THRUST_200600_302600_NS6detail15normal_iteratorINS9_10device_ptrIKxEEEESF_NSB_INSC_IxEEEEPS5_SI_SI_NS9_4lessIxEEEE10hipError_tPvRmT0_T1_T2_T3_T4_T5_mmT6_P12ihipStream_tbEUlT_E0_NS1_11comp_targetILNS1_3genE3ELNS1_11target_archE908ELNS1_3gpuE7ELNS1_3repE0EEENS1_30default_config_static_selectorELNS0_4arch9wavefront6targetE1EEEvSP_, .Lfunc_end219-_ZN7rocprim17ROCPRIM_400000_NS6detail17trampoline_kernelINS0_14default_configENS1_21merge_config_selectorIxNS0_10empty_typeEEEZNS1_10merge_implIS3_N6thrust23THRUST_200600_302600_NS6detail15normal_iteratorINS9_10device_ptrIKxEEEESF_NSB_INSC_IxEEEEPS5_SI_SI_NS9_4lessIxEEEE10hipError_tPvRmT0_T1_T2_T3_T4_T5_mmT6_P12ihipStream_tbEUlT_E0_NS1_11comp_targetILNS1_3genE3ELNS1_11target_archE908ELNS1_3gpuE7ELNS1_3repE0EEENS1_30default_config_static_selectorELNS0_4arch9wavefront6targetE1EEEvSP_
                                        ; -- End function
	.section	.AMDGPU.csdata,"",@progbits
; Kernel info:
; codeLenInByte = 0
; NumSgprs: 4
; NumVgprs: 0
; NumAgprs: 0
; TotalNumVgprs: 0
; ScratchSize: 0
; MemoryBound: 0
; FloatMode: 240
; IeeeMode: 1
; LDSByteSize: 0 bytes/workgroup (compile time only)
; SGPRBlocks: 0
; VGPRBlocks: 0
; NumSGPRsForWavesPerEU: 4
; NumVGPRsForWavesPerEU: 1
; AccumOffset: 4
; Occupancy: 8
; WaveLimiterHint : 0
; COMPUTE_PGM_RSRC2:SCRATCH_EN: 0
; COMPUTE_PGM_RSRC2:USER_SGPR: 6
; COMPUTE_PGM_RSRC2:TRAP_HANDLER: 0
; COMPUTE_PGM_RSRC2:TGID_X_EN: 1
; COMPUTE_PGM_RSRC2:TGID_Y_EN: 0
; COMPUTE_PGM_RSRC2:TGID_Z_EN: 0
; COMPUTE_PGM_RSRC2:TIDIG_COMP_CNT: 0
; COMPUTE_PGM_RSRC3_GFX90A:ACCUM_OFFSET: 0
; COMPUTE_PGM_RSRC3_GFX90A:TG_SPLIT: 0
	.section	.text._ZN7rocprim17ROCPRIM_400000_NS6detail17trampoline_kernelINS0_14default_configENS1_21merge_config_selectorIxNS0_10empty_typeEEEZNS1_10merge_implIS3_N6thrust23THRUST_200600_302600_NS6detail15normal_iteratorINS9_10device_ptrIKxEEEESF_NSB_INSC_IxEEEEPS5_SI_SI_NS9_4lessIxEEEE10hipError_tPvRmT0_T1_T2_T3_T4_T5_mmT6_P12ihipStream_tbEUlT_E0_NS1_11comp_targetILNS1_3genE2ELNS1_11target_archE906ELNS1_3gpuE6ELNS1_3repE0EEENS1_30default_config_static_selectorELNS0_4arch9wavefront6targetE1EEEvSP_,"axG",@progbits,_ZN7rocprim17ROCPRIM_400000_NS6detail17trampoline_kernelINS0_14default_configENS1_21merge_config_selectorIxNS0_10empty_typeEEEZNS1_10merge_implIS3_N6thrust23THRUST_200600_302600_NS6detail15normal_iteratorINS9_10device_ptrIKxEEEESF_NSB_INSC_IxEEEEPS5_SI_SI_NS9_4lessIxEEEE10hipError_tPvRmT0_T1_T2_T3_T4_T5_mmT6_P12ihipStream_tbEUlT_E0_NS1_11comp_targetILNS1_3genE2ELNS1_11target_archE906ELNS1_3gpuE6ELNS1_3repE0EEENS1_30default_config_static_selectorELNS0_4arch9wavefront6targetE1EEEvSP_,comdat
	.protected	_ZN7rocprim17ROCPRIM_400000_NS6detail17trampoline_kernelINS0_14default_configENS1_21merge_config_selectorIxNS0_10empty_typeEEEZNS1_10merge_implIS3_N6thrust23THRUST_200600_302600_NS6detail15normal_iteratorINS9_10device_ptrIKxEEEESF_NSB_INSC_IxEEEEPS5_SI_SI_NS9_4lessIxEEEE10hipError_tPvRmT0_T1_T2_T3_T4_T5_mmT6_P12ihipStream_tbEUlT_E0_NS1_11comp_targetILNS1_3genE2ELNS1_11target_archE906ELNS1_3gpuE6ELNS1_3repE0EEENS1_30default_config_static_selectorELNS0_4arch9wavefront6targetE1EEEvSP_ ; -- Begin function _ZN7rocprim17ROCPRIM_400000_NS6detail17trampoline_kernelINS0_14default_configENS1_21merge_config_selectorIxNS0_10empty_typeEEEZNS1_10merge_implIS3_N6thrust23THRUST_200600_302600_NS6detail15normal_iteratorINS9_10device_ptrIKxEEEESF_NSB_INSC_IxEEEEPS5_SI_SI_NS9_4lessIxEEEE10hipError_tPvRmT0_T1_T2_T3_T4_T5_mmT6_P12ihipStream_tbEUlT_E0_NS1_11comp_targetILNS1_3genE2ELNS1_11target_archE906ELNS1_3gpuE6ELNS1_3repE0EEENS1_30default_config_static_selectorELNS0_4arch9wavefront6targetE1EEEvSP_
	.globl	_ZN7rocprim17ROCPRIM_400000_NS6detail17trampoline_kernelINS0_14default_configENS1_21merge_config_selectorIxNS0_10empty_typeEEEZNS1_10merge_implIS3_N6thrust23THRUST_200600_302600_NS6detail15normal_iteratorINS9_10device_ptrIKxEEEESF_NSB_INSC_IxEEEEPS5_SI_SI_NS9_4lessIxEEEE10hipError_tPvRmT0_T1_T2_T3_T4_T5_mmT6_P12ihipStream_tbEUlT_E0_NS1_11comp_targetILNS1_3genE2ELNS1_11target_archE906ELNS1_3gpuE6ELNS1_3repE0EEENS1_30default_config_static_selectorELNS0_4arch9wavefront6targetE1EEEvSP_
	.p2align	8
	.type	_ZN7rocprim17ROCPRIM_400000_NS6detail17trampoline_kernelINS0_14default_configENS1_21merge_config_selectorIxNS0_10empty_typeEEEZNS1_10merge_implIS3_N6thrust23THRUST_200600_302600_NS6detail15normal_iteratorINS9_10device_ptrIKxEEEESF_NSB_INSC_IxEEEEPS5_SI_SI_NS9_4lessIxEEEE10hipError_tPvRmT0_T1_T2_T3_T4_T5_mmT6_P12ihipStream_tbEUlT_E0_NS1_11comp_targetILNS1_3genE2ELNS1_11target_archE906ELNS1_3gpuE6ELNS1_3repE0EEENS1_30default_config_static_selectorELNS0_4arch9wavefront6targetE1EEEvSP_,@function
_ZN7rocprim17ROCPRIM_400000_NS6detail17trampoline_kernelINS0_14default_configENS1_21merge_config_selectorIxNS0_10empty_typeEEEZNS1_10merge_implIS3_N6thrust23THRUST_200600_302600_NS6detail15normal_iteratorINS9_10device_ptrIKxEEEESF_NSB_INSC_IxEEEEPS5_SI_SI_NS9_4lessIxEEEE10hipError_tPvRmT0_T1_T2_T3_T4_T5_mmT6_P12ihipStream_tbEUlT_E0_NS1_11comp_targetILNS1_3genE2ELNS1_11target_archE906ELNS1_3gpuE6ELNS1_3repE0EEENS1_30default_config_static_selectorELNS0_4arch9wavefront6targetE1EEEvSP_: ; @_ZN7rocprim17ROCPRIM_400000_NS6detail17trampoline_kernelINS0_14default_configENS1_21merge_config_selectorIxNS0_10empty_typeEEEZNS1_10merge_implIS3_N6thrust23THRUST_200600_302600_NS6detail15normal_iteratorINS9_10device_ptrIKxEEEESF_NSB_INSC_IxEEEEPS5_SI_SI_NS9_4lessIxEEEE10hipError_tPvRmT0_T1_T2_T3_T4_T5_mmT6_P12ihipStream_tbEUlT_E0_NS1_11comp_targetILNS1_3genE2ELNS1_11target_archE906ELNS1_3gpuE6ELNS1_3repE0EEENS1_30default_config_static_selectorELNS0_4arch9wavefront6targetE1EEEvSP_
; %bb.0:
	.section	.rodata,"a",@progbits
	.p2align	6, 0x0
	.amdhsa_kernel _ZN7rocprim17ROCPRIM_400000_NS6detail17trampoline_kernelINS0_14default_configENS1_21merge_config_selectorIxNS0_10empty_typeEEEZNS1_10merge_implIS3_N6thrust23THRUST_200600_302600_NS6detail15normal_iteratorINS9_10device_ptrIKxEEEESF_NSB_INSC_IxEEEEPS5_SI_SI_NS9_4lessIxEEEE10hipError_tPvRmT0_T1_T2_T3_T4_T5_mmT6_P12ihipStream_tbEUlT_E0_NS1_11comp_targetILNS1_3genE2ELNS1_11target_archE906ELNS1_3gpuE6ELNS1_3repE0EEENS1_30default_config_static_selectorELNS0_4arch9wavefront6targetE1EEEvSP_
		.amdhsa_group_segment_fixed_size 0
		.amdhsa_private_segment_fixed_size 0
		.amdhsa_kernarg_size 88
		.amdhsa_user_sgpr_count 6
		.amdhsa_user_sgpr_private_segment_buffer 1
		.amdhsa_user_sgpr_dispatch_ptr 0
		.amdhsa_user_sgpr_queue_ptr 0
		.amdhsa_user_sgpr_kernarg_segment_ptr 1
		.amdhsa_user_sgpr_dispatch_id 0
		.amdhsa_user_sgpr_flat_scratch_init 0
		.amdhsa_user_sgpr_kernarg_preload_length 0
		.amdhsa_user_sgpr_kernarg_preload_offset 0
		.amdhsa_user_sgpr_private_segment_size 0
		.amdhsa_uses_dynamic_stack 0
		.amdhsa_system_sgpr_private_segment_wavefront_offset 0
		.amdhsa_system_sgpr_workgroup_id_x 1
		.amdhsa_system_sgpr_workgroup_id_y 0
		.amdhsa_system_sgpr_workgroup_id_z 0
		.amdhsa_system_sgpr_workgroup_info 0
		.amdhsa_system_vgpr_workitem_id 0
		.amdhsa_next_free_vgpr 1
		.amdhsa_next_free_sgpr 0
		.amdhsa_accum_offset 4
		.amdhsa_reserve_vcc 0
		.amdhsa_reserve_flat_scratch 0
		.amdhsa_float_round_mode_32 0
		.amdhsa_float_round_mode_16_64 0
		.amdhsa_float_denorm_mode_32 3
		.amdhsa_float_denorm_mode_16_64 3
		.amdhsa_dx10_clamp 1
		.amdhsa_ieee_mode 1
		.amdhsa_fp16_overflow 0
		.amdhsa_tg_split 0
		.amdhsa_exception_fp_ieee_invalid_op 0
		.amdhsa_exception_fp_denorm_src 0
		.amdhsa_exception_fp_ieee_div_zero 0
		.amdhsa_exception_fp_ieee_overflow 0
		.amdhsa_exception_fp_ieee_underflow 0
		.amdhsa_exception_fp_ieee_inexact 0
		.amdhsa_exception_int_div_zero 0
	.end_amdhsa_kernel
	.section	.text._ZN7rocprim17ROCPRIM_400000_NS6detail17trampoline_kernelINS0_14default_configENS1_21merge_config_selectorIxNS0_10empty_typeEEEZNS1_10merge_implIS3_N6thrust23THRUST_200600_302600_NS6detail15normal_iteratorINS9_10device_ptrIKxEEEESF_NSB_INSC_IxEEEEPS5_SI_SI_NS9_4lessIxEEEE10hipError_tPvRmT0_T1_T2_T3_T4_T5_mmT6_P12ihipStream_tbEUlT_E0_NS1_11comp_targetILNS1_3genE2ELNS1_11target_archE906ELNS1_3gpuE6ELNS1_3repE0EEENS1_30default_config_static_selectorELNS0_4arch9wavefront6targetE1EEEvSP_,"axG",@progbits,_ZN7rocprim17ROCPRIM_400000_NS6detail17trampoline_kernelINS0_14default_configENS1_21merge_config_selectorIxNS0_10empty_typeEEEZNS1_10merge_implIS3_N6thrust23THRUST_200600_302600_NS6detail15normal_iteratorINS9_10device_ptrIKxEEEESF_NSB_INSC_IxEEEEPS5_SI_SI_NS9_4lessIxEEEE10hipError_tPvRmT0_T1_T2_T3_T4_T5_mmT6_P12ihipStream_tbEUlT_E0_NS1_11comp_targetILNS1_3genE2ELNS1_11target_archE906ELNS1_3gpuE6ELNS1_3repE0EEENS1_30default_config_static_selectorELNS0_4arch9wavefront6targetE1EEEvSP_,comdat
.Lfunc_end220:
	.size	_ZN7rocprim17ROCPRIM_400000_NS6detail17trampoline_kernelINS0_14default_configENS1_21merge_config_selectorIxNS0_10empty_typeEEEZNS1_10merge_implIS3_N6thrust23THRUST_200600_302600_NS6detail15normal_iteratorINS9_10device_ptrIKxEEEESF_NSB_INSC_IxEEEEPS5_SI_SI_NS9_4lessIxEEEE10hipError_tPvRmT0_T1_T2_T3_T4_T5_mmT6_P12ihipStream_tbEUlT_E0_NS1_11comp_targetILNS1_3genE2ELNS1_11target_archE906ELNS1_3gpuE6ELNS1_3repE0EEENS1_30default_config_static_selectorELNS0_4arch9wavefront6targetE1EEEvSP_, .Lfunc_end220-_ZN7rocprim17ROCPRIM_400000_NS6detail17trampoline_kernelINS0_14default_configENS1_21merge_config_selectorIxNS0_10empty_typeEEEZNS1_10merge_implIS3_N6thrust23THRUST_200600_302600_NS6detail15normal_iteratorINS9_10device_ptrIKxEEEESF_NSB_INSC_IxEEEEPS5_SI_SI_NS9_4lessIxEEEE10hipError_tPvRmT0_T1_T2_T3_T4_T5_mmT6_P12ihipStream_tbEUlT_E0_NS1_11comp_targetILNS1_3genE2ELNS1_11target_archE906ELNS1_3gpuE6ELNS1_3repE0EEENS1_30default_config_static_selectorELNS0_4arch9wavefront6targetE1EEEvSP_
                                        ; -- End function
	.section	.AMDGPU.csdata,"",@progbits
; Kernel info:
; codeLenInByte = 0
; NumSgprs: 4
; NumVgprs: 0
; NumAgprs: 0
; TotalNumVgprs: 0
; ScratchSize: 0
; MemoryBound: 0
; FloatMode: 240
; IeeeMode: 1
; LDSByteSize: 0 bytes/workgroup (compile time only)
; SGPRBlocks: 0
; VGPRBlocks: 0
; NumSGPRsForWavesPerEU: 4
; NumVGPRsForWavesPerEU: 1
; AccumOffset: 4
; Occupancy: 8
; WaveLimiterHint : 0
; COMPUTE_PGM_RSRC2:SCRATCH_EN: 0
; COMPUTE_PGM_RSRC2:USER_SGPR: 6
; COMPUTE_PGM_RSRC2:TRAP_HANDLER: 0
; COMPUTE_PGM_RSRC2:TGID_X_EN: 1
; COMPUTE_PGM_RSRC2:TGID_Y_EN: 0
; COMPUTE_PGM_RSRC2:TGID_Z_EN: 0
; COMPUTE_PGM_RSRC2:TIDIG_COMP_CNT: 0
; COMPUTE_PGM_RSRC3_GFX90A:ACCUM_OFFSET: 0
; COMPUTE_PGM_RSRC3_GFX90A:TG_SPLIT: 0
	.section	.text._ZN7rocprim17ROCPRIM_400000_NS6detail17trampoline_kernelINS0_14default_configENS1_21merge_config_selectorIxNS0_10empty_typeEEEZNS1_10merge_implIS3_N6thrust23THRUST_200600_302600_NS6detail15normal_iteratorINS9_10device_ptrIKxEEEESF_NSB_INSC_IxEEEEPS5_SI_SI_NS9_4lessIxEEEE10hipError_tPvRmT0_T1_T2_T3_T4_T5_mmT6_P12ihipStream_tbEUlT_E0_NS1_11comp_targetILNS1_3genE10ELNS1_11target_archE1201ELNS1_3gpuE5ELNS1_3repE0EEENS1_30default_config_static_selectorELNS0_4arch9wavefront6targetE1EEEvSP_,"axG",@progbits,_ZN7rocprim17ROCPRIM_400000_NS6detail17trampoline_kernelINS0_14default_configENS1_21merge_config_selectorIxNS0_10empty_typeEEEZNS1_10merge_implIS3_N6thrust23THRUST_200600_302600_NS6detail15normal_iteratorINS9_10device_ptrIKxEEEESF_NSB_INSC_IxEEEEPS5_SI_SI_NS9_4lessIxEEEE10hipError_tPvRmT0_T1_T2_T3_T4_T5_mmT6_P12ihipStream_tbEUlT_E0_NS1_11comp_targetILNS1_3genE10ELNS1_11target_archE1201ELNS1_3gpuE5ELNS1_3repE0EEENS1_30default_config_static_selectorELNS0_4arch9wavefront6targetE1EEEvSP_,comdat
	.protected	_ZN7rocprim17ROCPRIM_400000_NS6detail17trampoline_kernelINS0_14default_configENS1_21merge_config_selectorIxNS0_10empty_typeEEEZNS1_10merge_implIS3_N6thrust23THRUST_200600_302600_NS6detail15normal_iteratorINS9_10device_ptrIKxEEEESF_NSB_INSC_IxEEEEPS5_SI_SI_NS9_4lessIxEEEE10hipError_tPvRmT0_T1_T2_T3_T4_T5_mmT6_P12ihipStream_tbEUlT_E0_NS1_11comp_targetILNS1_3genE10ELNS1_11target_archE1201ELNS1_3gpuE5ELNS1_3repE0EEENS1_30default_config_static_selectorELNS0_4arch9wavefront6targetE1EEEvSP_ ; -- Begin function _ZN7rocprim17ROCPRIM_400000_NS6detail17trampoline_kernelINS0_14default_configENS1_21merge_config_selectorIxNS0_10empty_typeEEEZNS1_10merge_implIS3_N6thrust23THRUST_200600_302600_NS6detail15normal_iteratorINS9_10device_ptrIKxEEEESF_NSB_INSC_IxEEEEPS5_SI_SI_NS9_4lessIxEEEE10hipError_tPvRmT0_T1_T2_T3_T4_T5_mmT6_P12ihipStream_tbEUlT_E0_NS1_11comp_targetILNS1_3genE10ELNS1_11target_archE1201ELNS1_3gpuE5ELNS1_3repE0EEENS1_30default_config_static_selectorELNS0_4arch9wavefront6targetE1EEEvSP_
	.globl	_ZN7rocprim17ROCPRIM_400000_NS6detail17trampoline_kernelINS0_14default_configENS1_21merge_config_selectorIxNS0_10empty_typeEEEZNS1_10merge_implIS3_N6thrust23THRUST_200600_302600_NS6detail15normal_iteratorINS9_10device_ptrIKxEEEESF_NSB_INSC_IxEEEEPS5_SI_SI_NS9_4lessIxEEEE10hipError_tPvRmT0_T1_T2_T3_T4_T5_mmT6_P12ihipStream_tbEUlT_E0_NS1_11comp_targetILNS1_3genE10ELNS1_11target_archE1201ELNS1_3gpuE5ELNS1_3repE0EEENS1_30default_config_static_selectorELNS0_4arch9wavefront6targetE1EEEvSP_
	.p2align	8
	.type	_ZN7rocprim17ROCPRIM_400000_NS6detail17trampoline_kernelINS0_14default_configENS1_21merge_config_selectorIxNS0_10empty_typeEEEZNS1_10merge_implIS3_N6thrust23THRUST_200600_302600_NS6detail15normal_iteratorINS9_10device_ptrIKxEEEESF_NSB_INSC_IxEEEEPS5_SI_SI_NS9_4lessIxEEEE10hipError_tPvRmT0_T1_T2_T3_T4_T5_mmT6_P12ihipStream_tbEUlT_E0_NS1_11comp_targetILNS1_3genE10ELNS1_11target_archE1201ELNS1_3gpuE5ELNS1_3repE0EEENS1_30default_config_static_selectorELNS0_4arch9wavefront6targetE1EEEvSP_,@function
_ZN7rocprim17ROCPRIM_400000_NS6detail17trampoline_kernelINS0_14default_configENS1_21merge_config_selectorIxNS0_10empty_typeEEEZNS1_10merge_implIS3_N6thrust23THRUST_200600_302600_NS6detail15normal_iteratorINS9_10device_ptrIKxEEEESF_NSB_INSC_IxEEEEPS5_SI_SI_NS9_4lessIxEEEE10hipError_tPvRmT0_T1_T2_T3_T4_T5_mmT6_P12ihipStream_tbEUlT_E0_NS1_11comp_targetILNS1_3genE10ELNS1_11target_archE1201ELNS1_3gpuE5ELNS1_3repE0EEENS1_30default_config_static_selectorELNS0_4arch9wavefront6targetE1EEEvSP_: ; @_ZN7rocprim17ROCPRIM_400000_NS6detail17trampoline_kernelINS0_14default_configENS1_21merge_config_selectorIxNS0_10empty_typeEEEZNS1_10merge_implIS3_N6thrust23THRUST_200600_302600_NS6detail15normal_iteratorINS9_10device_ptrIKxEEEESF_NSB_INSC_IxEEEEPS5_SI_SI_NS9_4lessIxEEEE10hipError_tPvRmT0_T1_T2_T3_T4_T5_mmT6_P12ihipStream_tbEUlT_E0_NS1_11comp_targetILNS1_3genE10ELNS1_11target_archE1201ELNS1_3gpuE5ELNS1_3repE0EEENS1_30default_config_static_selectorELNS0_4arch9wavefront6targetE1EEEvSP_
; %bb.0:
	.section	.rodata,"a",@progbits
	.p2align	6, 0x0
	.amdhsa_kernel _ZN7rocprim17ROCPRIM_400000_NS6detail17trampoline_kernelINS0_14default_configENS1_21merge_config_selectorIxNS0_10empty_typeEEEZNS1_10merge_implIS3_N6thrust23THRUST_200600_302600_NS6detail15normal_iteratorINS9_10device_ptrIKxEEEESF_NSB_INSC_IxEEEEPS5_SI_SI_NS9_4lessIxEEEE10hipError_tPvRmT0_T1_T2_T3_T4_T5_mmT6_P12ihipStream_tbEUlT_E0_NS1_11comp_targetILNS1_3genE10ELNS1_11target_archE1201ELNS1_3gpuE5ELNS1_3repE0EEENS1_30default_config_static_selectorELNS0_4arch9wavefront6targetE1EEEvSP_
		.amdhsa_group_segment_fixed_size 0
		.amdhsa_private_segment_fixed_size 0
		.amdhsa_kernarg_size 88
		.amdhsa_user_sgpr_count 6
		.amdhsa_user_sgpr_private_segment_buffer 1
		.amdhsa_user_sgpr_dispatch_ptr 0
		.amdhsa_user_sgpr_queue_ptr 0
		.amdhsa_user_sgpr_kernarg_segment_ptr 1
		.amdhsa_user_sgpr_dispatch_id 0
		.amdhsa_user_sgpr_flat_scratch_init 0
		.amdhsa_user_sgpr_kernarg_preload_length 0
		.amdhsa_user_sgpr_kernarg_preload_offset 0
		.amdhsa_user_sgpr_private_segment_size 0
		.amdhsa_uses_dynamic_stack 0
		.amdhsa_system_sgpr_private_segment_wavefront_offset 0
		.amdhsa_system_sgpr_workgroup_id_x 1
		.amdhsa_system_sgpr_workgroup_id_y 0
		.amdhsa_system_sgpr_workgroup_id_z 0
		.amdhsa_system_sgpr_workgroup_info 0
		.amdhsa_system_vgpr_workitem_id 0
		.amdhsa_next_free_vgpr 1
		.amdhsa_next_free_sgpr 0
		.amdhsa_accum_offset 4
		.amdhsa_reserve_vcc 0
		.amdhsa_reserve_flat_scratch 0
		.amdhsa_float_round_mode_32 0
		.amdhsa_float_round_mode_16_64 0
		.amdhsa_float_denorm_mode_32 3
		.amdhsa_float_denorm_mode_16_64 3
		.amdhsa_dx10_clamp 1
		.amdhsa_ieee_mode 1
		.amdhsa_fp16_overflow 0
		.amdhsa_tg_split 0
		.amdhsa_exception_fp_ieee_invalid_op 0
		.amdhsa_exception_fp_denorm_src 0
		.amdhsa_exception_fp_ieee_div_zero 0
		.amdhsa_exception_fp_ieee_overflow 0
		.amdhsa_exception_fp_ieee_underflow 0
		.amdhsa_exception_fp_ieee_inexact 0
		.amdhsa_exception_int_div_zero 0
	.end_amdhsa_kernel
	.section	.text._ZN7rocprim17ROCPRIM_400000_NS6detail17trampoline_kernelINS0_14default_configENS1_21merge_config_selectorIxNS0_10empty_typeEEEZNS1_10merge_implIS3_N6thrust23THRUST_200600_302600_NS6detail15normal_iteratorINS9_10device_ptrIKxEEEESF_NSB_INSC_IxEEEEPS5_SI_SI_NS9_4lessIxEEEE10hipError_tPvRmT0_T1_T2_T3_T4_T5_mmT6_P12ihipStream_tbEUlT_E0_NS1_11comp_targetILNS1_3genE10ELNS1_11target_archE1201ELNS1_3gpuE5ELNS1_3repE0EEENS1_30default_config_static_selectorELNS0_4arch9wavefront6targetE1EEEvSP_,"axG",@progbits,_ZN7rocprim17ROCPRIM_400000_NS6detail17trampoline_kernelINS0_14default_configENS1_21merge_config_selectorIxNS0_10empty_typeEEEZNS1_10merge_implIS3_N6thrust23THRUST_200600_302600_NS6detail15normal_iteratorINS9_10device_ptrIKxEEEESF_NSB_INSC_IxEEEEPS5_SI_SI_NS9_4lessIxEEEE10hipError_tPvRmT0_T1_T2_T3_T4_T5_mmT6_P12ihipStream_tbEUlT_E0_NS1_11comp_targetILNS1_3genE10ELNS1_11target_archE1201ELNS1_3gpuE5ELNS1_3repE0EEENS1_30default_config_static_selectorELNS0_4arch9wavefront6targetE1EEEvSP_,comdat
.Lfunc_end221:
	.size	_ZN7rocprim17ROCPRIM_400000_NS6detail17trampoline_kernelINS0_14default_configENS1_21merge_config_selectorIxNS0_10empty_typeEEEZNS1_10merge_implIS3_N6thrust23THRUST_200600_302600_NS6detail15normal_iteratorINS9_10device_ptrIKxEEEESF_NSB_INSC_IxEEEEPS5_SI_SI_NS9_4lessIxEEEE10hipError_tPvRmT0_T1_T2_T3_T4_T5_mmT6_P12ihipStream_tbEUlT_E0_NS1_11comp_targetILNS1_3genE10ELNS1_11target_archE1201ELNS1_3gpuE5ELNS1_3repE0EEENS1_30default_config_static_selectorELNS0_4arch9wavefront6targetE1EEEvSP_, .Lfunc_end221-_ZN7rocprim17ROCPRIM_400000_NS6detail17trampoline_kernelINS0_14default_configENS1_21merge_config_selectorIxNS0_10empty_typeEEEZNS1_10merge_implIS3_N6thrust23THRUST_200600_302600_NS6detail15normal_iteratorINS9_10device_ptrIKxEEEESF_NSB_INSC_IxEEEEPS5_SI_SI_NS9_4lessIxEEEE10hipError_tPvRmT0_T1_T2_T3_T4_T5_mmT6_P12ihipStream_tbEUlT_E0_NS1_11comp_targetILNS1_3genE10ELNS1_11target_archE1201ELNS1_3gpuE5ELNS1_3repE0EEENS1_30default_config_static_selectorELNS0_4arch9wavefront6targetE1EEEvSP_
                                        ; -- End function
	.section	.AMDGPU.csdata,"",@progbits
; Kernel info:
; codeLenInByte = 0
; NumSgprs: 4
; NumVgprs: 0
; NumAgprs: 0
; TotalNumVgprs: 0
; ScratchSize: 0
; MemoryBound: 0
; FloatMode: 240
; IeeeMode: 1
; LDSByteSize: 0 bytes/workgroup (compile time only)
; SGPRBlocks: 0
; VGPRBlocks: 0
; NumSGPRsForWavesPerEU: 4
; NumVGPRsForWavesPerEU: 1
; AccumOffset: 4
; Occupancy: 8
; WaveLimiterHint : 0
; COMPUTE_PGM_RSRC2:SCRATCH_EN: 0
; COMPUTE_PGM_RSRC2:USER_SGPR: 6
; COMPUTE_PGM_RSRC2:TRAP_HANDLER: 0
; COMPUTE_PGM_RSRC2:TGID_X_EN: 1
; COMPUTE_PGM_RSRC2:TGID_Y_EN: 0
; COMPUTE_PGM_RSRC2:TGID_Z_EN: 0
; COMPUTE_PGM_RSRC2:TIDIG_COMP_CNT: 0
; COMPUTE_PGM_RSRC3_GFX90A:ACCUM_OFFSET: 0
; COMPUTE_PGM_RSRC3_GFX90A:TG_SPLIT: 0
	.section	.text._ZN7rocprim17ROCPRIM_400000_NS6detail17trampoline_kernelINS0_14default_configENS1_21merge_config_selectorIxNS0_10empty_typeEEEZNS1_10merge_implIS3_N6thrust23THRUST_200600_302600_NS6detail15normal_iteratorINS9_10device_ptrIKxEEEESF_NSB_INSC_IxEEEEPS5_SI_SI_NS9_4lessIxEEEE10hipError_tPvRmT0_T1_T2_T3_T4_T5_mmT6_P12ihipStream_tbEUlT_E0_NS1_11comp_targetILNS1_3genE10ELNS1_11target_archE1200ELNS1_3gpuE4ELNS1_3repE0EEENS1_30default_config_static_selectorELNS0_4arch9wavefront6targetE1EEEvSP_,"axG",@progbits,_ZN7rocprim17ROCPRIM_400000_NS6detail17trampoline_kernelINS0_14default_configENS1_21merge_config_selectorIxNS0_10empty_typeEEEZNS1_10merge_implIS3_N6thrust23THRUST_200600_302600_NS6detail15normal_iteratorINS9_10device_ptrIKxEEEESF_NSB_INSC_IxEEEEPS5_SI_SI_NS9_4lessIxEEEE10hipError_tPvRmT0_T1_T2_T3_T4_T5_mmT6_P12ihipStream_tbEUlT_E0_NS1_11comp_targetILNS1_3genE10ELNS1_11target_archE1200ELNS1_3gpuE4ELNS1_3repE0EEENS1_30default_config_static_selectorELNS0_4arch9wavefront6targetE1EEEvSP_,comdat
	.protected	_ZN7rocprim17ROCPRIM_400000_NS6detail17trampoline_kernelINS0_14default_configENS1_21merge_config_selectorIxNS0_10empty_typeEEEZNS1_10merge_implIS3_N6thrust23THRUST_200600_302600_NS6detail15normal_iteratorINS9_10device_ptrIKxEEEESF_NSB_INSC_IxEEEEPS5_SI_SI_NS9_4lessIxEEEE10hipError_tPvRmT0_T1_T2_T3_T4_T5_mmT6_P12ihipStream_tbEUlT_E0_NS1_11comp_targetILNS1_3genE10ELNS1_11target_archE1200ELNS1_3gpuE4ELNS1_3repE0EEENS1_30default_config_static_selectorELNS0_4arch9wavefront6targetE1EEEvSP_ ; -- Begin function _ZN7rocprim17ROCPRIM_400000_NS6detail17trampoline_kernelINS0_14default_configENS1_21merge_config_selectorIxNS0_10empty_typeEEEZNS1_10merge_implIS3_N6thrust23THRUST_200600_302600_NS6detail15normal_iteratorINS9_10device_ptrIKxEEEESF_NSB_INSC_IxEEEEPS5_SI_SI_NS9_4lessIxEEEE10hipError_tPvRmT0_T1_T2_T3_T4_T5_mmT6_P12ihipStream_tbEUlT_E0_NS1_11comp_targetILNS1_3genE10ELNS1_11target_archE1200ELNS1_3gpuE4ELNS1_3repE0EEENS1_30default_config_static_selectorELNS0_4arch9wavefront6targetE1EEEvSP_
	.globl	_ZN7rocprim17ROCPRIM_400000_NS6detail17trampoline_kernelINS0_14default_configENS1_21merge_config_selectorIxNS0_10empty_typeEEEZNS1_10merge_implIS3_N6thrust23THRUST_200600_302600_NS6detail15normal_iteratorINS9_10device_ptrIKxEEEESF_NSB_INSC_IxEEEEPS5_SI_SI_NS9_4lessIxEEEE10hipError_tPvRmT0_T1_T2_T3_T4_T5_mmT6_P12ihipStream_tbEUlT_E0_NS1_11comp_targetILNS1_3genE10ELNS1_11target_archE1200ELNS1_3gpuE4ELNS1_3repE0EEENS1_30default_config_static_selectorELNS0_4arch9wavefront6targetE1EEEvSP_
	.p2align	8
	.type	_ZN7rocprim17ROCPRIM_400000_NS6detail17trampoline_kernelINS0_14default_configENS1_21merge_config_selectorIxNS0_10empty_typeEEEZNS1_10merge_implIS3_N6thrust23THRUST_200600_302600_NS6detail15normal_iteratorINS9_10device_ptrIKxEEEESF_NSB_INSC_IxEEEEPS5_SI_SI_NS9_4lessIxEEEE10hipError_tPvRmT0_T1_T2_T3_T4_T5_mmT6_P12ihipStream_tbEUlT_E0_NS1_11comp_targetILNS1_3genE10ELNS1_11target_archE1200ELNS1_3gpuE4ELNS1_3repE0EEENS1_30default_config_static_selectorELNS0_4arch9wavefront6targetE1EEEvSP_,@function
_ZN7rocprim17ROCPRIM_400000_NS6detail17trampoline_kernelINS0_14default_configENS1_21merge_config_selectorIxNS0_10empty_typeEEEZNS1_10merge_implIS3_N6thrust23THRUST_200600_302600_NS6detail15normal_iteratorINS9_10device_ptrIKxEEEESF_NSB_INSC_IxEEEEPS5_SI_SI_NS9_4lessIxEEEE10hipError_tPvRmT0_T1_T2_T3_T4_T5_mmT6_P12ihipStream_tbEUlT_E0_NS1_11comp_targetILNS1_3genE10ELNS1_11target_archE1200ELNS1_3gpuE4ELNS1_3repE0EEENS1_30default_config_static_selectorELNS0_4arch9wavefront6targetE1EEEvSP_: ; @_ZN7rocprim17ROCPRIM_400000_NS6detail17trampoline_kernelINS0_14default_configENS1_21merge_config_selectorIxNS0_10empty_typeEEEZNS1_10merge_implIS3_N6thrust23THRUST_200600_302600_NS6detail15normal_iteratorINS9_10device_ptrIKxEEEESF_NSB_INSC_IxEEEEPS5_SI_SI_NS9_4lessIxEEEE10hipError_tPvRmT0_T1_T2_T3_T4_T5_mmT6_P12ihipStream_tbEUlT_E0_NS1_11comp_targetILNS1_3genE10ELNS1_11target_archE1200ELNS1_3gpuE4ELNS1_3repE0EEENS1_30default_config_static_selectorELNS0_4arch9wavefront6targetE1EEEvSP_
; %bb.0:
	.section	.rodata,"a",@progbits
	.p2align	6, 0x0
	.amdhsa_kernel _ZN7rocprim17ROCPRIM_400000_NS6detail17trampoline_kernelINS0_14default_configENS1_21merge_config_selectorIxNS0_10empty_typeEEEZNS1_10merge_implIS3_N6thrust23THRUST_200600_302600_NS6detail15normal_iteratorINS9_10device_ptrIKxEEEESF_NSB_INSC_IxEEEEPS5_SI_SI_NS9_4lessIxEEEE10hipError_tPvRmT0_T1_T2_T3_T4_T5_mmT6_P12ihipStream_tbEUlT_E0_NS1_11comp_targetILNS1_3genE10ELNS1_11target_archE1200ELNS1_3gpuE4ELNS1_3repE0EEENS1_30default_config_static_selectorELNS0_4arch9wavefront6targetE1EEEvSP_
		.amdhsa_group_segment_fixed_size 0
		.amdhsa_private_segment_fixed_size 0
		.amdhsa_kernarg_size 88
		.amdhsa_user_sgpr_count 6
		.amdhsa_user_sgpr_private_segment_buffer 1
		.amdhsa_user_sgpr_dispatch_ptr 0
		.amdhsa_user_sgpr_queue_ptr 0
		.amdhsa_user_sgpr_kernarg_segment_ptr 1
		.amdhsa_user_sgpr_dispatch_id 0
		.amdhsa_user_sgpr_flat_scratch_init 0
		.amdhsa_user_sgpr_kernarg_preload_length 0
		.amdhsa_user_sgpr_kernarg_preload_offset 0
		.amdhsa_user_sgpr_private_segment_size 0
		.amdhsa_uses_dynamic_stack 0
		.amdhsa_system_sgpr_private_segment_wavefront_offset 0
		.amdhsa_system_sgpr_workgroup_id_x 1
		.amdhsa_system_sgpr_workgroup_id_y 0
		.amdhsa_system_sgpr_workgroup_id_z 0
		.amdhsa_system_sgpr_workgroup_info 0
		.amdhsa_system_vgpr_workitem_id 0
		.amdhsa_next_free_vgpr 1
		.amdhsa_next_free_sgpr 0
		.amdhsa_accum_offset 4
		.amdhsa_reserve_vcc 0
		.amdhsa_reserve_flat_scratch 0
		.amdhsa_float_round_mode_32 0
		.amdhsa_float_round_mode_16_64 0
		.amdhsa_float_denorm_mode_32 3
		.amdhsa_float_denorm_mode_16_64 3
		.amdhsa_dx10_clamp 1
		.amdhsa_ieee_mode 1
		.amdhsa_fp16_overflow 0
		.amdhsa_tg_split 0
		.amdhsa_exception_fp_ieee_invalid_op 0
		.amdhsa_exception_fp_denorm_src 0
		.amdhsa_exception_fp_ieee_div_zero 0
		.amdhsa_exception_fp_ieee_overflow 0
		.amdhsa_exception_fp_ieee_underflow 0
		.amdhsa_exception_fp_ieee_inexact 0
		.amdhsa_exception_int_div_zero 0
	.end_amdhsa_kernel
	.section	.text._ZN7rocprim17ROCPRIM_400000_NS6detail17trampoline_kernelINS0_14default_configENS1_21merge_config_selectorIxNS0_10empty_typeEEEZNS1_10merge_implIS3_N6thrust23THRUST_200600_302600_NS6detail15normal_iteratorINS9_10device_ptrIKxEEEESF_NSB_INSC_IxEEEEPS5_SI_SI_NS9_4lessIxEEEE10hipError_tPvRmT0_T1_T2_T3_T4_T5_mmT6_P12ihipStream_tbEUlT_E0_NS1_11comp_targetILNS1_3genE10ELNS1_11target_archE1200ELNS1_3gpuE4ELNS1_3repE0EEENS1_30default_config_static_selectorELNS0_4arch9wavefront6targetE1EEEvSP_,"axG",@progbits,_ZN7rocprim17ROCPRIM_400000_NS6detail17trampoline_kernelINS0_14default_configENS1_21merge_config_selectorIxNS0_10empty_typeEEEZNS1_10merge_implIS3_N6thrust23THRUST_200600_302600_NS6detail15normal_iteratorINS9_10device_ptrIKxEEEESF_NSB_INSC_IxEEEEPS5_SI_SI_NS9_4lessIxEEEE10hipError_tPvRmT0_T1_T2_T3_T4_T5_mmT6_P12ihipStream_tbEUlT_E0_NS1_11comp_targetILNS1_3genE10ELNS1_11target_archE1200ELNS1_3gpuE4ELNS1_3repE0EEENS1_30default_config_static_selectorELNS0_4arch9wavefront6targetE1EEEvSP_,comdat
.Lfunc_end222:
	.size	_ZN7rocprim17ROCPRIM_400000_NS6detail17trampoline_kernelINS0_14default_configENS1_21merge_config_selectorIxNS0_10empty_typeEEEZNS1_10merge_implIS3_N6thrust23THRUST_200600_302600_NS6detail15normal_iteratorINS9_10device_ptrIKxEEEESF_NSB_INSC_IxEEEEPS5_SI_SI_NS9_4lessIxEEEE10hipError_tPvRmT0_T1_T2_T3_T4_T5_mmT6_P12ihipStream_tbEUlT_E0_NS1_11comp_targetILNS1_3genE10ELNS1_11target_archE1200ELNS1_3gpuE4ELNS1_3repE0EEENS1_30default_config_static_selectorELNS0_4arch9wavefront6targetE1EEEvSP_, .Lfunc_end222-_ZN7rocprim17ROCPRIM_400000_NS6detail17trampoline_kernelINS0_14default_configENS1_21merge_config_selectorIxNS0_10empty_typeEEEZNS1_10merge_implIS3_N6thrust23THRUST_200600_302600_NS6detail15normal_iteratorINS9_10device_ptrIKxEEEESF_NSB_INSC_IxEEEEPS5_SI_SI_NS9_4lessIxEEEE10hipError_tPvRmT0_T1_T2_T3_T4_T5_mmT6_P12ihipStream_tbEUlT_E0_NS1_11comp_targetILNS1_3genE10ELNS1_11target_archE1200ELNS1_3gpuE4ELNS1_3repE0EEENS1_30default_config_static_selectorELNS0_4arch9wavefront6targetE1EEEvSP_
                                        ; -- End function
	.section	.AMDGPU.csdata,"",@progbits
; Kernel info:
; codeLenInByte = 0
; NumSgprs: 4
; NumVgprs: 0
; NumAgprs: 0
; TotalNumVgprs: 0
; ScratchSize: 0
; MemoryBound: 0
; FloatMode: 240
; IeeeMode: 1
; LDSByteSize: 0 bytes/workgroup (compile time only)
; SGPRBlocks: 0
; VGPRBlocks: 0
; NumSGPRsForWavesPerEU: 4
; NumVGPRsForWavesPerEU: 1
; AccumOffset: 4
; Occupancy: 8
; WaveLimiterHint : 0
; COMPUTE_PGM_RSRC2:SCRATCH_EN: 0
; COMPUTE_PGM_RSRC2:USER_SGPR: 6
; COMPUTE_PGM_RSRC2:TRAP_HANDLER: 0
; COMPUTE_PGM_RSRC2:TGID_X_EN: 1
; COMPUTE_PGM_RSRC2:TGID_Y_EN: 0
; COMPUTE_PGM_RSRC2:TGID_Z_EN: 0
; COMPUTE_PGM_RSRC2:TIDIG_COMP_CNT: 0
; COMPUTE_PGM_RSRC3_GFX90A:ACCUM_OFFSET: 0
; COMPUTE_PGM_RSRC3_GFX90A:TG_SPLIT: 0
	.section	.text._ZN7rocprim17ROCPRIM_400000_NS6detail17trampoline_kernelINS0_14default_configENS1_21merge_config_selectorIxNS0_10empty_typeEEEZNS1_10merge_implIS3_N6thrust23THRUST_200600_302600_NS6detail15normal_iteratorINS9_10device_ptrIKxEEEESF_NSB_INSC_IxEEEEPS5_SI_SI_NS9_4lessIxEEEE10hipError_tPvRmT0_T1_T2_T3_T4_T5_mmT6_P12ihipStream_tbEUlT_E0_NS1_11comp_targetILNS1_3genE9ELNS1_11target_archE1100ELNS1_3gpuE3ELNS1_3repE0EEENS1_30default_config_static_selectorELNS0_4arch9wavefront6targetE1EEEvSP_,"axG",@progbits,_ZN7rocprim17ROCPRIM_400000_NS6detail17trampoline_kernelINS0_14default_configENS1_21merge_config_selectorIxNS0_10empty_typeEEEZNS1_10merge_implIS3_N6thrust23THRUST_200600_302600_NS6detail15normal_iteratorINS9_10device_ptrIKxEEEESF_NSB_INSC_IxEEEEPS5_SI_SI_NS9_4lessIxEEEE10hipError_tPvRmT0_T1_T2_T3_T4_T5_mmT6_P12ihipStream_tbEUlT_E0_NS1_11comp_targetILNS1_3genE9ELNS1_11target_archE1100ELNS1_3gpuE3ELNS1_3repE0EEENS1_30default_config_static_selectorELNS0_4arch9wavefront6targetE1EEEvSP_,comdat
	.protected	_ZN7rocprim17ROCPRIM_400000_NS6detail17trampoline_kernelINS0_14default_configENS1_21merge_config_selectorIxNS0_10empty_typeEEEZNS1_10merge_implIS3_N6thrust23THRUST_200600_302600_NS6detail15normal_iteratorINS9_10device_ptrIKxEEEESF_NSB_INSC_IxEEEEPS5_SI_SI_NS9_4lessIxEEEE10hipError_tPvRmT0_T1_T2_T3_T4_T5_mmT6_P12ihipStream_tbEUlT_E0_NS1_11comp_targetILNS1_3genE9ELNS1_11target_archE1100ELNS1_3gpuE3ELNS1_3repE0EEENS1_30default_config_static_selectorELNS0_4arch9wavefront6targetE1EEEvSP_ ; -- Begin function _ZN7rocprim17ROCPRIM_400000_NS6detail17trampoline_kernelINS0_14default_configENS1_21merge_config_selectorIxNS0_10empty_typeEEEZNS1_10merge_implIS3_N6thrust23THRUST_200600_302600_NS6detail15normal_iteratorINS9_10device_ptrIKxEEEESF_NSB_INSC_IxEEEEPS5_SI_SI_NS9_4lessIxEEEE10hipError_tPvRmT0_T1_T2_T3_T4_T5_mmT6_P12ihipStream_tbEUlT_E0_NS1_11comp_targetILNS1_3genE9ELNS1_11target_archE1100ELNS1_3gpuE3ELNS1_3repE0EEENS1_30default_config_static_selectorELNS0_4arch9wavefront6targetE1EEEvSP_
	.globl	_ZN7rocprim17ROCPRIM_400000_NS6detail17trampoline_kernelINS0_14default_configENS1_21merge_config_selectorIxNS0_10empty_typeEEEZNS1_10merge_implIS3_N6thrust23THRUST_200600_302600_NS6detail15normal_iteratorINS9_10device_ptrIKxEEEESF_NSB_INSC_IxEEEEPS5_SI_SI_NS9_4lessIxEEEE10hipError_tPvRmT0_T1_T2_T3_T4_T5_mmT6_P12ihipStream_tbEUlT_E0_NS1_11comp_targetILNS1_3genE9ELNS1_11target_archE1100ELNS1_3gpuE3ELNS1_3repE0EEENS1_30default_config_static_selectorELNS0_4arch9wavefront6targetE1EEEvSP_
	.p2align	8
	.type	_ZN7rocprim17ROCPRIM_400000_NS6detail17trampoline_kernelINS0_14default_configENS1_21merge_config_selectorIxNS0_10empty_typeEEEZNS1_10merge_implIS3_N6thrust23THRUST_200600_302600_NS6detail15normal_iteratorINS9_10device_ptrIKxEEEESF_NSB_INSC_IxEEEEPS5_SI_SI_NS9_4lessIxEEEE10hipError_tPvRmT0_T1_T2_T3_T4_T5_mmT6_P12ihipStream_tbEUlT_E0_NS1_11comp_targetILNS1_3genE9ELNS1_11target_archE1100ELNS1_3gpuE3ELNS1_3repE0EEENS1_30default_config_static_selectorELNS0_4arch9wavefront6targetE1EEEvSP_,@function
_ZN7rocprim17ROCPRIM_400000_NS6detail17trampoline_kernelINS0_14default_configENS1_21merge_config_selectorIxNS0_10empty_typeEEEZNS1_10merge_implIS3_N6thrust23THRUST_200600_302600_NS6detail15normal_iteratorINS9_10device_ptrIKxEEEESF_NSB_INSC_IxEEEEPS5_SI_SI_NS9_4lessIxEEEE10hipError_tPvRmT0_T1_T2_T3_T4_T5_mmT6_P12ihipStream_tbEUlT_E0_NS1_11comp_targetILNS1_3genE9ELNS1_11target_archE1100ELNS1_3gpuE3ELNS1_3repE0EEENS1_30default_config_static_selectorELNS0_4arch9wavefront6targetE1EEEvSP_: ; @_ZN7rocprim17ROCPRIM_400000_NS6detail17trampoline_kernelINS0_14default_configENS1_21merge_config_selectorIxNS0_10empty_typeEEEZNS1_10merge_implIS3_N6thrust23THRUST_200600_302600_NS6detail15normal_iteratorINS9_10device_ptrIKxEEEESF_NSB_INSC_IxEEEEPS5_SI_SI_NS9_4lessIxEEEE10hipError_tPvRmT0_T1_T2_T3_T4_T5_mmT6_P12ihipStream_tbEUlT_E0_NS1_11comp_targetILNS1_3genE9ELNS1_11target_archE1100ELNS1_3gpuE3ELNS1_3repE0EEENS1_30default_config_static_selectorELNS0_4arch9wavefront6targetE1EEEvSP_
; %bb.0:
	.section	.rodata,"a",@progbits
	.p2align	6, 0x0
	.amdhsa_kernel _ZN7rocprim17ROCPRIM_400000_NS6detail17trampoline_kernelINS0_14default_configENS1_21merge_config_selectorIxNS0_10empty_typeEEEZNS1_10merge_implIS3_N6thrust23THRUST_200600_302600_NS6detail15normal_iteratorINS9_10device_ptrIKxEEEESF_NSB_INSC_IxEEEEPS5_SI_SI_NS9_4lessIxEEEE10hipError_tPvRmT0_T1_T2_T3_T4_T5_mmT6_P12ihipStream_tbEUlT_E0_NS1_11comp_targetILNS1_3genE9ELNS1_11target_archE1100ELNS1_3gpuE3ELNS1_3repE0EEENS1_30default_config_static_selectorELNS0_4arch9wavefront6targetE1EEEvSP_
		.amdhsa_group_segment_fixed_size 0
		.amdhsa_private_segment_fixed_size 0
		.amdhsa_kernarg_size 88
		.amdhsa_user_sgpr_count 6
		.amdhsa_user_sgpr_private_segment_buffer 1
		.amdhsa_user_sgpr_dispatch_ptr 0
		.amdhsa_user_sgpr_queue_ptr 0
		.amdhsa_user_sgpr_kernarg_segment_ptr 1
		.amdhsa_user_sgpr_dispatch_id 0
		.amdhsa_user_sgpr_flat_scratch_init 0
		.amdhsa_user_sgpr_kernarg_preload_length 0
		.amdhsa_user_sgpr_kernarg_preload_offset 0
		.amdhsa_user_sgpr_private_segment_size 0
		.amdhsa_uses_dynamic_stack 0
		.amdhsa_system_sgpr_private_segment_wavefront_offset 0
		.amdhsa_system_sgpr_workgroup_id_x 1
		.amdhsa_system_sgpr_workgroup_id_y 0
		.amdhsa_system_sgpr_workgroup_id_z 0
		.amdhsa_system_sgpr_workgroup_info 0
		.amdhsa_system_vgpr_workitem_id 0
		.amdhsa_next_free_vgpr 1
		.amdhsa_next_free_sgpr 0
		.amdhsa_accum_offset 4
		.amdhsa_reserve_vcc 0
		.amdhsa_reserve_flat_scratch 0
		.amdhsa_float_round_mode_32 0
		.amdhsa_float_round_mode_16_64 0
		.amdhsa_float_denorm_mode_32 3
		.amdhsa_float_denorm_mode_16_64 3
		.amdhsa_dx10_clamp 1
		.amdhsa_ieee_mode 1
		.amdhsa_fp16_overflow 0
		.amdhsa_tg_split 0
		.amdhsa_exception_fp_ieee_invalid_op 0
		.amdhsa_exception_fp_denorm_src 0
		.amdhsa_exception_fp_ieee_div_zero 0
		.amdhsa_exception_fp_ieee_overflow 0
		.amdhsa_exception_fp_ieee_underflow 0
		.amdhsa_exception_fp_ieee_inexact 0
		.amdhsa_exception_int_div_zero 0
	.end_amdhsa_kernel
	.section	.text._ZN7rocprim17ROCPRIM_400000_NS6detail17trampoline_kernelINS0_14default_configENS1_21merge_config_selectorIxNS0_10empty_typeEEEZNS1_10merge_implIS3_N6thrust23THRUST_200600_302600_NS6detail15normal_iteratorINS9_10device_ptrIKxEEEESF_NSB_INSC_IxEEEEPS5_SI_SI_NS9_4lessIxEEEE10hipError_tPvRmT0_T1_T2_T3_T4_T5_mmT6_P12ihipStream_tbEUlT_E0_NS1_11comp_targetILNS1_3genE9ELNS1_11target_archE1100ELNS1_3gpuE3ELNS1_3repE0EEENS1_30default_config_static_selectorELNS0_4arch9wavefront6targetE1EEEvSP_,"axG",@progbits,_ZN7rocprim17ROCPRIM_400000_NS6detail17trampoline_kernelINS0_14default_configENS1_21merge_config_selectorIxNS0_10empty_typeEEEZNS1_10merge_implIS3_N6thrust23THRUST_200600_302600_NS6detail15normal_iteratorINS9_10device_ptrIKxEEEESF_NSB_INSC_IxEEEEPS5_SI_SI_NS9_4lessIxEEEE10hipError_tPvRmT0_T1_T2_T3_T4_T5_mmT6_P12ihipStream_tbEUlT_E0_NS1_11comp_targetILNS1_3genE9ELNS1_11target_archE1100ELNS1_3gpuE3ELNS1_3repE0EEENS1_30default_config_static_selectorELNS0_4arch9wavefront6targetE1EEEvSP_,comdat
.Lfunc_end223:
	.size	_ZN7rocprim17ROCPRIM_400000_NS6detail17trampoline_kernelINS0_14default_configENS1_21merge_config_selectorIxNS0_10empty_typeEEEZNS1_10merge_implIS3_N6thrust23THRUST_200600_302600_NS6detail15normal_iteratorINS9_10device_ptrIKxEEEESF_NSB_INSC_IxEEEEPS5_SI_SI_NS9_4lessIxEEEE10hipError_tPvRmT0_T1_T2_T3_T4_T5_mmT6_P12ihipStream_tbEUlT_E0_NS1_11comp_targetILNS1_3genE9ELNS1_11target_archE1100ELNS1_3gpuE3ELNS1_3repE0EEENS1_30default_config_static_selectorELNS0_4arch9wavefront6targetE1EEEvSP_, .Lfunc_end223-_ZN7rocprim17ROCPRIM_400000_NS6detail17trampoline_kernelINS0_14default_configENS1_21merge_config_selectorIxNS0_10empty_typeEEEZNS1_10merge_implIS3_N6thrust23THRUST_200600_302600_NS6detail15normal_iteratorINS9_10device_ptrIKxEEEESF_NSB_INSC_IxEEEEPS5_SI_SI_NS9_4lessIxEEEE10hipError_tPvRmT0_T1_T2_T3_T4_T5_mmT6_P12ihipStream_tbEUlT_E0_NS1_11comp_targetILNS1_3genE9ELNS1_11target_archE1100ELNS1_3gpuE3ELNS1_3repE0EEENS1_30default_config_static_selectorELNS0_4arch9wavefront6targetE1EEEvSP_
                                        ; -- End function
	.section	.AMDGPU.csdata,"",@progbits
; Kernel info:
; codeLenInByte = 0
; NumSgprs: 4
; NumVgprs: 0
; NumAgprs: 0
; TotalNumVgprs: 0
; ScratchSize: 0
; MemoryBound: 0
; FloatMode: 240
; IeeeMode: 1
; LDSByteSize: 0 bytes/workgroup (compile time only)
; SGPRBlocks: 0
; VGPRBlocks: 0
; NumSGPRsForWavesPerEU: 4
; NumVGPRsForWavesPerEU: 1
; AccumOffset: 4
; Occupancy: 8
; WaveLimiterHint : 0
; COMPUTE_PGM_RSRC2:SCRATCH_EN: 0
; COMPUTE_PGM_RSRC2:USER_SGPR: 6
; COMPUTE_PGM_RSRC2:TRAP_HANDLER: 0
; COMPUTE_PGM_RSRC2:TGID_X_EN: 1
; COMPUTE_PGM_RSRC2:TGID_Y_EN: 0
; COMPUTE_PGM_RSRC2:TGID_Z_EN: 0
; COMPUTE_PGM_RSRC2:TIDIG_COMP_CNT: 0
; COMPUTE_PGM_RSRC3_GFX90A:ACCUM_OFFSET: 0
; COMPUTE_PGM_RSRC3_GFX90A:TG_SPLIT: 0
	.section	.text._ZN7rocprim17ROCPRIM_400000_NS6detail17trampoline_kernelINS0_14default_configENS1_21merge_config_selectorIxNS0_10empty_typeEEEZNS1_10merge_implIS3_N6thrust23THRUST_200600_302600_NS6detail15normal_iteratorINS9_10device_ptrIKxEEEESF_NSB_INSC_IxEEEEPS5_SI_SI_NS9_4lessIxEEEE10hipError_tPvRmT0_T1_T2_T3_T4_T5_mmT6_P12ihipStream_tbEUlT_E0_NS1_11comp_targetILNS1_3genE8ELNS1_11target_archE1030ELNS1_3gpuE2ELNS1_3repE0EEENS1_30default_config_static_selectorELNS0_4arch9wavefront6targetE1EEEvSP_,"axG",@progbits,_ZN7rocprim17ROCPRIM_400000_NS6detail17trampoline_kernelINS0_14default_configENS1_21merge_config_selectorIxNS0_10empty_typeEEEZNS1_10merge_implIS3_N6thrust23THRUST_200600_302600_NS6detail15normal_iteratorINS9_10device_ptrIKxEEEESF_NSB_INSC_IxEEEEPS5_SI_SI_NS9_4lessIxEEEE10hipError_tPvRmT0_T1_T2_T3_T4_T5_mmT6_P12ihipStream_tbEUlT_E0_NS1_11comp_targetILNS1_3genE8ELNS1_11target_archE1030ELNS1_3gpuE2ELNS1_3repE0EEENS1_30default_config_static_selectorELNS0_4arch9wavefront6targetE1EEEvSP_,comdat
	.protected	_ZN7rocprim17ROCPRIM_400000_NS6detail17trampoline_kernelINS0_14default_configENS1_21merge_config_selectorIxNS0_10empty_typeEEEZNS1_10merge_implIS3_N6thrust23THRUST_200600_302600_NS6detail15normal_iteratorINS9_10device_ptrIKxEEEESF_NSB_INSC_IxEEEEPS5_SI_SI_NS9_4lessIxEEEE10hipError_tPvRmT0_T1_T2_T3_T4_T5_mmT6_P12ihipStream_tbEUlT_E0_NS1_11comp_targetILNS1_3genE8ELNS1_11target_archE1030ELNS1_3gpuE2ELNS1_3repE0EEENS1_30default_config_static_selectorELNS0_4arch9wavefront6targetE1EEEvSP_ ; -- Begin function _ZN7rocprim17ROCPRIM_400000_NS6detail17trampoline_kernelINS0_14default_configENS1_21merge_config_selectorIxNS0_10empty_typeEEEZNS1_10merge_implIS3_N6thrust23THRUST_200600_302600_NS6detail15normal_iteratorINS9_10device_ptrIKxEEEESF_NSB_INSC_IxEEEEPS5_SI_SI_NS9_4lessIxEEEE10hipError_tPvRmT0_T1_T2_T3_T4_T5_mmT6_P12ihipStream_tbEUlT_E0_NS1_11comp_targetILNS1_3genE8ELNS1_11target_archE1030ELNS1_3gpuE2ELNS1_3repE0EEENS1_30default_config_static_selectorELNS0_4arch9wavefront6targetE1EEEvSP_
	.globl	_ZN7rocprim17ROCPRIM_400000_NS6detail17trampoline_kernelINS0_14default_configENS1_21merge_config_selectorIxNS0_10empty_typeEEEZNS1_10merge_implIS3_N6thrust23THRUST_200600_302600_NS6detail15normal_iteratorINS9_10device_ptrIKxEEEESF_NSB_INSC_IxEEEEPS5_SI_SI_NS9_4lessIxEEEE10hipError_tPvRmT0_T1_T2_T3_T4_T5_mmT6_P12ihipStream_tbEUlT_E0_NS1_11comp_targetILNS1_3genE8ELNS1_11target_archE1030ELNS1_3gpuE2ELNS1_3repE0EEENS1_30default_config_static_selectorELNS0_4arch9wavefront6targetE1EEEvSP_
	.p2align	8
	.type	_ZN7rocprim17ROCPRIM_400000_NS6detail17trampoline_kernelINS0_14default_configENS1_21merge_config_selectorIxNS0_10empty_typeEEEZNS1_10merge_implIS3_N6thrust23THRUST_200600_302600_NS6detail15normal_iteratorINS9_10device_ptrIKxEEEESF_NSB_INSC_IxEEEEPS5_SI_SI_NS9_4lessIxEEEE10hipError_tPvRmT0_T1_T2_T3_T4_T5_mmT6_P12ihipStream_tbEUlT_E0_NS1_11comp_targetILNS1_3genE8ELNS1_11target_archE1030ELNS1_3gpuE2ELNS1_3repE0EEENS1_30default_config_static_selectorELNS0_4arch9wavefront6targetE1EEEvSP_,@function
_ZN7rocprim17ROCPRIM_400000_NS6detail17trampoline_kernelINS0_14default_configENS1_21merge_config_selectorIxNS0_10empty_typeEEEZNS1_10merge_implIS3_N6thrust23THRUST_200600_302600_NS6detail15normal_iteratorINS9_10device_ptrIKxEEEESF_NSB_INSC_IxEEEEPS5_SI_SI_NS9_4lessIxEEEE10hipError_tPvRmT0_T1_T2_T3_T4_T5_mmT6_P12ihipStream_tbEUlT_E0_NS1_11comp_targetILNS1_3genE8ELNS1_11target_archE1030ELNS1_3gpuE2ELNS1_3repE0EEENS1_30default_config_static_selectorELNS0_4arch9wavefront6targetE1EEEvSP_: ; @_ZN7rocprim17ROCPRIM_400000_NS6detail17trampoline_kernelINS0_14default_configENS1_21merge_config_selectorIxNS0_10empty_typeEEEZNS1_10merge_implIS3_N6thrust23THRUST_200600_302600_NS6detail15normal_iteratorINS9_10device_ptrIKxEEEESF_NSB_INSC_IxEEEEPS5_SI_SI_NS9_4lessIxEEEE10hipError_tPvRmT0_T1_T2_T3_T4_T5_mmT6_P12ihipStream_tbEUlT_E0_NS1_11comp_targetILNS1_3genE8ELNS1_11target_archE1030ELNS1_3gpuE2ELNS1_3repE0EEENS1_30default_config_static_selectorELNS0_4arch9wavefront6targetE1EEEvSP_
; %bb.0:
	.section	.rodata,"a",@progbits
	.p2align	6, 0x0
	.amdhsa_kernel _ZN7rocprim17ROCPRIM_400000_NS6detail17trampoline_kernelINS0_14default_configENS1_21merge_config_selectorIxNS0_10empty_typeEEEZNS1_10merge_implIS3_N6thrust23THRUST_200600_302600_NS6detail15normal_iteratorINS9_10device_ptrIKxEEEESF_NSB_INSC_IxEEEEPS5_SI_SI_NS9_4lessIxEEEE10hipError_tPvRmT0_T1_T2_T3_T4_T5_mmT6_P12ihipStream_tbEUlT_E0_NS1_11comp_targetILNS1_3genE8ELNS1_11target_archE1030ELNS1_3gpuE2ELNS1_3repE0EEENS1_30default_config_static_selectorELNS0_4arch9wavefront6targetE1EEEvSP_
		.amdhsa_group_segment_fixed_size 0
		.amdhsa_private_segment_fixed_size 0
		.amdhsa_kernarg_size 88
		.amdhsa_user_sgpr_count 6
		.amdhsa_user_sgpr_private_segment_buffer 1
		.amdhsa_user_sgpr_dispatch_ptr 0
		.amdhsa_user_sgpr_queue_ptr 0
		.amdhsa_user_sgpr_kernarg_segment_ptr 1
		.amdhsa_user_sgpr_dispatch_id 0
		.amdhsa_user_sgpr_flat_scratch_init 0
		.amdhsa_user_sgpr_kernarg_preload_length 0
		.amdhsa_user_sgpr_kernarg_preload_offset 0
		.amdhsa_user_sgpr_private_segment_size 0
		.amdhsa_uses_dynamic_stack 0
		.amdhsa_system_sgpr_private_segment_wavefront_offset 0
		.amdhsa_system_sgpr_workgroup_id_x 1
		.amdhsa_system_sgpr_workgroup_id_y 0
		.amdhsa_system_sgpr_workgroup_id_z 0
		.amdhsa_system_sgpr_workgroup_info 0
		.amdhsa_system_vgpr_workitem_id 0
		.amdhsa_next_free_vgpr 1
		.amdhsa_next_free_sgpr 0
		.amdhsa_accum_offset 4
		.amdhsa_reserve_vcc 0
		.amdhsa_reserve_flat_scratch 0
		.amdhsa_float_round_mode_32 0
		.amdhsa_float_round_mode_16_64 0
		.amdhsa_float_denorm_mode_32 3
		.amdhsa_float_denorm_mode_16_64 3
		.amdhsa_dx10_clamp 1
		.amdhsa_ieee_mode 1
		.amdhsa_fp16_overflow 0
		.amdhsa_tg_split 0
		.amdhsa_exception_fp_ieee_invalid_op 0
		.amdhsa_exception_fp_denorm_src 0
		.amdhsa_exception_fp_ieee_div_zero 0
		.amdhsa_exception_fp_ieee_overflow 0
		.amdhsa_exception_fp_ieee_underflow 0
		.amdhsa_exception_fp_ieee_inexact 0
		.amdhsa_exception_int_div_zero 0
	.end_amdhsa_kernel
	.section	.text._ZN7rocprim17ROCPRIM_400000_NS6detail17trampoline_kernelINS0_14default_configENS1_21merge_config_selectorIxNS0_10empty_typeEEEZNS1_10merge_implIS3_N6thrust23THRUST_200600_302600_NS6detail15normal_iteratorINS9_10device_ptrIKxEEEESF_NSB_INSC_IxEEEEPS5_SI_SI_NS9_4lessIxEEEE10hipError_tPvRmT0_T1_T2_T3_T4_T5_mmT6_P12ihipStream_tbEUlT_E0_NS1_11comp_targetILNS1_3genE8ELNS1_11target_archE1030ELNS1_3gpuE2ELNS1_3repE0EEENS1_30default_config_static_selectorELNS0_4arch9wavefront6targetE1EEEvSP_,"axG",@progbits,_ZN7rocprim17ROCPRIM_400000_NS6detail17trampoline_kernelINS0_14default_configENS1_21merge_config_selectorIxNS0_10empty_typeEEEZNS1_10merge_implIS3_N6thrust23THRUST_200600_302600_NS6detail15normal_iteratorINS9_10device_ptrIKxEEEESF_NSB_INSC_IxEEEEPS5_SI_SI_NS9_4lessIxEEEE10hipError_tPvRmT0_T1_T2_T3_T4_T5_mmT6_P12ihipStream_tbEUlT_E0_NS1_11comp_targetILNS1_3genE8ELNS1_11target_archE1030ELNS1_3gpuE2ELNS1_3repE0EEENS1_30default_config_static_selectorELNS0_4arch9wavefront6targetE1EEEvSP_,comdat
.Lfunc_end224:
	.size	_ZN7rocprim17ROCPRIM_400000_NS6detail17trampoline_kernelINS0_14default_configENS1_21merge_config_selectorIxNS0_10empty_typeEEEZNS1_10merge_implIS3_N6thrust23THRUST_200600_302600_NS6detail15normal_iteratorINS9_10device_ptrIKxEEEESF_NSB_INSC_IxEEEEPS5_SI_SI_NS9_4lessIxEEEE10hipError_tPvRmT0_T1_T2_T3_T4_T5_mmT6_P12ihipStream_tbEUlT_E0_NS1_11comp_targetILNS1_3genE8ELNS1_11target_archE1030ELNS1_3gpuE2ELNS1_3repE0EEENS1_30default_config_static_selectorELNS0_4arch9wavefront6targetE1EEEvSP_, .Lfunc_end224-_ZN7rocprim17ROCPRIM_400000_NS6detail17trampoline_kernelINS0_14default_configENS1_21merge_config_selectorIxNS0_10empty_typeEEEZNS1_10merge_implIS3_N6thrust23THRUST_200600_302600_NS6detail15normal_iteratorINS9_10device_ptrIKxEEEESF_NSB_INSC_IxEEEEPS5_SI_SI_NS9_4lessIxEEEE10hipError_tPvRmT0_T1_T2_T3_T4_T5_mmT6_P12ihipStream_tbEUlT_E0_NS1_11comp_targetILNS1_3genE8ELNS1_11target_archE1030ELNS1_3gpuE2ELNS1_3repE0EEENS1_30default_config_static_selectorELNS0_4arch9wavefront6targetE1EEEvSP_
                                        ; -- End function
	.section	.AMDGPU.csdata,"",@progbits
; Kernel info:
; codeLenInByte = 0
; NumSgprs: 4
; NumVgprs: 0
; NumAgprs: 0
; TotalNumVgprs: 0
; ScratchSize: 0
; MemoryBound: 0
; FloatMode: 240
; IeeeMode: 1
; LDSByteSize: 0 bytes/workgroup (compile time only)
; SGPRBlocks: 0
; VGPRBlocks: 0
; NumSGPRsForWavesPerEU: 4
; NumVGPRsForWavesPerEU: 1
; AccumOffset: 4
; Occupancy: 8
; WaveLimiterHint : 0
; COMPUTE_PGM_RSRC2:SCRATCH_EN: 0
; COMPUTE_PGM_RSRC2:USER_SGPR: 6
; COMPUTE_PGM_RSRC2:TRAP_HANDLER: 0
; COMPUTE_PGM_RSRC2:TGID_X_EN: 1
; COMPUTE_PGM_RSRC2:TGID_Y_EN: 0
; COMPUTE_PGM_RSRC2:TGID_Z_EN: 0
; COMPUTE_PGM_RSRC2:TIDIG_COMP_CNT: 0
; COMPUTE_PGM_RSRC3_GFX90A:ACCUM_OFFSET: 0
; COMPUTE_PGM_RSRC3_GFX90A:TG_SPLIT: 0
	.section	.text._ZN7rocprim17ROCPRIM_400000_NS6detail17trampoline_kernelINS0_14default_configENS1_22reduce_config_selectorIN6thrust23THRUST_200600_302600_NS5tupleIblNS6_9null_typeES8_S8_S8_S8_S8_S8_S8_EEEEZNS1_11reduce_implILb1ES3_NS6_12zip_iteratorINS7_INS6_11hip_rocprim26transform_input_iterator_tIbNSD_35transform_pair_of_input_iterators_tIbNS6_6detail15normal_iteratorINS6_10device_ptrIKxEEEESL_NS6_8equal_toIxEEEENSG_9not_fun_tINSD_8identityEEEEENSD_19counting_iterator_tIlEES8_S8_S8_S8_S8_S8_S8_S8_EEEEPS9_S9_NSD_9__find_if7functorIS9_EEEE10hipError_tPvRmT1_T2_T3_mT4_P12ihipStream_tbEUlT_E0_NS1_11comp_targetILNS1_3genE0ELNS1_11target_archE4294967295ELNS1_3gpuE0ELNS1_3repE0EEENS1_30default_config_static_selectorELNS0_4arch9wavefront6targetE1EEEvS14_,"axG",@progbits,_ZN7rocprim17ROCPRIM_400000_NS6detail17trampoline_kernelINS0_14default_configENS1_22reduce_config_selectorIN6thrust23THRUST_200600_302600_NS5tupleIblNS6_9null_typeES8_S8_S8_S8_S8_S8_S8_EEEEZNS1_11reduce_implILb1ES3_NS6_12zip_iteratorINS7_INS6_11hip_rocprim26transform_input_iterator_tIbNSD_35transform_pair_of_input_iterators_tIbNS6_6detail15normal_iteratorINS6_10device_ptrIKxEEEESL_NS6_8equal_toIxEEEENSG_9not_fun_tINSD_8identityEEEEENSD_19counting_iterator_tIlEES8_S8_S8_S8_S8_S8_S8_S8_EEEEPS9_S9_NSD_9__find_if7functorIS9_EEEE10hipError_tPvRmT1_T2_T3_mT4_P12ihipStream_tbEUlT_E0_NS1_11comp_targetILNS1_3genE0ELNS1_11target_archE4294967295ELNS1_3gpuE0ELNS1_3repE0EEENS1_30default_config_static_selectorELNS0_4arch9wavefront6targetE1EEEvS14_,comdat
	.protected	_ZN7rocprim17ROCPRIM_400000_NS6detail17trampoline_kernelINS0_14default_configENS1_22reduce_config_selectorIN6thrust23THRUST_200600_302600_NS5tupleIblNS6_9null_typeES8_S8_S8_S8_S8_S8_S8_EEEEZNS1_11reduce_implILb1ES3_NS6_12zip_iteratorINS7_INS6_11hip_rocprim26transform_input_iterator_tIbNSD_35transform_pair_of_input_iterators_tIbNS6_6detail15normal_iteratorINS6_10device_ptrIKxEEEESL_NS6_8equal_toIxEEEENSG_9not_fun_tINSD_8identityEEEEENSD_19counting_iterator_tIlEES8_S8_S8_S8_S8_S8_S8_S8_EEEEPS9_S9_NSD_9__find_if7functorIS9_EEEE10hipError_tPvRmT1_T2_T3_mT4_P12ihipStream_tbEUlT_E0_NS1_11comp_targetILNS1_3genE0ELNS1_11target_archE4294967295ELNS1_3gpuE0ELNS1_3repE0EEENS1_30default_config_static_selectorELNS0_4arch9wavefront6targetE1EEEvS14_ ; -- Begin function _ZN7rocprim17ROCPRIM_400000_NS6detail17trampoline_kernelINS0_14default_configENS1_22reduce_config_selectorIN6thrust23THRUST_200600_302600_NS5tupleIblNS6_9null_typeES8_S8_S8_S8_S8_S8_S8_EEEEZNS1_11reduce_implILb1ES3_NS6_12zip_iteratorINS7_INS6_11hip_rocprim26transform_input_iterator_tIbNSD_35transform_pair_of_input_iterators_tIbNS6_6detail15normal_iteratorINS6_10device_ptrIKxEEEESL_NS6_8equal_toIxEEEENSG_9not_fun_tINSD_8identityEEEEENSD_19counting_iterator_tIlEES8_S8_S8_S8_S8_S8_S8_S8_EEEEPS9_S9_NSD_9__find_if7functorIS9_EEEE10hipError_tPvRmT1_T2_T3_mT4_P12ihipStream_tbEUlT_E0_NS1_11comp_targetILNS1_3genE0ELNS1_11target_archE4294967295ELNS1_3gpuE0ELNS1_3repE0EEENS1_30default_config_static_selectorELNS0_4arch9wavefront6targetE1EEEvS14_
	.globl	_ZN7rocprim17ROCPRIM_400000_NS6detail17trampoline_kernelINS0_14default_configENS1_22reduce_config_selectorIN6thrust23THRUST_200600_302600_NS5tupleIblNS6_9null_typeES8_S8_S8_S8_S8_S8_S8_EEEEZNS1_11reduce_implILb1ES3_NS6_12zip_iteratorINS7_INS6_11hip_rocprim26transform_input_iterator_tIbNSD_35transform_pair_of_input_iterators_tIbNS6_6detail15normal_iteratorINS6_10device_ptrIKxEEEESL_NS6_8equal_toIxEEEENSG_9not_fun_tINSD_8identityEEEEENSD_19counting_iterator_tIlEES8_S8_S8_S8_S8_S8_S8_S8_EEEEPS9_S9_NSD_9__find_if7functorIS9_EEEE10hipError_tPvRmT1_T2_T3_mT4_P12ihipStream_tbEUlT_E0_NS1_11comp_targetILNS1_3genE0ELNS1_11target_archE4294967295ELNS1_3gpuE0ELNS1_3repE0EEENS1_30default_config_static_selectorELNS0_4arch9wavefront6targetE1EEEvS14_
	.p2align	8
	.type	_ZN7rocprim17ROCPRIM_400000_NS6detail17trampoline_kernelINS0_14default_configENS1_22reduce_config_selectorIN6thrust23THRUST_200600_302600_NS5tupleIblNS6_9null_typeES8_S8_S8_S8_S8_S8_S8_EEEEZNS1_11reduce_implILb1ES3_NS6_12zip_iteratorINS7_INS6_11hip_rocprim26transform_input_iterator_tIbNSD_35transform_pair_of_input_iterators_tIbNS6_6detail15normal_iteratorINS6_10device_ptrIKxEEEESL_NS6_8equal_toIxEEEENSG_9not_fun_tINSD_8identityEEEEENSD_19counting_iterator_tIlEES8_S8_S8_S8_S8_S8_S8_S8_EEEEPS9_S9_NSD_9__find_if7functorIS9_EEEE10hipError_tPvRmT1_T2_T3_mT4_P12ihipStream_tbEUlT_E0_NS1_11comp_targetILNS1_3genE0ELNS1_11target_archE4294967295ELNS1_3gpuE0ELNS1_3repE0EEENS1_30default_config_static_selectorELNS0_4arch9wavefront6targetE1EEEvS14_,@function
_ZN7rocprim17ROCPRIM_400000_NS6detail17trampoline_kernelINS0_14default_configENS1_22reduce_config_selectorIN6thrust23THRUST_200600_302600_NS5tupleIblNS6_9null_typeES8_S8_S8_S8_S8_S8_S8_EEEEZNS1_11reduce_implILb1ES3_NS6_12zip_iteratorINS7_INS6_11hip_rocprim26transform_input_iterator_tIbNSD_35transform_pair_of_input_iterators_tIbNS6_6detail15normal_iteratorINS6_10device_ptrIKxEEEESL_NS6_8equal_toIxEEEENSG_9not_fun_tINSD_8identityEEEEENSD_19counting_iterator_tIlEES8_S8_S8_S8_S8_S8_S8_S8_EEEEPS9_S9_NSD_9__find_if7functorIS9_EEEE10hipError_tPvRmT1_T2_T3_mT4_P12ihipStream_tbEUlT_E0_NS1_11comp_targetILNS1_3genE0ELNS1_11target_archE4294967295ELNS1_3gpuE0ELNS1_3repE0EEENS1_30default_config_static_selectorELNS0_4arch9wavefront6targetE1EEEvS14_: ; @_ZN7rocprim17ROCPRIM_400000_NS6detail17trampoline_kernelINS0_14default_configENS1_22reduce_config_selectorIN6thrust23THRUST_200600_302600_NS5tupleIblNS6_9null_typeES8_S8_S8_S8_S8_S8_S8_EEEEZNS1_11reduce_implILb1ES3_NS6_12zip_iteratorINS7_INS6_11hip_rocprim26transform_input_iterator_tIbNSD_35transform_pair_of_input_iterators_tIbNS6_6detail15normal_iteratorINS6_10device_ptrIKxEEEESL_NS6_8equal_toIxEEEENSG_9not_fun_tINSD_8identityEEEEENSD_19counting_iterator_tIlEES8_S8_S8_S8_S8_S8_S8_S8_EEEEPS9_S9_NSD_9__find_if7functorIS9_EEEE10hipError_tPvRmT1_T2_T3_mT4_P12ihipStream_tbEUlT_E0_NS1_11comp_targetILNS1_3genE0ELNS1_11target_archE4294967295ELNS1_3gpuE0ELNS1_3repE0EEENS1_30default_config_static_selectorELNS0_4arch9wavefront6targetE1EEEvS14_
; %bb.0:
	.section	.rodata,"a",@progbits
	.p2align	6, 0x0
	.amdhsa_kernel _ZN7rocprim17ROCPRIM_400000_NS6detail17trampoline_kernelINS0_14default_configENS1_22reduce_config_selectorIN6thrust23THRUST_200600_302600_NS5tupleIblNS6_9null_typeES8_S8_S8_S8_S8_S8_S8_EEEEZNS1_11reduce_implILb1ES3_NS6_12zip_iteratorINS7_INS6_11hip_rocprim26transform_input_iterator_tIbNSD_35transform_pair_of_input_iterators_tIbNS6_6detail15normal_iteratorINS6_10device_ptrIKxEEEESL_NS6_8equal_toIxEEEENSG_9not_fun_tINSD_8identityEEEEENSD_19counting_iterator_tIlEES8_S8_S8_S8_S8_S8_S8_S8_EEEEPS9_S9_NSD_9__find_if7functorIS9_EEEE10hipError_tPvRmT1_T2_T3_mT4_P12ihipStream_tbEUlT_E0_NS1_11comp_targetILNS1_3genE0ELNS1_11target_archE4294967295ELNS1_3gpuE0ELNS1_3repE0EEENS1_30default_config_static_selectorELNS0_4arch9wavefront6targetE1EEEvS14_
		.amdhsa_group_segment_fixed_size 0
		.amdhsa_private_segment_fixed_size 0
		.amdhsa_kernarg_size 104
		.amdhsa_user_sgpr_count 6
		.amdhsa_user_sgpr_private_segment_buffer 1
		.amdhsa_user_sgpr_dispatch_ptr 0
		.amdhsa_user_sgpr_queue_ptr 0
		.amdhsa_user_sgpr_kernarg_segment_ptr 1
		.amdhsa_user_sgpr_dispatch_id 0
		.amdhsa_user_sgpr_flat_scratch_init 0
		.amdhsa_user_sgpr_kernarg_preload_length 0
		.amdhsa_user_sgpr_kernarg_preload_offset 0
		.amdhsa_user_sgpr_private_segment_size 0
		.amdhsa_uses_dynamic_stack 0
		.amdhsa_system_sgpr_private_segment_wavefront_offset 0
		.amdhsa_system_sgpr_workgroup_id_x 1
		.amdhsa_system_sgpr_workgroup_id_y 0
		.amdhsa_system_sgpr_workgroup_id_z 0
		.amdhsa_system_sgpr_workgroup_info 0
		.amdhsa_system_vgpr_workitem_id 0
		.amdhsa_next_free_vgpr 1
		.amdhsa_next_free_sgpr 0
		.amdhsa_accum_offset 4
		.amdhsa_reserve_vcc 0
		.amdhsa_reserve_flat_scratch 0
		.amdhsa_float_round_mode_32 0
		.amdhsa_float_round_mode_16_64 0
		.amdhsa_float_denorm_mode_32 3
		.amdhsa_float_denorm_mode_16_64 3
		.amdhsa_dx10_clamp 1
		.amdhsa_ieee_mode 1
		.amdhsa_fp16_overflow 0
		.amdhsa_tg_split 0
		.amdhsa_exception_fp_ieee_invalid_op 0
		.amdhsa_exception_fp_denorm_src 0
		.amdhsa_exception_fp_ieee_div_zero 0
		.amdhsa_exception_fp_ieee_overflow 0
		.amdhsa_exception_fp_ieee_underflow 0
		.amdhsa_exception_fp_ieee_inexact 0
		.amdhsa_exception_int_div_zero 0
	.end_amdhsa_kernel
	.section	.text._ZN7rocprim17ROCPRIM_400000_NS6detail17trampoline_kernelINS0_14default_configENS1_22reduce_config_selectorIN6thrust23THRUST_200600_302600_NS5tupleIblNS6_9null_typeES8_S8_S8_S8_S8_S8_S8_EEEEZNS1_11reduce_implILb1ES3_NS6_12zip_iteratorINS7_INS6_11hip_rocprim26transform_input_iterator_tIbNSD_35transform_pair_of_input_iterators_tIbNS6_6detail15normal_iteratorINS6_10device_ptrIKxEEEESL_NS6_8equal_toIxEEEENSG_9not_fun_tINSD_8identityEEEEENSD_19counting_iterator_tIlEES8_S8_S8_S8_S8_S8_S8_S8_EEEEPS9_S9_NSD_9__find_if7functorIS9_EEEE10hipError_tPvRmT1_T2_T3_mT4_P12ihipStream_tbEUlT_E0_NS1_11comp_targetILNS1_3genE0ELNS1_11target_archE4294967295ELNS1_3gpuE0ELNS1_3repE0EEENS1_30default_config_static_selectorELNS0_4arch9wavefront6targetE1EEEvS14_,"axG",@progbits,_ZN7rocprim17ROCPRIM_400000_NS6detail17trampoline_kernelINS0_14default_configENS1_22reduce_config_selectorIN6thrust23THRUST_200600_302600_NS5tupleIblNS6_9null_typeES8_S8_S8_S8_S8_S8_S8_EEEEZNS1_11reduce_implILb1ES3_NS6_12zip_iteratorINS7_INS6_11hip_rocprim26transform_input_iterator_tIbNSD_35transform_pair_of_input_iterators_tIbNS6_6detail15normal_iteratorINS6_10device_ptrIKxEEEESL_NS6_8equal_toIxEEEENSG_9not_fun_tINSD_8identityEEEEENSD_19counting_iterator_tIlEES8_S8_S8_S8_S8_S8_S8_S8_EEEEPS9_S9_NSD_9__find_if7functorIS9_EEEE10hipError_tPvRmT1_T2_T3_mT4_P12ihipStream_tbEUlT_E0_NS1_11comp_targetILNS1_3genE0ELNS1_11target_archE4294967295ELNS1_3gpuE0ELNS1_3repE0EEENS1_30default_config_static_selectorELNS0_4arch9wavefront6targetE1EEEvS14_,comdat
.Lfunc_end225:
	.size	_ZN7rocprim17ROCPRIM_400000_NS6detail17trampoline_kernelINS0_14default_configENS1_22reduce_config_selectorIN6thrust23THRUST_200600_302600_NS5tupleIblNS6_9null_typeES8_S8_S8_S8_S8_S8_S8_EEEEZNS1_11reduce_implILb1ES3_NS6_12zip_iteratorINS7_INS6_11hip_rocprim26transform_input_iterator_tIbNSD_35transform_pair_of_input_iterators_tIbNS6_6detail15normal_iteratorINS6_10device_ptrIKxEEEESL_NS6_8equal_toIxEEEENSG_9not_fun_tINSD_8identityEEEEENSD_19counting_iterator_tIlEES8_S8_S8_S8_S8_S8_S8_S8_EEEEPS9_S9_NSD_9__find_if7functorIS9_EEEE10hipError_tPvRmT1_T2_T3_mT4_P12ihipStream_tbEUlT_E0_NS1_11comp_targetILNS1_3genE0ELNS1_11target_archE4294967295ELNS1_3gpuE0ELNS1_3repE0EEENS1_30default_config_static_selectorELNS0_4arch9wavefront6targetE1EEEvS14_, .Lfunc_end225-_ZN7rocprim17ROCPRIM_400000_NS6detail17trampoline_kernelINS0_14default_configENS1_22reduce_config_selectorIN6thrust23THRUST_200600_302600_NS5tupleIblNS6_9null_typeES8_S8_S8_S8_S8_S8_S8_EEEEZNS1_11reduce_implILb1ES3_NS6_12zip_iteratorINS7_INS6_11hip_rocprim26transform_input_iterator_tIbNSD_35transform_pair_of_input_iterators_tIbNS6_6detail15normal_iteratorINS6_10device_ptrIKxEEEESL_NS6_8equal_toIxEEEENSG_9not_fun_tINSD_8identityEEEEENSD_19counting_iterator_tIlEES8_S8_S8_S8_S8_S8_S8_S8_EEEEPS9_S9_NSD_9__find_if7functorIS9_EEEE10hipError_tPvRmT1_T2_T3_mT4_P12ihipStream_tbEUlT_E0_NS1_11comp_targetILNS1_3genE0ELNS1_11target_archE4294967295ELNS1_3gpuE0ELNS1_3repE0EEENS1_30default_config_static_selectorELNS0_4arch9wavefront6targetE1EEEvS14_
                                        ; -- End function
	.section	.AMDGPU.csdata,"",@progbits
; Kernel info:
; codeLenInByte = 0
; NumSgprs: 4
; NumVgprs: 0
; NumAgprs: 0
; TotalNumVgprs: 0
; ScratchSize: 0
; MemoryBound: 0
; FloatMode: 240
; IeeeMode: 1
; LDSByteSize: 0 bytes/workgroup (compile time only)
; SGPRBlocks: 0
; VGPRBlocks: 0
; NumSGPRsForWavesPerEU: 4
; NumVGPRsForWavesPerEU: 1
; AccumOffset: 4
; Occupancy: 8
; WaveLimiterHint : 0
; COMPUTE_PGM_RSRC2:SCRATCH_EN: 0
; COMPUTE_PGM_RSRC2:USER_SGPR: 6
; COMPUTE_PGM_RSRC2:TRAP_HANDLER: 0
; COMPUTE_PGM_RSRC2:TGID_X_EN: 1
; COMPUTE_PGM_RSRC2:TGID_Y_EN: 0
; COMPUTE_PGM_RSRC2:TGID_Z_EN: 0
; COMPUTE_PGM_RSRC2:TIDIG_COMP_CNT: 0
; COMPUTE_PGM_RSRC3_GFX90A:ACCUM_OFFSET: 0
; COMPUTE_PGM_RSRC3_GFX90A:TG_SPLIT: 0
	.section	.text._ZN7rocprim17ROCPRIM_400000_NS6detail17trampoline_kernelINS0_14default_configENS1_22reduce_config_selectorIN6thrust23THRUST_200600_302600_NS5tupleIblNS6_9null_typeES8_S8_S8_S8_S8_S8_S8_EEEEZNS1_11reduce_implILb1ES3_NS6_12zip_iteratorINS7_INS6_11hip_rocprim26transform_input_iterator_tIbNSD_35transform_pair_of_input_iterators_tIbNS6_6detail15normal_iteratorINS6_10device_ptrIKxEEEESL_NS6_8equal_toIxEEEENSG_9not_fun_tINSD_8identityEEEEENSD_19counting_iterator_tIlEES8_S8_S8_S8_S8_S8_S8_S8_EEEEPS9_S9_NSD_9__find_if7functorIS9_EEEE10hipError_tPvRmT1_T2_T3_mT4_P12ihipStream_tbEUlT_E0_NS1_11comp_targetILNS1_3genE5ELNS1_11target_archE942ELNS1_3gpuE9ELNS1_3repE0EEENS1_30default_config_static_selectorELNS0_4arch9wavefront6targetE1EEEvS14_,"axG",@progbits,_ZN7rocprim17ROCPRIM_400000_NS6detail17trampoline_kernelINS0_14default_configENS1_22reduce_config_selectorIN6thrust23THRUST_200600_302600_NS5tupleIblNS6_9null_typeES8_S8_S8_S8_S8_S8_S8_EEEEZNS1_11reduce_implILb1ES3_NS6_12zip_iteratorINS7_INS6_11hip_rocprim26transform_input_iterator_tIbNSD_35transform_pair_of_input_iterators_tIbNS6_6detail15normal_iteratorINS6_10device_ptrIKxEEEESL_NS6_8equal_toIxEEEENSG_9not_fun_tINSD_8identityEEEEENSD_19counting_iterator_tIlEES8_S8_S8_S8_S8_S8_S8_S8_EEEEPS9_S9_NSD_9__find_if7functorIS9_EEEE10hipError_tPvRmT1_T2_T3_mT4_P12ihipStream_tbEUlT_E0_NS1_11comp_targetILNS1_3genE5ELNS1_11target_archE942ELNS1_3gpuE9ELNS1_3repE0EEENS1_30default_config_static_selectorELNS0_4arch9wavefront6targetE1EEEvS14_,comdat
	.protected	_ZN7rocprim17ROCPRIM_400000_NS6detail17trampoline_kernelINS0_14default_configENS1_22reduce_config_selectorIN6thrust23THRUST_200600_302600_NS5tupleIblNS6_9null_typeES8_S8_S8_S8_S8_S8_S8_EEEEZNS1_11reduce_implILb1ES3_NS6_12zip_iteratorINS7_INS6_11hip_rocprim26transform_input_iterator_tIbNSD_35transform_pair_of_input_iterators_tIbNS6_6detail15normal_iteratorINS6_10device_ptrIKxEEEESL_NS6_8equal_toIxEEEENSG_9not_fun_tINSD_8identityEEEEENSD_19counting_iterator_tIlEES8_S8_S8_S8_S8_S8_S8_S8_EEEEPS9_S9_NSD_9__find_if7functorIS9_EEEE10hipError_tPvRmT1_T2_T3_mT4_P12ihipStream_tbEUlT_E0_NS1_11comp_targetILNS1_3genE5ELNS1_11target_archE942ELNS1_3gpuE9ELNS1_3repE0EEENS1_30default_config_static_selectorELNS0_4arch9wavefront6targetE1EEEvS14_ ; -- Begin function _ZN7rocprim17ROCPRIM_400000_NS6detail17trampoline_kernelINS0_14default_configENS1_22reduce_config_selectorIN6thrust23THRUST_200600_302600_NS5tupleIblNS6_9null_typeES8_S8_S8_S8_S8_S8_S8_EEEEZNS1_11reduce_implILb1ES3_NS6_12zip_iteratorINS7_INS6_11hip_rocprim26transform_input_iterator_tIbNSD_35transform_pair_of_input_iterators_tIbNS6_6detail15normal_iteratorINS6_10device_ptrIKxEEEESL_NS6_8equal_toIxEEEENSG_9not_fun_tINSD_8identityEEEEENSD_19counting_iterator_tIlEES8_S8_S8_S8_S8_S8_S8_S8_EEEEPS9_S9_NSD_9__find_if7functorIS9_EEEE10hipError_tPvRmT1_T2_T3_mT4_P12ihipStream_tbEUlT_E0_NS1_11comp_targetILNS1_3genE5ELNS1_11target_archE942ELNS1_3gpuE9ELNS1_3repE0EEENS1_30default_config_static_selectorELNS0_4arch9wavefront6targetE1EEEvS14_
	.globl	_ZN7rocprim17ROCPRIM_400000_NS6detail17trampoline_kernelINS0_14default_configENS1_22reduce_config_selectorIN6thrust23THRUST_200600_302600_NS5tupleIblNS6_9null_typeES8_S8_S8_S8_S8_S8_S8_EEEEZNS1_11reduce_implILb1ES3_NS6_12zip_iteratorINS7_INS6_11hip_rocprim26transform_input_iterator_tIbNSD_35transform_pair_of_input_iterators_tIbNS6_6detail15normal_iteratorINS6_10device_ptrIKxEEEESL_NS6_8equal_toIxEEEENSG_9not_fun_tINSD_8identityEEEEENSD_19counting_iterator_tIlEES8_S8_S8_S8_S8_S8_S8_S8_EEEEPS9_S9_NSD_9__find_if7functorIS9_EEEE10hipError_tPvRmT1_T2_T3_mT4_P12ihipStream_tbEUlT_E0_NS1_11comp_targetILNS1_3genE5ELNS1_11target_archE942ELNS1_3gpuE9ELNS1_3repE0EEENS1_30default_config_static_selectorELNS0_4arch9wavefront6targetE1EEEvS14_
	.p2align	8
	.type	_ZN7rocprim17ROCPRIM_400000_NS6detail17trampoline_kernelINS0_14default_configENS1_22reduce_config_selectorIN6thrust23THRUST_200600_302600_NS5tupleIblNS6_9null_typeES8_S8_S8_S8_S8_S8_S8_EEEEZNS1_11reduce_implILb1ES3_NS6_12zip_iteratorINS7_INS6_11hip_rocprim26transform_input_iterator_tIbNSD_35transform_pair_of_input_iterators_tIbNS6_6detail15normal_iteratorINS6_10device_ptrIKxEEEESL_NS6_8equal_toIxEEEENSG_9not_fun_tINSD_8identityEEEEENSD_19counting_iterator_tIlEES8_S8_S8_S8_S8_S8_S8_S8_EEEEPS9_S9_NSD_9__find_if7functorIS9_EEEE10hipError_tPvRmT1_T2_T3_mT4_P12ihipStream_tbEUlT_E0_NS1_11comp_targetILNS1_3genE5ELNS1_11target_archE942ELNS1_3gpuE9ELNS1_3repE0EEENS1_30default_config_static_selectorELNS0_4arch9wavefront6targetE1EEEvS14_,@function
_ZN7rocprim17ROCPRIM_400000_NS6detail17trampoline_kernelINS0_14default_configENS1_22reduce_config_selectorIN6thrust23THRUST_200600_302600_NS5tupleIblNS6_9null_typeES8_S8_S8_S8_S8_S8_S8_EEEEZNS1_11reduce_implILb1ES3_NS6_12zip_iteratorINS7_INS6_11hip_rocprim26transform_input_iterator_tIbNSD_35transform_pair_of_input_iterators_tIbNS6_6detail15normal_iteratorINS6_10device_ptrIKxEEEESL_NS6_8equal_toIxEEEENSG_9not_fun_tINSD_8identityEEEEENSD_19counting_iterator_tIlEES8_S8_S8_S8_S8_S8_S8_S8_EEEEPS9_S9_NSD_9__find_if7functorIS9_EEEE10hipError_tPvRmT1_T2_T3_mT4_P12ihipStream_tbEUlT_E0_NS1_11comp_targetILNS1_3genE5ELNS1_11target_archE942ELNS1_3gpuE9ELNS1_3repE0EEENS1_30default_config_static_selectorELNS0_4arch9wavefront6targetE1EEEvS14_: ; @_ZN7rocprim17ROCPRIM_400000_NS6detail17trampoline_kernelINS0_14default_configENS1_22reduce_config_selectorIN6thrust23THRUST_200600_302600_NS5tupleIblNS6_9null_typeES8_S8_S8_S8_S8_S8_S8_EEEEZNS1_11reduce_implILb1ES3_NS6_12zip_iteratorINS7_INS6_11hip_rocprim26transform_input_iterator_tIbNSD_35transform_pair_of_input_iterators_tIbNS6_6detail15normal_iteratorINS6_10device_ptrIKxEEEESL_NS6_8equal_toIxEEEENSG_9not_fun_tINSD_8identityEEEEENSD_19counting_iterator_tIlEES8_S8_S8_S8_S8_S8_S8_S8_EEEEPS9_S9_NSD_9__find_if7functorIS9_EEEE10hipError_tPvRmT1_T2_T3_mT4_P12ihipStream_tbEUlT_E0_NS1_11comp_targetILNS1_3genE5ELNS1_11target_archE942ELNS1_3gpuE9ELNS1_3repE0EEENS1_30default_config_static_selectorELNS0_4arch9wavefront6targetE1EEEvS14_
; %bb.0:
	.section	.rodata,"a",@progbits
	.p2align	6, 0x0
	.amdhsa_kernel _ZN7rocprim17ROCPRIM_400000_NS6detail17trampoline_kernelINS0_14default_configENS1_22reduce_config_selectorIN6thrust23THRUST_200600_302600_NS5tupleIblNS6_9null_typeES8_S8_S8_S8_S8_S8_S8_EEEEZNS1_11reduce_implILb1ES3_NS6_12zip_iteratorINS7_INS6_11hip_rocprim26transform_input_iterator_tIbNSD_35transform_pair_of_input_iterators_tIbNS6_6detail15normal_iteratorINS6_10device_ptrIKxEEEESL_NS6_8equal_toIxEEEENSG_9not_fun_tINSD_8identityEEEEENSD_19counting_iterator_tIlEES8_S8_S8_S8_S8_S8_S8_S8_EEEEPS9_S9_NSD_9__find_if7functorIS9_EEEE10hipError_tPvRmT1_T2_T3_mT4_P12ihipStream_tbEUlT_E0_NS1_11comp_targetILNS1_3genE5ELNS1_11target_archE942ELNS1_3gpuE9ELNS1_3repE0EEENS1_30default_config_static_selectorELNS0_4arch9wavefront6targetE1EEEvS14_
		.amdhsa_group_segment_fixed_size 0
		.amdhsa_private_segment_fixed_size 0
		.amdhsa_kernarg_size 104
		.amdhsa_user_sgpr_count 6
		.amdhsa_user_sgpr_private_segment_buffer 1
		.amdhsa_user_sgpr_dispatch_ptr 0
		.amdhsa_user_sgpr_queue_ptr 0
		.amdhsa_user_sgpr_kernarg_segment_ptr 1
		.amdhsa_user_sgpr_dispatch_id 0
		.amdhsa_user_sgpr_flat_scratch_init 0
		.amdhsa_user_sgpr_kernarg_preload_length 0
		.amdhsa_user_sgpr_kernarg_preload_offset 0
		.amdhsa_user_sgpr_private_segment_size 0
		.amdhsa_uses_dynamic_stack 0
		.amdhsa_system_sgpr_private_segment_wavefront_offset 0
		.amdhsa_system_sgpr_workgroup_id_x 1
		.amdhsa_system_sgpr_workgroup_id_y 0
		.amdhsa_system_sgpr_workgroup_id_z 0
		.amdhsa_system_sgpr_workgroup_info 0
		.amdhsa_system_vgpr_workitem_id 0
		.amdhsa_next_free_vgpr 1
		.amdhsa_next_free_sgpr 0
		.amdhsa_accum_offset 4
		.amdhsa_reserve_vcc 0
		.amdhsa_reserve_flat_scratch 0
		.amdhsa_float_round_mode_32 0
		.amdhsa_float_round_mode_16_64 0
		.amdhsa_float_denorm_mode_32 3
		.amdhsa_float_denorm_mode_16_64 3
		.amdhsa_dx10_clamp 1
		.amdhsa_ieee_mode 1
		.amdhsa_fp16_overflow 0
		.amdhsa_tg_split 0
		.amdhsa_exception_fp_ieee_invalid_op 0
		.amdhsa_exception_fp_denorm_src 0
		.amdhsa_exception_fp_ieee_div_zero 0
		.amdhsa_exception_fp_ieee_overflow 0
		.amdhsa_exception_fp_ieee_underflow 0
		.amdhsa_exception_fp_ieee_inexact 0
		.amdhsa_exception_int_div_zero 0
	.end_amdhsa_kernel
	.section	.text._ZN7rocprim17ROCPRIM_400000_NS6detail17trampoline_kernelINS0_14default_configENS1_22reduce_config_selectorIN6thrust23THRUST_200600_302600_NS5tupleIblNS6_9null_typeES8_S8_S8_S8_S8_S8_S8_EEEEZNS1_11reduce_implILb1ES3_NS6_12zip_iteratorINS7_INS6_11hip_rocprim26transform_input_iterator_tIbNSD_35transform_pair_of_input_iterators_tIbNS6_6detail15normal_iteratorINS6_10device_ptrIKxEEEESL_NS6_8equal_toIxEEEENSG_9not_fun_tINSD_8identityEEEEENSD_19counting_iterator_tIlEES8_S8_S8_S8_S8_S8_S8_S8_EEEEPS9_S9_NSD_9__find_if7functorIS9_EEEE10hipError_tPvRmT1_T2_T3_mT4_P12ihipStream_tbEUlT_E0_NS1_11comp_targetILNS1_3genE5ELNS1_11target_archE942ELNS1_3gpuE9ELNS1_3repE0EEENS1_30default_config_static_selectorELNS0_4arch9wavefront6targetE1EEEvS14_,"axG",@progbits,_ZN7rocprim17ROCPRIM_400000_NS6detail17trampoline_kernelINS0_14default_configENS1_22reduce_config_selectorIN6thrust23THRUST_200600_302600_NS5tupleIblNS6_9null_typeES8_S8_S8_S8_S8_S8_S8_EEEEZNS1_11reduce_implILb1ES3_NS6_12zip_iteratorINS7_INS6_11hip_rocprim26transform_input_iterator_tIbNSD_35transform_pair_of_input_iterators_tIbNS6_6detail15normal_iteratorINS6_10device_ptrIKxEEEESL_NS6_8equal_toIxEEEENSG_9not_fun_tINSD_8identityEEEEENSD_19counting_iterator_tIlEES8_S8_S8_S8_S8_S8_S8_S8_EEEEPS9_S9_NSD_9__find_if7functorIS9_EEEE10hipError_tPvRmT1_T2_T3_mT4_P12ihipStream_tbEUlT_E0_NS1_11comp_targetILNS1_3genE5ELNS1_11target_archE942ELNS1_3gpuE9ELNS1_3repE0EEENS1_30default_config_static_selectorELNS0_4arch9wavefront6targetE1EEEvS14_,comdat
.Lfunc_end226:
	.size	_ZN7rocprim17ROCPRIM_400000_NS6detail17trampoline_kernelINS0_14default_configENS1_22reduce_config_selectorIN6thrust23THRUST_200600_302600_NS5tupleIblNS6_9null_typeES8_S8_S8_S8_S8_S8_S8_EEEEZNS1_11reduce_implILb1ES3_NS6_12zip_iteratorINS7_INS6_11hip_rocprim26transform_input_iterator_tIbNSD_35transform_pair_of_input_iterators_tIbNS6_6detail15normal_iteratorINS6_10device_ptrIKxEEEESL_NS6_8equal_toIxEEEENSG_9not_fun_tINSD_8identityEEEEENSD_19counting_iterator_tIlEES8_S8_S8_S8_S8_S8_S8_S8_EEEEPS9_S9_NSD_9__find_if7functorIS9_EEEE10hipError_tPvRmT1_T2_T3_mT4_P12ihipStream_tbEUlT_E0_NS1_11comp_targetILNS1_3genE5ELNS1_11target_archE942ELNS1_3gpuE9ELNS1_3repE0EEENS1_30default_config_static_selectorELNS0_4arch9wavefront6targetE1EEEvS14_, .Lfunc_end226-_ZN7rocprim17ROCPRIM_400000_NS6detail17trampoline_kernelINS0_14default_configENS1_22reduce_config_selectorIN6thrust23THRUST_200600_302600_NS5tupleIblNS6_9null_typeES8_S8_S8_S8_S8_S8_S8_EEEEZNS1_11reduce_implILb1ES3_NS6_12zip_iteratorINS7_INS6_11hip_rocprim26transform_input_iterator_tIbNSD_35transform_pair_of_input_iterators_tIbNS6_6detail15normal_iteratorINS6_10device_ptrIKxEEEESL_NS6_8equal_toIxEEEENSG_9not_fun_tINSD_8identityEEEEENSD_19counting_iterator_tIlEES8_S8_S8_S8_S8_S8_S8_S8_EEEEPS9_S9_NSD_9__find_if7functorIS9_EEEE10hipError_tPvRmT1_T2_T3_mT4_P12ihipStream_tbEUlT_E0_NS1_11comp_targetILNS1_3genE5ELNS1_11target_archE942ELNS1_3gpuE9ELNS1_3repE0EEENS1_30default_config_static_selectorELNS0_4arch9wavefront6targetE1EEEvS14_
                                        ; -- End function
	.section	.AMDGPU.csdata,"",@progbits
; Kernel info:
; codeLenInByte = 0
; NumSgprs: 4
; NumVgprs: 0
; NumAgprs: 0
; TotalNumVgprs: 0
; ScratchSize: 0
; MemoryBound: 0
; FloatMode: 240
; IeeeMode: 1
; LDSByteSize: 0 bytes/workgroup (compile time only)
; SGPRBlocks: 0
; VGPRBlocks: 0
; NumSGPRsForWavesPerEU: 4
; NumVGPRsForWavesPerEU: 1
; AccumOffset: 4
; Occupancy: 8
; WaveLimiterHint : 0
; COMPUTE_PGM_RSRC2:SCRATCH_EN: 0
; COMPUTE_PGM_RSRC2:USER_SGPR: 6
; COMPUTE_PGM_RSRC2:TRAP_HANDLER: 0
; COMPUTE_PGM_RSRC2:TGID_X_EN: 1
; COMPUTE_PGM_RSRC2:TGID_Y_EN: 0
; COMPUTE_PGM_RSRC2:TGID_Z_EN: 0
; COMPUTE_PGM_RSRC2:TIDIG_COMP_CNT: 0
; COMPUTE_PGM_RSRC3_GFX90A:ACCUM_OFFSET: 0
; COMPUTE_PGM_RSRC3_GFX90A:TG_SPLIT: 0
	.section	.text._ZN7rocprim17ROCPRIM_400000_NS6detail17trampoline_kernelINS0_14default_configENS1_22reduce_config_selectorIN6thrust23THRUST_200600_302600_NS5tupleIblNS6_9null_typeES8_S8_S8_S8_S8_S8_S8_EEEEZNS1_11reduce_implILb1ES3_NS6_12zip_iteratorINS7_INS6_11hip_rocprim26transform_input_iterator_tIbNSD_35transform_pair_of_input_iterators_tIbNS6_6detail15normal_iteratorINS6_10device_ptrIKxEEEESL_NS6_8equal_toIxEEEENSG_9not_fun_tINSD_8identityEEEEENSD_19counting_iterator_tIlEES8_S8_S8_S8_S8_S8_S8_S8_EEEEPS9_S9_NSD_9__find_if7functorIS9_EEEE10hipError_tPvRmT1_T2_T3_mT4_P12ihipStream_tbEUlT_E0_NS1_11comp_targetILNS1_3genE4ELNS1_11target_archE910ELNS1_3gpuE8ELNS1_3repE0EEENS1_30default_config_static_selectorELNS0_4arch9wavefront6targetE1EEEvS14_,"axG",@progbits,_ZN7rocprim17ROCPRIM_400000_NS6detail17trampoline_kernelINS0_14default_configENS1_22reduce_config_selectorIN6thrust23THRUST_200600_302600_NS5tupleIblNS6_9null_typeES8_S8_S8_S8_S8_S8_S8_EEEEZNS1_11reduce_implILb1ES3_NS6_12zip_iteratorINS7_INS6_11hip_rocprim26transform_input_iterator_tIbNSD_35transform_pair_of_input_iterators_tIbNS6_6detail15normal_iteratorINS6_10device_ptrIKxEEEESL_NS6_8equal_toIxEEEENSG_9not_fun_tINSD_8identityEEEEENSD_19counting_iterator_tIlEES8_S8_S8_S8_S8_S8_S8_S8_EEEEPS9_S9_NSD_9__find_if7functorIS9_EEEE10hipError_tPvRmT1_T2_T3_mT4_P12ihipStream_tbEUlT_E0_NS1_11comp_targetILNS1_3genE4ELNS1_11target_archE910ELNS1_3gpuE8ELNS1_3repE0EEENS1_30default_config_static_selectorELNS0_4arch9wavefront6targetE1EEEvS14_,comdat
	.protected	_ZN7rocprim17ROCPRIM_400000_NS6detail17trampoline_kernelINS0_14default_configENS1_22reduce_config_selectorIN6thrust23THRUST_200600_302600_NS5tupleIblNS6_9null_typeES8_S8_S8_S8_S8_S8_S8_EEEEZNS1_11reduce_implILb1ES3_NS6_12zip_iteratorINS7_INS6_11hip_rocprim26transform_input_iterator_tIbNSD_35transform_pair_of_input_iterators_tIbNS6_6detail15normal_iteratorINS6_10device_ptrIKxEEEESL_NS6_8equal_toIxEEEENSG_9not_fun_tINSD_8identityEEEEENSD_19counting_iterator_tIlEES8_S8_S8_S8_S8_S8_S8_S8_EEEEPS9_S9_NSD_9__find_if7functorIS9_EEEE10hipError_tPvRmT1_T2_T3_mT4_P12ihipStream_tbEUlT_E0_NS1_11comp_targetILNS1_3genE4ELNS1_11target_archE910ELNS1_3gpuE8ELNS1_3repE0EEENS1_30default_config_static_selectorELNS0_4arch9wavefront6targetE1EEEvS14_ ; -- Begin function _ZN7rocprim17ROCPRIM_400000_NS6detail17trampoline_kernelINS0_14default_configENS1_22reduce_config_selectorIN6thrust23THRUST_200600_302600_NS5tupleIblNS6_9null_typeES8_S8_S8_S8_S8_S8_S8_EEEEZNS1_11reduce_implILb1ES3_NS6_12zip_iteratorINS7_INS6_11hip_rocprim26transform_input_iterator_tIbNSD_35transform_pair_of_input_iterators_tIbNS6_6detail15normal_iteratorINS6_10device_ptrIKxEEEESL_NS6_8equal_toIxEEEENSG_9not_fun_tINSD_8identityEEEEENSD_19counting_iterator_tIlEES8_S8_S8_S8_S8_S8_S8_S8_EEEEPS9_S9_NSD_9__find_if7functorIS9_EEEE10hipError_tPvRmT1_T2_T3_mT4_P12ihipStream_tbEUlT_E0_NS1_11comp_targetILNS1_3genE4ELNS1_11target_archE910ELNS1_3gpuE8ELNS1_3repE0EEENS1_30default_config_static_selectorELNS0_4arch9wavefront6targetE1EEEvS14_
	.globl	_ZN7rocprim17ROCPRIM_400000_NS6detail17trampoline_kernelINS0_14default_configENS1_22reduce_config_selectorIN6thrust23THRUST_200600_302600_NS5tupleIblNS6_9null_typeES8_S8_S8_S8_S8_S8_S8_EEEEZNS1_11reduce_implILb1ES3_NS6_12zip_iteratorINS7_INS6_11hip_rocprim26transform_input_iterator_tIbNSD_35transform_pair_of_input_iterators_tIbNS6_6detail15normal_iteratorINS6_10device_ptrIKxEEEESL_NS6_8equal_toIxEEEENSG_9not_fun_tINSD_8identityEEEEENSD_19counting_iterator_tIlEES8_S8_S8_S8_S8_S8_S8_S8_EEEEPS9_S9_NSD_9__find_if7functorIS9_EEEE10hipError_tPvRmT1_T2_T3_mT4_P12ihipStream_tbEUlT_E0_NS1_11comp_targetILNS1_3genE4ELNS1_11target_archE910ELNS1_3gpuE8ELNS1_3repE0EEENS1_30default_config_static_selectorELNS0_4arch9wavefront6targetE1EEEvS14_
	.p2align	8
	.type	_ZN7rocprim17ROCPRIM_400000_NS6detail17trampoline_kernelINS0_14default_configENS1_22reduce_config_selectorIN6thrust23THRUST_200600_302600_NS5tupleIblNS6_9null_typeES8_S8_S8_S8_S8_S8_S8_EEEEZNS1_11reduce_implILb1ES3_NS6_12zip_iteratorINS7_INS6_11hip_rocprim26transform_input_iterator_tIbNSD_35transform_pair_of_input_iterators_tIbNS6_6detail15normal_iteratorINS6_10device_ptrIKxEEEESL_NS6_8equal_toIxEEEENSG_9not_fun_tINSD_8identityEEEEENSD_19counting_iterator_tIlEES8_S8_S8_S8_S8_S8_S8_S8_EEEEPS9_S9_NSD_9__find_if7functorIS9_EEEE10hipError_tPvRmT1_T2_T3_mT4_P12ihipStream_tbEUlT_E0_NS1_11comp_targetILNS1_3genE4ELNS1_11target_archE910ELNS1_3gpuE8ELNS1_3repE0EEENS1_30default_config_static_selectorELNS0_4arch9wavefront6targetE1EEEvS14_,@function
_ZN7rocprim17ROCPRIM_400000_NS6detail17trampoline_kernelINS0_14default_configENS1_22reduce_config_selectorIN6thrust23THRUST_200600_302600_NS5tupleIblNS6_9null_typeES8_S8_S8_S8_S8_S8_S8_EEEEZNS1_11reduce_implILb1ES3_NS6_12zip_iteratorINS7_INS6_11hip_rocprim26transform_input_iterator_tIbNSD_35transform_pair_of_input_iterators_tIbNS6_6detail15normal_iteratorINS6_10device_ptrIKxEEEESL_NS6_8equal_toIxEEEENSG_9not_fun_tINSD_8identityEEEEENSD_19counting_iterator_tIlEES8_S8_S8_S8_S8_S8_S8_S8_EEEEPS9_S9_NSD_9__find_if7functorIS9_EEEE10hipError_tPvRmT1_T2_T3_mT4_P12ihipStream_tbEUlT_E0_NS1_11comp_targetILNS1_3genE4ELNS1_11target_archE910ELNS1_3gpuE8ELNS1_3repE0EEENS1_30default_config_static_selectorELNS0_4arch9wavefront6targetE1EEEvS14_: ; @_ZN7rocprim17ROCPRIM_400000_NS6detail17trampoline_kernelINS0_14default_configENS1_22reduce_config_selectorIN6thrust23THRUST_200600_302600_NS5tupleIblNS6_9null_typeES8_S8_S8_S8_S8_S8_S8_EEEEZNS1_11reduce_implILb1ES3_NS6_12zip_iteratorINS7_INS6_11hip_rocprim26transform_input_iterator_tIbNSD_35transform_pair_of_input_iterators_tIbNS6_6detail15normal_iteratorINS6_10device_ptrIKxEEEESL_NS6_8equal_toIxEEEENSG_9not_fun_tINSD_8identityEEEEENSD_19counting_iterator_tIlEES8_S8_S8_S8_S8_S8_S8_S8_EEEEPS9_S9_NSD_9__find_if7functorIS9_EEEE10hipError_tPvRmT1_T2_T3_mT4_P12ihipStream_tbEUlT_E0_NS1_11comp_targetILNS1_3genE4ELNS1_11target_archE910ELNS1_3gpuE8ELNS1_3repE0EEENS1_30default_config_static_selectorELNS0_4arch9wavefront6targetE1EEEvS14_
; %bb.0:
	s_load_dwordx8 s[8:15], s[4:5], 0x20
	s_load_dwordx4 s[0:3], s[4:5], 0x0
	s_load_dwordx4 s[16:19], s[4:5], 0x40
	s_mov_b32 s25, 0
	s_mov_b32 s7, s25
	s_waitcnt lgkmcnt(0)
	s_lshl_b64 s[20:21], s[10:11], 3
	s_add_u32 s22, s0, s20
	s_addc_u32 s23, s1, s21
	s_add_u32 s26, s2, s20
	s_addc_u32 s27, s3, s21
	s_lshl_b32 s24, s6, 9
	s_lshr_b64 s[0:1], s[12:13], 9
	s_lshl_b64 s[2:3], s[24:25], 3
	s_add_u32 s20, s22, s2
	s_addc_u32 s21, s23, s3
	s_add_u32 s22, s26, s2
	s_addc_u32 s23, s27, s3
	;; [unrolled: 2-line block ×4, first 2 shown]
	s_cmp_lg_u64 s[0:1], s[6:7]
	v_lshlrev_b32_e32 v1, 3, v0
	s_cbranch_scc0 .LBB227_18
; %bb.1:
	global_load_dwordx2 v[2:3], v1, s[22:23] offset:2048
	global_load_dwordx2 v[4:5], v1, s[22:23]
	global_load_dwordx2 v[6:7], v1, s[20:21] offset:2048
	global_load_dwordx2 v[8:9], v1, s[20:21]
	v_mov_b32_e32 v10, s9
	v_add_co_u32_e32 v11, vcc, s8, v0
	v_addc_co_u32_e32 v10, vcc, 0, v10, vcc
	v_add_co_u32_e32 v12, vcc, 0x100, v11
	v_addc_co_u32_e32 v13, vcc, 0, v10, vcc
	s_waitcnt vmcnt(1)
	v_cmp_ne_u64_e32 vcc, v[6:7], v[2:3]
	s_waitcnt vmcnt(0)
	v_cmp_ne_u64_e64 s[0:1], v[8:9], v[4:5]
	v_cndmask_b32_e64 v3, v13, v10, s[0:1]
	v_cndmask_b32_e64 v2, v12, v11, s[0:1]
	s_or_b64 s[0:1], s[0:1], vcc
	v_cndmask_b32_e64 v6, 0, 1, s[0:1]
	v_mov_b32_dpp v4, v2 quad_perm:[1,0,3,2] row_mask:0xf bank_mask:0xf bound_ctrl:1
	v_mov_b32_dpp v5, v3 quad_perm:[1,0,3,2] row_mask:0xf bank_mask:0xf bound_ctrl:1
	;; [unrolled: 1-line block ×3, first 2 shown]
	v_and_b32_e32 v8, 1, v7
	v_cmp_eq_u32_e32 vcc, 1, v8
	s_and_saveexec_b64 s[2:3], vcc
; %bb.2:
	v_cmp_lt_i64_e32 vcc, v[2:3], v[4:5]
	v_cndmask_b32_e64 v7, v7, 1, s[0:1]
	s_and_b64 vcc, s[0:1], vcc
	v_cndmask_b32_e32 v2, v4, v2, vcc
	v_and_b32_e32 v4, 1, v7
	v_cndmask_b32_e32 v3, v5, v3, vcc
	v_cmp_eq_u32_e32 vcc, 1, v4
	s_andn2_b64 s[0:1], s[0:1], exec
	s_and_b64 s[10:11], vcc, exec
	v_and_b32_e32 v6, 0xff, v7
	s_or_b64 s[0:1], s[0:1], s[10:11]
; %bb.3:
	s_or_b64 exec, exec, s[2:3]
	v_mov_b32_dpp v7, v6 quad_perm:[2,3,0,1] row_mask:0xf bank_mask:0xf bound_ctrl:1
	v_and_b32_e32 v8, 1, v7
	v_mov_b32_dpp v4, v2 quad_perm:[2,3,0,1] row_mask:0xf bank_mask:0xf bound_ctrl:1
	v_mov_b32_dpp v5, v3 quad_perm:[2,3,0,1] row_mask:0xf bank_mask:0xf bound_ctrl:1
	v_cmp_eq_u32_e32 vcc, 1, v8
	s_and_saveexec_b64 s[2:3], vcc
; %bb.4:
	v_cmp_lt_i64_e32 vcc, v[2:3], v[4:5]
	v_cndmask_b32_e64 v7, v7, 1, s[0:1]
	s_and_b64 vcc, s[0:1], vcc
	v_cndmask_b32_e32 v2, v4, v2, vcc
	v_and_b32_e32 v4, 1, v7
	v_cndmask_b32_e32 v3, v5, v3, vcc
	v_cmp_eq_u32_e32 vcc, 1, v4
	s_andn2_b64 s[0:1], s[0:1], exec
	s_and_b64 s[10:11], vcc, exec
	v_and_b32_e32 v6, 0xff, v7
	s_or_b64 s[0:1], s[0:1], s[10:11]
; %bb.5:
	s_or_b64 exec, exec, s[2:3]
	v_mov_b32_dpp v7, v6 row_ror:4 row_mask:0xf bank_mask:0xf bound_ctrl:1
	v_and_b32_e32 v8, 1, v7
	v_mov_b32_dpp v4, v2 row_ror:4 row_mask:0xf bank_mask:0xf bound_ctrl:1
	v_mov_b32_dpp v5, v3 row_ror:4 row_mask:0xf bank_mask:0xf bound_ctrl:1
	v_cmp_eq_u32_e32 vcc, 1, v8
	s_and_saveexec_b64 s[2:3], vcc
; %bb.6:
	v_cmp_lt_i64_e32 vcc, v[2:3], v[4:5]
	v_cndmask_b32_e64 v7, v7, 1, s[0:1]
	s_and_b64 vcc, s[0:1], vcc
	v_cndmask_b32_e32 v2, v4, v2, vcc
	v_and_b32_e32 v4, 1, v7
	v_cndmask_b32_e32 v3, v5, v3, vcc
	v_cmp_eq_u32_e32 vcc, 1, v4
	s_andn2_b64 s[0:1], s[0:1], exec
	s_and_b64 s[10:11], vcc, exec
	v_and_b32_e32 v6, 0xff, v7
	s_or_b64 s[0:1], s[0:1], s[10:11]
; %bb.7:
	s_or_b64 exec, exec, s[2:3]
	v_mov_b32_dpp v7, v6 row_ror:8 row_mask:0xf bank_mask:0xf bound_ctrl:1
	v_and_b32_e32 v8, 1, v7
	v_mov_b32_dpp v4, v2 row_ror:8 row_mask:0xf bank_mask:0xf bound_ctrl:1
	v_mov_b32_dpp v5, v3 row_ror:8 row_mask:0xf bank_mask:0xf bound_ctrl:1
	v_cmp_eq_u32_e32 vcc, 1, v8
	s_and_saveexec_b64 s[2:3], vcc
; %bb.8:
	v_cmp_lt_i64_e32 vcc, v[2:3], v[4:5]
	v_cndmask_b32_e64 v7, v7, 1, s[0:1]
	s_and_b64 vcc, s[0:1], vcc
	v_cndmask_b32_e32 v2, v4, v2, vcc
	v_and_b32_e32 v4, 1, v7
	v_cndmask_b32_e32 v3, v5, v3, vcc
	v_cmp_eq_u32_e32 vcc, 1, v4
	s_andn2_b64 s[0:1], s[0:1], exec
	s_and_b64 s[10:11], vcc, exec
	v_and_b32_e32 v6, 0xff, v7
	s_or_b64 s[0:1], s[0:1], s[10:11]
; %bb.9:
	s_or_b64 exec, exec, s[2:3]
	v_mov_b32_dpp v7, v6 row_bcast:15 row_mask:0xf bank_mask:0xf bound_ctrl:1
	v_and_b32_e32 v8, 1, v7
	v_mov_b32_dpp v4, v2 row_bcast:15 row_mask:0xf bank_mask:0xf bound_ctrl:1
	v_mov_b32_dpp v5, v3 row_bcast:15 row_mask:0xf bank_mask:0xf bound_ctrl:1
	v_cmp_eq_u32_e32 vcc, 1, v8
	s_and_saveexec_b64 s[2:3], vcc
; %bb.10:
	v_cmp_lt_i64_e32 vcc, v[2:3], v[4:5]
	v_cndmask_b32_e64 v7, v7, 1, s[0:1]
	s_and_b64 vcc, s[0:1], vcc
	v_cndmask_b32_e32 v2, v4, v2, vcc
	v_and_b32_e32 v4, 1, v7
	v_cndmask_b32_e32 v3, v5, v3, vcc
	v_cmp_eq_u32_e32 vcc, 1, v4
	s_andn2_b64 s[0:1], s[0:1], exec
	s_and_b64 s[10:11], vcc, exec
	v_and_b32_e32 v6, 0xff, v7
	s_or_b64 s[0:1], s[0:1], s[10:11]
; %bb.11:
	s_or_b64 exec, exec, s[2:3]
	v_mov_b32_dpp v7, v6 row_bcast:31 row_mask:0xf bank_mask:0xf bound_ctrl:1
	v_and_b32_e32 v8, 1, v7
	v_mov_b32_dpp v4, v2 row_bcast:31 row_mask:0xf bank_mask:0xf bound_ctrl:1
	v_mov_b32_dpp v5, v3 row_bcast:31 row_mask:0xf bank_mask:0xf bound_ctrl:1
	v_cmp_eq_u32_e32 vcc, 1, v8
	s_and_saveexec_b64 s[2:3], vcc
; %bb.12:
	v_cmp_lt_i64_e32 vcc, v[2:3], v[4:5]
	v_and_b32_e32 v6, 0xff, v7
	s_and_b64 vcc, s[0:1], vcc
	v_cndmask_b32_e32 v2, v4, v2, vcc
	v_cndmask_b32_e32 v3, v5, v3, vcc
	v_cndmask_b32_e64 v6, v6, 1, s[0:1]
; %bb.13:
	s_or_b64 exec, exec, s[2:3]
	v_mbcnt_lo_u32_b32 v4, -1, 0
	v_mbcnt_hi_u32_b32 v4, -1, v4
	v_bfrev_b32_e32 v5, 0.5
	v_lshl_or_b32 v5, v4, 2, v5
	ds_bpermute_b32 v6, v5, v6
	ds_bpermute_b32 v2, v5, v2
	;; [unrolled: 1-line block ×3, first 2 shown]
	v_cmp_eq_u32_e32 vcc, 0, v4
	s_and_saveexec_b64 s[0:1], vcc
	s_cbranch_execz .LBB227_15
; %bb.14:
	v_lshrrev_b32_e32 v5, 2, v0
	v_and_b32_e32 v5, 48, v5
	s_waitcnt lgkmcnt(2)
	ds_write_b8 v5, v6
	s_waitcnt lgkmcnt(1)
	ds_write_b64 v5, v[2:3] offset:8
.LBB227_15:
	s_or_b64 exec, exec, s[0:1]
	v_cmp_gt_u32_e32 vcc, 64, v0
	s_waitcnt lgkmcnt(0)
	s_barrier
	s_and_saveexec_b64 s[2:3], vcc
	s_cbranch_execz .LBB227_17
; %bb.16:
	v_and_b32_e32 v5, 3, v4
	v_lshlrev_b32_e32 v2, 4, v5
	ds_read_u8 v8, v2
	ds_read_b64 v[2:3], v2 offset:8
	v_cmp_ne_u32_e32 vcc, 3, v5
	v_addc_co_u32_e32 v6, vcc, 0, v4, vcc
	s_waitcnt lgkmcnt(1)
	v_and_b32_e32 v7, 0xff, v8
	v_lshlrev_b32_e32 v9, 2, v6
	ds_bpermute_b32 v10, v9, v7
	s_waitcnt lgkmcnt(1)
	ds_bpermute_b32 v6, v9, v2
	ds_bpermute_b32 v7, v9, v3
	v_and_b32_e32 v9, 1, v8
	s_waitcnt lgkmcnt(2)
	v_and_b32_e32 v11, 1, v10
	v_cmp_eq_u32_e64 s[0:1], 1, v11
	s_waitcnt lgkmcnt(0)
	v_cmp_lt_i64_e32 vcc, v[6:7], v[2:3]
	s_and_b64 vcc, s[0:1], vcc
	v_cndmask_b32_e64 v8, v8, 1, s[0:1]
	v_cndmask_b32_e32 v2, v2, v6, vcc
	v_cndmask_b32_e32 v3, v3, v7, vcc
	v_cmp_eq_u32_e32 vcc, 1, v9
	v_cndmask_b32_e32 v8, v10, v8, vcc
	v_cndmask_b32_e32 v3, v7, v3, vcc
	;; [unrolled: 1-line block ×3, first 2 shown]
	v_cmp_gt_u32_e32 vcc, 2, v5
	v_cndmask_b32_e64 v5, 0, 1, vcc
	v_lshlrev_b32_e32 v5, 1, v5
	v_and_b32_e32 v6, 0xff, v8
	v_add_lshl_u32 v5, v5, v4, 2
	ds_bpermute_b32 v6, v5, v6
	ds_bpermute_b32 v4, v5, v2
	;; [unrolled: 1-line block ×3, first 2 shown]
	v_and_b32_e32 v7, 1, v8
	s_waitcnt lgkmcnt(2)
	v_and_b32_e32 v9, 1, v6
	v_cmp_eq_u32_e64 s[0:1], 1, v9
	s_waitcnt lgkmcnt(0)
	v_cmp_lt_i64_e32 vcc, v[4:5], v[2:3]
	s_and_b64 vcc, s[0:1], vcc
	v_cndmask_b32_e64 v8, v8, 1, s[0:1]
	v_cndmask_b32_e32 v2, v2, v4, vcc
	v_cndmask_b32_e32 v3, v3, v5, vcc
	v_cmp_eq_u32_e32 vcc, 1, v7
	v_cndmask_b32_e32 v6, v6, v8, vcc
	v_cndmask_b32_e32 v3, v5, v3, vcc
	v_cndmask_b32_e32 v2, v4, v2, vcc
	v_and_b32_e32 v6, 0xff, v6
.LBB227_17:
	s_or_b64 exec, exec, s[2:3]
	s_load_dword s10, s[4:5], 0x50
	s_load_dwordx2 s[2:3], s[4:5], 0x58
	s_branch .LBB227_46
.LBB227_18:
                                        ; implicit-def: $vgpr2_vgpr3
                                        ; implicit-def: $vgpr6
	s_load_dword s10, s[4:5], 0x50
	s_load_dwordx2 s[2:3], s[4:5], 0x58
	s_cbranch_execz .LBB227_46
; %bb.19:
	s_sub_i32 s11, s12, s24
	v_pk_mov_b32 v[4:5], 0, 0
	v_cmp_gt_u32_e32 vcc, s11, v0
	v_mov_b32_e32 v6, 0
	v_pk_mov_b32 v[2:3], v[4:5], v[4:5] op_sel:[0,1]
	v_mov_b32_e32 v7, 0
	s_and_saveexec_b64 s[0:1], vcc
	s_cbranch_execz .LBB227_21
; %bb.20:
	global_load_dwordx2 v[8:9], v1, s[20:21]
	global_load_dwordx2 v[10:11], v1, s[22:23]
	v_mov_b32_e32 v3, s9
	v_add_co_u32_e32 v2, vcc, s8, v0
	v_addc_co_u32_e32 v3, vcc, 0, v3, vcc
	s_waitcnt vmcnt(0)
	v_cmp_ne_u64_e32 vcc, v[8:9], v[10:11]
	v_cndmask_b32_e64 v7, 0, 1, vcc
.LBB227_21:
	s_or_b64 exec, exec, s[0:1]
	v_or_b32_e32 v8, 0x100, v0
	v_cmp_gt_u32_e32 vcc, s11, v8
	s_and_saveexec_b64 s[4:5], vcc
	s_cbranch_execz .LBB227_23
; %bb.22:
	global_load_dwordx2 v[10:11], v1, s[20:21] offset:2048
	global_load_dwordx2 v[12:13], v1, s[22:23] offset:2048
	v_mov_b32_e32 v1, s9
	v_add_co_u32_e64 v4, s[0:1], s8, v8
	v_addc_co_u32_e64 v5, s[0:1], 0, v1, s[0:1]
	s_waitcnt vmcnt(0)
	v_cmp_ne_u64_e64 s[0:1], v[10:11], v[12:13]
	v_cndmask_b32_e64 v6, 0, 1, s[0:1]
.LBB227_23:
	s_or_b64 exec, exec, s[4:5]
	s_and_saveexec_b64 s[4:5], vcc
	s_cbranch_execz .LBB227_25
; %bb.24:
	v_and_b32_e32 v8, 1, v6
	v_cmp_lt_i64_e32 vcc, v[4:5], v[2:3]
	v_cmp_eq_u32_e64 s[0:1], 1, v8
	v_and_b32_e32 v1, 1, v7
	s_and_b64 vcc, s[0:1], vcc
	v_cndmask_b32_e64 v7, v7, 1, s[0:1]
	v_cndmask_b32_e32 v2, v2, v4, vcc
	v_cndmask_b32_e32 v3, v3, v5, vcc
	v_cmp_eq_u32_e32 vcc, 1, v1
	v_cndmask_b32_e32 v7, v6, v7, vcc
	v_cndmask_b32_e32 v3, v5, v3, vcc
	;; [unrolled: 1-line block ×3, first 2 shown]
.LBB227_25:
	s_or_b64 exec, exec, s[4:5]
	v_mbcnt_lo_u32_b32 v1, -1, 0
	v_mbcnt_hi_u32_b32 v1, -1, v1
	v_and_b32_e32 v8, 63, v1
	v_cmp_ne_u32_e32 vcc, 63, v8
	v_addc_co_u32_e32 v4, vcc, 0, v1, vcc
	v_and_b32_e32 v6, 0xffff, v7
	v_lshlrev_b32_e32 v5, 2, v4
	ds_bpermute_b32 v10, v5, v6
	ds_bpermute_b32 v4, v5, v2
	;; [unrolled: 1-line block ×3, first 2 shown]
	s_min_u32 s8, s11, 0x100
	v_and_b32_e32 v9, 0xc0, v0
	v_sub_u32_e64 v9, s8, v9 clamp
	v_add_u32_e32 v11, 1, v8
	v_cmp_lt_u32_e32 vcc, v11, v9
	s_and_saveexec_b64 s[4:5], vcc
	s_cbranch_execz .LBB227_27
; %bb.26:
	s_waitcnt lgkmcnt(0)
	v_and_b32_e32 v11, 1, v10
	v_cmp_lt_i64_e32 vcc, v[4:5], v[2:3]
	v_cmp_eq_u32_e64 s[0:1], 1, v11
	v_and_b32_e32 v6, 1, v7
	s_and_b64 vcc, s[0:1], vcc
	v_cndmask_b32_e64 v7, v7, 1, s[0:1]
	v_cndmask_b32_e32 v2, v2, v4, vcc
	v_cndmask_b32_e32 v3, v3, v5, vcc
	v_cmp_eq_u32_e32 vcc, 1, v6
	v_cndmask_b32_e32 v7, v10, v7, vcc
	v_cndmask_b32_e32 v3, v5, v3, vcc
	;; [unrolled: 1-line block ×3, first 2 shown]
	v_and_b32_e32 v6, 0xff, v7
.LBB227_27:
	s_or_b64 exec, exec, s[4:5]
	v_cmp_gt_u32_e32 vcc, 62, v8
	s_waitcnt lgkmcnt(0)
	v_cndmask_b32_e64 v4, 0, 1, vcc
	v_lshlrev_b32_e32 v4, 1, v4
	v_add_lshl_u32 v5, v4, v1, 2
	ds_bpermute_b32 v10, v5, v6
	ds_bpermute_b32 v4, v5, v2
	ds_bpermute_b32 v5, v5, v3
	v_add_u32_e32 v11, 2, v8
	v_cmp_lt_u32_e32 vcc, v11, v9
	s_and_saveexec_b64 s[4:5], vcc
	s_cbranch_execz .LBB227_29
; %bb.28:
	s_waitcnt lgkmcnt(2)
	v_and_b32_e32 v11, 1, v10
	s_waitcnt lgkmcnt(0)
	v_cmp_lt_i64_e32 vcc, v[4:5], v[2:3]
	v_cmp_eq_u32_e64 s[0:1], 1, v11
	v_and_b32_e32 v6, 1, v7
	s_and_b64 vcc, s[0:1], vcc
	v_cndmask_b32_e64 v7, v7, 1, s[0:1]
	v_cndmask_b32_e32 v2, v2, v4, vcc
	v_cndmask_b32_e32 v3, v3, v5, vcc
	v_cmp_eq_u32_e32 vcc, 1, v6
	v_cndmask_b32_e32 v7, v10, v7, vcc
	v_cndmask_b32_e32 v3, v5, v3, vcc
	v_cndmask_b32_e32 v2, v4, v2, vcc
	v_and_b32_e32 v6, 0xff, v7
.LBB227_29:
	s_or_b64 exec, exec, s[4:5]
	v_cmp_gt_u32_e32 vcc, 60, v8
	s_waitcnt lgkmcnt(1)
	v_cndmask_b32_e64 v4, 0, 1, vcc
	v_lshlrev_b32_e32 v4, 2, v4
	s_waitcnt lgkmcnt(0)
	v_add_lshl_u32 v5, v4, v1, 2
	ds_bpermute_b32 v10, v5, v6
	ds_bpermute_b32 v4, v5, v2
	ds_bpermute_b32 v5, v5, v3
	v_add_u32_e32 v11, 4, v8
	v_cmp_lt_u32_e32 vcc, v11, v9
	s_and_saveexec_b64 s[4:5], vcc
	s_cbranch_execz .LBB227_31
; %bb.30:
	s_waitcnt lgkmcnt(2)
	v_and_b32_e32 v11, 1, v10
	s_waitcnt lgkmcnt(0)
	v_cmp_lt_i64_e32 vcc, v[4:5], v[2:3]
	v_cmp_eq_u32_e64 s[0:1], 1, v11
	v_and_b32_e32 v6, 1, v7
	s_and_b64 vcc, s[0:1], vcc
	v_cndmask_b32_e64 v7, v7, 1, s[0:1]
	v_cndmask_b32_e32 v2, v2, v4, vcc
	v_cndmask_b32_e32 v3, v3, v5, vcc
	v_cmp_eq_u32_e32 vcc, 1, v6
	v_cndmask_b32_e32 v7, v10, v7, vcc
	v_cndmask_b32_e32 v3, v5, v3, vcc
	v_cndmask_b32_e32 v2, v4, v2, vcc
	v_and_b32_e32 v6, 0xff, v7
.LBB227_31:
	s_or_b64 exec, exec, s[4:5]
	v_cmp_gt_u32_e32 vcc, 56, v8
	s_waitcnt lgkmcnt(1)
	v_cndmask_b32_e64 v4, 0, 1, vcc
	v_lshlrev_b32_e32 v4, 3, v4
	s_waitcnt lgkmcnt(0)
	;; [unrolled: 31-line block ×4, first 2 shown]
	v_add_lshl_u32 v5, v4, v1, 2
	ds_bpermute_b32 v10, v5, v6
	ds_bpermute_b32 v4, v5, v2
	;; [unrolled: 1-line block ×3, first 2 shown]
	v_add_u32_e32 v8, 32, v8
	v_cmp_lt_u32_e32 vcc, v8, v9
	s_and_saveexec_b64 s[4:5], vcc
	s_cbranch_execz .LBB227_37
; %bb.36:
	s_waitcnt lgkmcnt(2)
	v_and_b32_e32 v8, 1, v10
	s_waitcnt lgkmcnt(0)
	v_cmp_lt_i64_e32 vcc, v[4:5], v[2:3]
	v_cmp_eq_u32_e64 s[0:1], 1, v8
	v_and_b32_e32 v6, 1, v7
	s_and_b64 vcc, s[0:1], vcc
	v_cndmask_b32_e64 v7, v7, 1, s[0:1]
	v_cndmask_b32_e32 v2, v2, v4, vcc
	v_cndmask_b32_e32 v3, v3, v5, vcc
	v_cmp_eq_u32_e32 vcc, 1, v6
	v_cndmask_b32_e32 v7, v10, v7, vcc
	v_cndmask_b32_e32 v3, v5, v3, vcc
	;; [unrolled: 1-line block ×3, first 2 shown]
	v_and_b32_e32 v6, 0xff, v7
.LBB227_37:
	s_or_b64 exec, exec, s[4:5]
	v_cmp_eq_u32_e32 vcc, 0, v1
	s_and_saveexec_b64 s[0:1], vcc
	s_cbranch_execz .LBB227_39
; %bb.38:
	s_waitcnt lgkmcnt(1)
	v_lshrrev_b32_e32 v4, 2, v0
	v_and_b32_e32 v4, 48, v4
	ds_write_b8 v4, v7 offset:64
	ds_write_b64 v4, v[2:3] offset:72
.LBB227_39:
	s_or_b64 exec, exec, s[0:1]
	v_cmp_gt_u32_e32 vcc, 4, v0
	s_waitcnt lgkmcnt(0)
	s_barrier
	s_and_saveexec_b64 s[4:5], vcc
	s_cbranch_execz .LBB227_45
; %bb.40:
	v_lshlrev_b32_e32 v2, 4, v1
	ds_read_u8 v7, v2 offset:64
	ds_read_b64 v[2:3], v2 offset:72
	v_and_b32_e32 v8, 3, v1
	v_cmp_ne_u32_e32 vcc, 3, v8
	v_addc_co_u32_e32 v4, vcc, 0, v1, vcc
	s_waitcnt lgkmcnt(1)
	v_and_b32_e32 v6, 0xff, v7
	v_lshlrev_b32_e32 v5, 2, v4
	ds_bpermute_b32 v9, v5, v6
	s_waitcnt lgkmcnt(1)
	ds_bpermute_b32 v4, v5, v2
	ds_bpermute_b32 v5, v5, v3
	s_add_i32 s8, s8, 63
	s_lshr_b32 s11, s8, 6
	v_add_u32_e32 v10, 1, v8
	v_cmp_gt_u32_e32 vcc, s11, v10
	s_and_saveexec_b64 s[8:9], vcc
	s_cbranch_execz .LBB227_42
; %bb.41:
	s_waitcnt lgkmcnt(2)
	v_and_b32_e32 v10, 1, v9
	s_waitcnt lgkmcnt(0)
	v_cmp_lt_i64_e32 vcc, v[4:5], v[2:3]
	v_cmp_eq_u32_e64 s[0:1], 1, v10
	v_and_b32_e32 v6, 1, v7
	s_and_b64 vcc, s[0:1], vcc
	v_cndmask_b32_e64 v7, v7, 1, s[0:1]
	v_cndmask_b32_e32 v2, v2, v4, vcc
	v_cndmask_b32_e32 v3, v3, v5, vcc
	v_cmp_eq_u32_e32 vcc, 1, v6
	v_cndmask_b32_e32 v7, v9, v7, vcc
	v_cndmask_b32_e32 v3, v5, v3, vcc
	;; [unrolled: 1-line block ×3, first 2 shown]
	v_and_b32_e32 v6, 0xff, v7
.LBB227_42:
	s_or_b64 exec, exec, s[8:9]
	v_cmp_gt_u32_e32 vcc, 2, v8
	s_waitcnt lgkmcnt(1)
	v_cndmask_b32_e64 v4, 0, 1, vcc
	v_lshlrev_b32_e32 v4, 1, v4
	s_waitcnt lgkmcnt(0)
	v_add_lshl_u32 v5, v4, v1, 2
	ds_bpermute_b32 v1, v5, v6
	ds_bpermute_b32 v4, v5, v2
	;; [unrolled: 1-line block ×3, first 2 shown]
	v_add_u32_e32 v8, 2, v8
	v_cmp_gt_u32_e32 vcc, s11, v8
	s_and_saveexec_b64 s[8:9], vcc
	s_cbranch_execz .LBB227_44
; %bb.43:
	s_waitcnt lgkmcnt(2)
	v_and_b32_e32 v8, 1, v1
	s_waitcnt lgkmcnt(0)
	v_cmp_lt_i64_e32 vcc, v[4:5], v[2:3]
	v_cmp_eq_u32_e64 s[0:1], 1, v8
	v_and_b32_e32 v6, 1, v7
	s_and_b64 vcc, s[0:1], vcc
	v_cndmask_b32_e64 v7, v7, 1, s[0:1]
	v_cndmask_b32_e32 v2, v2, v4, vcc
	v_cndmask_b32_e32 v3, v3, v5, vcc
	v_cmp_eq_u32_e32 vcc, 1, v6
	v_cndmask_b32_e32 v1, v1, v7, vcc
	v_cndmask_b32_e32 v3, v5, v3, vcc
	;; [unrolled: 1-line block ×3, first 2 shown]
	v_and_b32_e32 v6, 0xff, v1
.LBB227_44:
	s_or_b64 exec, exec, s[8:9]
.LBB227_45:
	s_or_b64 exec, exec, s[4:5]
.LBB227_46:
	v_cmp_eq_u32_e32 vcc, 0, v0
	s_and_saveexec_b64 s[0:1], vcc
	s_cbranch_execnz .LBB227_48
; %bb.47:
	s_endpgm
.LBB227_48:
	s_mul_i32 s0, s18, s17
	s_mul_hi_u32 s1, s18, s16
	s_add_i32 s0, s1, s0
	s_mul_i32 s1, s19, s16
	s_add_i32 s1, s0, s1
	s_mul_i32 s0, s18, s16
	s_lshl_b64 s[0:1], s[0:1], 4
	s_add_u32 s4, s14, s0
	s_addc_u32 s5, s15, s1
	s_cmp_eq_u64 s[12:13], 0
	s_waitcnt lgkmcnt(0)
	v_mov_b32_e32 v0, s3
	s_cselect_b64 vcc, -1, 0
	v_cndmask_b32_e32 v1, v3, v0, vcc
	v_mov_b32_e32 v0, s2
	s_lshl_b64 s[0:1], s[6:7], 4
	v_cndmask_b32_e32 v0, v2, v0, vcc
	v_mov_b32_e32 v2, s10
	s_add_u32 s0, s4, s0
	v_cndmask_b32_e32 v2, v6, v2, vcc
	s_addc_u32 s1, s5, s1
	v_mov_b32_e32 v3, 0
	global_store_byte v3, v2, s[0:1]
	global_store_dwordx2 v3, v[0:1], s[0:1] offset:8
	s_endpgm
	.section	.rodata,"a",@progbits
	.p2align	6, 0x0
	.amdhsa_kernel _ZN7rocprim17ROCPRIM_400000_NS6detail17trampoline_kernelINS0_14default_configENS1_22reduce_config_selectorIN6thrust23THRUST_200600_302600_NS5tupleIblNS6_9null_typeES8_S8_S8_S8_S8_S8_S8_EEEEZNS1_11reduce_implILb1ES3_NS6_12zip_iteratorINS7_INS6_11hip_rocprim26transform_input_iterator_tIbNSD_35transform_pair_of_input_iterators_tIbNS6_6detail15normal_iteratorINS6_10device_ptrIKxEEEESL_NS6_8equal_toIxEEEENSG_9not_fun_tINSD_8identityEEEEENSD_19counting_iterator_tIlEES8_S8_S8_S8_S8_S8_S8_S8_EEEEPS9_S9_NSD_9__find_if7functorIS9_EEEE10hipError_tPvRmT1_T2_T3_mT4_P12ihipStream_tbEUlT_E0_NS1_11comp_targetILNS1_3genE4ELNS1_11target_archE910ELNS1_3gpuE8ELNS1_3repE0EEENS1_30default_config_static_selectorELNS0_4arch9wavefront6targetE1EEEvS14_
		.amdhsa_group_segment_fixed_size 128
		.amdhsa_private_segment_fixed_size 0
		.amdhsa_kernarg_size 104
		.amdhsa_user_sgpr_count 6
		.amdhsa_user_sgpr_private_segment_buffer 1
		.amdhsa_user_sgpr_dispatch_ptr 0
		.amdhsa_user_sgpr_queue_ptr 0
		.amdhsa_user_sgpr_kernarg_segment_ptr 1
		.amdhsa_user_sgpr_dispatch_id 0
		.amdhsa_user_sgpr_flat_scratch_init 0
		.amdhsa_user_sgpr_kernarg_preload_length 0
		.amdhsa_user_sgpr_kernarg_preload_offset 0
		.amdhsa_user_sgpr_private_segment_size 0
		.amdhsa_uses_dynamic_stack 0
		.amdhsa_system_sgpr_private_segment_wavefront_offset 0
		.amdhsa_system_sgpr_workgroup_id_x 1
		.amdhsa_system_sgpr_workgroup_id_y 0
		.amdhsa_system_sgpr_workgroup_id_z 0
		.amdhsa_system_sgpr_workgroup_info 0
		.amdhsa_system_vgpr_workitem_id 0
		.amdhsa_next_free_vgpr 14
		.amdhsa_next_free_sgpr 28
		.amdhsa_accum_offset 16
		.amdhsa_reserve_vcc 1
		.amdhsa_reserve_flat_scratch 0
		.amdhsa_float_round_mode_32 0
		.amdhsa_float_round_mode_16_64 0
		.amdhsa_float_denorm_mode_32 3
		.amdhsa_float_denorm_mode_16_64 3
		.amdhsa_dx10_clamp 1
		.amdhsa_ieee_mode 1
		.amdhsa_fp16_overflow 0
		.amdhsa_tg_split 0
		.amdhsa_exception_fp_ieee_invalid_op 0
		.amdhsa_exception_fp_denorm_src 0
		.amdhsa_exception_fp_ieee_div_zero 0
		.amdhsa_exception_fp_ieee_overflow 0
		.amdhsa_exception_fp_ieee_underflow 0
		.amdhsa_exception_fp_ieee_inexact 0
		.amdhsa_exception_int_div_zero 0
	.end_amdhsa_kernel
	.section	.text._ZN7rocprim17ROCPRIM_400000_NS6detail17trampoline_kernelINS0_14default_configENS1_22reduce_config_selectorIN6thrust23THRUST_200600_302600_NS5tupleIblNS6_9null_typeES8_S8_S8_S8_S8_S8_S8_EEEEZNS1_11reduce_implILb1ES3_NS6_12zip_iteratorINS7_INS6_11hip_rocprim26transform_input_iterator_tIbNSD_35transform_pair_of_input_iterators_tIbNS6_6detail15normal_iteratorINS6_10device_ptrIKxEEEESL_NS6_8equal_toIxEEEENSG_9not_fun_tINSD_8identityEEEEENSD_19counting_iterator_tIlEES8_S8_S8_S8_S8_S8_S8_S8_EEEEPS9_S9_NSD_9__find_if7functorIS9_EEEE10hipError_tPvRmT1_T2_T3_mT4_P12ihipStream_tbEUlT_E0_NS1_11comp_targetILNS1_3genE4ELNS1_11target_archE910ELNS1_3gpuE8ELNS1_3repE0EEENS1_30default_config_static_selectorELNS0_4arch9wavefront6targetE1EEEvS14_,"axG",@progbits,_ZN7rocprim17ROCPRIM_400000_NS6detail17trampoline_kernelINS0_14default_configENS1_22reduce_config_selectorIN6thrust23THRUST_200600_302600_NS5tupleIblNS6_9null_typeES8_S8_S8_S8_S8_S8_S8_EEEEZNS1_11reduce_implILb1ES3_NS6_12zip_iteratorINS7_INS6_11hip_rocprim26transform_input_iterator_tIbNSD_35transform_pair_of_input_iterators_tIbNS6_6detail15normal_iteratorINS6_10device_ptrIKxEEEESL_NS6_8equal_toIxEEEENSG_9not_fun_tINSD_8identityEEEEENSD_19counting_iterator_tIlEES8_S8_S8_S8_S8_S8_S8_S8_EEEEPS9_S9_NSD_9__find_if7functorIS9_EEEE10hipError_tPvRmT1_T2_T3_mT4_P12ihipStream_tbEUlT_E0_NS1_11comp_targetILNS1_3genE4ELNS1_11target_archE910ELNS1_3gpuE8ELNS1_3repE0EEENS1_30default_config_static_selectorELNS0_4arch9wavefront6targetE1EEEvS14_,comdat
.Lfunc_end227:
	.size	_ZN7rocprim17ROCPRIM_400000_NS6detail17trampoline_kernelINS0_14default_configENS1_22reduce_config_selectorIN6thrust23THRUST_200600_302600_NS5tupleIblNS6_9null_typeES8_S8_S8_S8_S8_S8_S8_EEEEZNS1_11reduce_implILb1ES3_NS6_12zip_iteratorINS7_INS6_11hip_rocprim26transform_input_iterator_tIbNSD_35transform_pair_of_input_iterators_tIbNS6_6detail15normal_iteratorINS6_10device_ptrIKxEEEESL_NS6_8equal_toIxEEEENSG_9not_fun_tINSD_8identityEEEEENSD_19counting_iterator_tIlEES8_S8_S8_S8_S8_S8_S8_S8_EEEEPS9_S9_NSD_9__find_if7functorIS9_EEEE10hipError_tPvRmT1_T2_T3_mT4_P12ihipStream_tbEUlT_E0_NS1_11comp_targetILNS1_3genE4ELNS1_11target_archE910ELNS1_3gpuE8ELNS1_3repE0EEENS1_30default_config_static_selectorELNS0_4arch9wavefront6targetE1EEEvS14_, .Lfunc_end227-_ZN7rocprim17ROCPRIM_400000_NS6detail17trampoline_kernelINS0_14default_configENS1_22reduce_config_selectorIN6thrust23THRUST_200600_302600_NS5tupleIblNS6_9null_typeES8_S8_S8_S8_S8_S8_S8_EEEEZNS1_11reduce_implILb1ES3_NS6_12zip_iteratorINS7_INS6_11hip_rocprim26transform_input_iterator_tIbNSD_35transform_pair_of_input_iterators_tIbNS6_6detail15normal_iteratorINS6_10device_ptrIKxEEEESL_NS6_8equal_toIxEEEENSG_9not_fun_tINSD_8identityEEEEENSD_19counting_iterator_tIlEES8_S8_S8_S8_S8_S8_S8_S8_EEEEPS9_S9_NSD_9__find_if7functorIS9_EEEE10hipError_tPvRmT1_T2_T3_mT4_P12ihipStream_tbEUlT_E0_NS1_11comp_targetILNS1_3genE4ELNS1_11target_archE910ELNS1_3gpuE8ELNS1_3repE0EEENS1_30default_config_static_selectorELNS0_4arch9wavefront6targetE1EEEvS14_
                                        ; -- End function
	.section	.AMDGPU.csdata,"",@progbits
; Kernel info:
; codeLenInByte = 2844
; NumSgprs: 32
; NumVgprs: 14
; NumAgprs: 0
; TotalNumVgprs: 14
; ScratchSize: 0
; MemoryBound: 0
; FloatMode: 240
; IeeeMode: 1
; LDSByteSize: 128 bytes/workgroup (compile time only)
; SGPRBlocks: 3
; VGPRBlocks: 1
; NumSGPRsForWavesPerEU: 32
; NumVGPRsForWavesPerEU: 14
; AccumOffset: 16
; Occupancy: 8
; WaveLimiterHint : 0
; COMPUTE_PGM_RSRC2:SCRATCH_EN: 0
; COMPUTE_PGM_RSRC2:USER_SGPR: 6
; COMPUTE_PGM_RSRC2:TRAP_HANDLER: 0
; COMPUTE_PGM_RSRC2:TGID_X_EN: 1
; COMPUTE_PGM_RSRC2:TGID_Y_EN: 0
; COMPUTE_PGM_RSRC2:TGID_Z_EN: 0
; COMPUTE_PGM_RSRC2:TIDIG_COMP_CNT: 0
; COMPUTE_PGM_RSRC3_GFX90A:ACCUM_OFFSET: 3
; COMPUTE_PGM_RSRC3_GFX90A:TG_SPLIT: 0
	.section	.text._ZN7rocprim17ROCPRIM_400000_NS6detail17trampoline_kernelINS0_14default_configENS1_22reduce_config_selectorIN6thrust23THRUST_200600_302600_NS5tupleIblNS6_9null_typeES8_S8_S8_S8_S8_S8_S8_EEEEZNS1_11reduce_implILb1ES3_NS6_12zip_iteratorINS7_INS6_11hip_rocprim26transform_input_iterator_tIbNSD_35transform_pair_of_input_iterators_tIbNS6_6detail15normal_iteratorINS6_10device_ptrIKxEEEESL_NS6_8equal_toIxEEEENSG_9not_fun_tINSD_8identityEEEEENSD_19counting_iterator_tIlEES8_S8_S8_S8_S8_S8_S8_S8_EEEEPS9_S9_NSD_9__find_if7functorIS9_EEEE10hipError_tPvRmT1_T2_T3_mT4_P12ihipStream_tbEUlT_E0_NS1_11comp_targetILNS1_3genE3ELNS1_11target_archE908ELNS1_3gpuE7ELNS1_3repE0EEENS1_30default_config_static_selectorELNS0_4arch9wavefront6targetE1EEEvS14_,"axG",@progbits,_ZN7rocprim17ROCPRIM_400000_NS6detail17trampoline_kernelINS0_14default_configENS1_22reduce_config_selectorIN6thrust23THRUST_200600_302600_NS5tupleIblNS6_9null_typeES8_S8_S8_S8_S8_S8_S8_EEEEZNS1_11reduce_implILb1ES3_NS6_12zip_iteratorINS7_INS6_11hip_rocprim26transform_input_iterator_tIbNSD_35transform_pair_of_input_iterators_tIbNS6_6detail15normal_iteratorINS6_10device_ptrIKxEEEESL_NS6_8equal_toIxEEEENSG_9not_fun_tINSD_8identityEEEEENSD_19counting_iterator_tIlEES8_S8_S8_S8_S8_S8_S8_S8_EEEEPS9_S9_NSD_9__find_if7functorIS9_EEEE10hipError_tPvRmT1_T2_T3_mT4_P12ihipStream_tbEUlT_E0_NS1_11comp_targetILNS1_3genE3ELNS1_11target_archE908ELNS1_3gpuE7ELNS1_3repE0EEENS1_30default_config_static_selectorELNS0_4arch9wavefront6targetE1EEEvS14_,comdat
	.protected	_ZN7rocprim17ROCPRIM_400000_NS6detail17trampoline_kernelINS0_14default_configENS1_22reduce_config_selectorIN6thrust23THRUST_200600_302600_NS5tupleIblNS6_9null_typeES8_S8_S8_S8_S8_S8_S8_EEEEZNS1_11reduce_implILb1ES3_NS6_12zip_iteratorINS7_INS6_11hip_rocprim26transform_input_iterator_tIbNSD_35transform_pair_of_input_iterators_tIbNS6_6detail15normal_iteratorINS6_10device_ptrIKxEEEESL_NS6_8equal_toIxEEEENSG_9not_fun_tINSD_8identityEEEEENSD_19counting_iterator_tIlEES8_S8_S8_S8_S8_S8_S8_S8_EEEEPS9_S9_NSD_9__find_if7functorIS9_EEEE10hipError_tPvRmT1_T2_T3_mT4_P12ihipStream_tbEUlT_E0_NS1_11comp_targetILNS1_3genE3ELNS1_11target_archE908ELNS1_3gpuE7ELNS1_3repE0EEENS1_30default_config_static_selectorELNS0_4arch9wavefront6targetE1EEEvS14_ ; -- Begin function _ZN7rocprim17ROCPRIM_400000_NS6detail17trampoline_kernelINS0_14default_configENS1_22reduce_config_selectorIN6thrust23THRUST_200600_302600_NS5tupleIblNS6_9null_typeES8_S8_S8_S8_S8_S8_S8_EEEEZNS1_11reduce_implILb1ES3_NS6_12zip_iteratorINS7_INS6_11hip_rocprim26transform_input_iterator_tIbNSD_35transform_pair_of_input_iterators_tIbNS6_6detail15normal_iteratorINS6_10device_ptrIKxEEEESL_NS6_8equal_toIxEEEENSG_9not_fun_tINSD_8identityEEEEENSD_19counting_iterator_tIlEES8_S8_S8_S8_S8_S8_S8_S8_EEEEPS9_S9_NSD_9__find_if7functorIS9_EEEE10hipError_tPvRmT1_T2_T3_mT4_P12ihipStream_tbEUlT_E0_NS1_11comp_targetILNS1_3genE3ELNS1_11target_archE908ELNS1_3gpuE7ELNS1_3repE0EEENS1_30default_config_static_selectorELNS0_4arch9wavefront6targetE1EEEvS14_
	.globl	_ZN7rocprim17ROCPRIM_400000_NS6detail17trampoline_kernelINS0_14default_configENS1_22reduce_config_selectorIN6thrust23THRUST_200600_302600_NS5tupleIblNS6_9null_typeES8_S8_S8_S8_S8_S8_S8_EEEEZNS1_11reduce_implILb1ES3_NS6_12zip_iteratorINS7_INS6_11hip_rocprim26transform_input_iterator_tIbNSD_35transform_pair_of_input_iterators_tIbNS6_6detail15normal_iteratorINS6_10device_ptrIKxEEEESL_NS6_8equal_toIxEEEENSG_9not_fun_tINSD_8identityEEEEENSD_19counting_iterator_tIlEES8_S8_S8_S8_S8_S8_S8_S8_EEEEPS9_S9_NSD_9__find_if7functorIS9_EEEE10hipError_tPvRmT1_T2_T3_mT4_P12ihipStream_tbEUlT_E0_NS1_11comp_targetILNS1_3genE3ELNS1_11target_archE908ELNS1_3gpuE7ELNS1_3repE0EEENS1_30default_config_static_selectorELNS0_4arch9wavefront6targetE1EEEvS14_
	.p2align	8
	.type	_ZN7rocprim17ROCPRIM_400000_NS6detail17trampoline_kernelINS0_14default_configENS1_22reduce_config_selectorIN6thrust23THRUST_200600_302600_NS5tupleIblNS6_9null_typeES8_S8_S8_S8_S8_S8_S8_EEEEZNS1_11reduce_implILb1ES3_NS6_12zip_iteratorINS7_INS6_11hip_rocprim26transform_input_iterator_tIbNSD_35transform_pair_of_input_iterators_tIbNS6_6detail15normal_iteratorINS6_10device_ptrIKxEEEESL_NS6_8equal_toIxEEEENSG_9not_fun_tINSD_8identityEEEEENSD_19counting_iterator_tIlEES8_S8_S8_S8_S8_S8_S8_S8_EEEEPS9_S9_NSD_9__find_if7functorIS9_EEEE10hipError_tPvRmT1_T2_T3_mT4_P12ihipStream_tbEUlT_E0_NS1_11comp_targetILNS1_3genE3ELNS1_11target_archE908ELNS1_3gpuE7ELNS1_3repE0EEENS1_30default_config_static_selectorELNS0_4arch9wavefront6targetE1EEEvS14_,@function
_ZN7rocprim17ROCPRIM_400000_NS6detail17trampoline_kernelINS0_14default_configENS1_22reduce_config_selectorIN6thrust23THRUST_200600_302600_NS5tupleIblNS6_9null_typeES8_S8_S8_S8_S8_S8_S8_EEEEZNS1_11reduce_implILb1ES3_NS6_12zip_iteratorINS7_INS6_11hip_rocprim26transform_input_iterator_tIbNSD_35transform_pair_of_input_iterators_tIbNS6_6detail15normal_iteratorINS6_10device_ptrIKxEEEESL_NS6_8equal_toIxEEEENSG_9not_fun_tINSD_8identityEEEEENSD_19counting_iterator_tIlEES8_S8_S8_S8_S8_S8_S8_S8_EEEEPS9_S9_NSD_9__find_if7functorIS9_EEEE10hipError_tPvRmT1_T2_T3_mT4_P12ihipStream_tbEUlT_E0_NS1_11comp_targetILNS1_3genE3ELNS1_11target_archE908ELNS1_3gpuE7ELNS1_3repE0EEENS1_30default_config_static_selectorELNS0_4arch9wavefront6targetE1EEEvS14_: ; @_ZN7rocprim17ROCPRIM_400000_NS6detail17trampoline_kernelINS0_14default_configENS1_22reduce_config_selectorIN6thrust23THRUST_200600_302600_NS5tupleIblNS6_9null_typeES8_S8_S8_S8_S8_S8_S8_EEEEZNS1_11reduce_implILb1ES3_NS6_12zip_iteratorINS7_INS6_11hip_rocprim26transform_input_iterator_tIbNSD_35transform_pair_of_input_iterators_tIbNS6_6detail15normal_iteratorINS6_10device_ptrIKxEEEESL_NS6_8equal_toIxEEEENSG_9not_fun_tINSD_8identityEEEEENSD_19counting_iterator_tIlEES8_S8_S8_S8_S8_S8_S8_S8_EEEEPS9_S9_NSD_9__find_if7functorIS9_EEEE10hipError_tPvRmT1_T2_T3_mT4_P12ihipStream_tbEUlT_E0_NS1_11comp_targetILNS1_3genE3ELNS1_11target_archE908ELNS1_3gpuE7ELNS1_3repE0EEENS1_30default_config_static_selectorELNS0_4arch9wavefront6targetE1EEEvS14_
; %bb.0:
	.section	.rodata,"a",@progbits
	.p2align	6, 0x0
	.amdhsa_kernel _ZN7rocprim17ROCPRIM_400000_NS6detail17trampoline_kernelINS0_14default_configENS1_22reduce_config_selectorIN6thrust23THRUST_200600_302600_NS5tupleIblNS6_9null_typeES8_S8_S8_S8_S8_S8_S8_EEEEZNS1_11reduce_implILb1ES3_NS6_12zip_iteratorINS7_INS6_11hip_rocprim26transform_input_iterator_tIbNSD_35transform_pair_of_input_iterators_tIbNS6_6detail15normal_iteratorINS6_10device_ptrIKxEEEESL_NS6_8equal_toIxEEEENSG_9not_fun_tINSD_8identityEEEEENSD_19counting_iterator_tIlEES8_S8_S8_S8_S8_S8_S8_S8_EEEEPS9_S9_NSD_9__find_if7functorIS9_EEEE10hipError_tPvRmT1_T2_T3_mT4_P12ihipStream_tbEUlT_E0_NS1_11comp_targetILNS1_3genE3ELNS1_11target_archE908ELNS1_3gpuE7ELNS1_3repE0EEENS1_30default_config_static_selectorELNS0_4arch9wavefront6targetE1EEEvS14_
		.amdhsa_group_segment_fixed_size 0
		.amdhsa_private_segment_fixed_size 0
		.amdhsa_kernarg_size 104
		.amdhsa_user_sgpr_count 6
		.amdhsa_user_sgpr_private_segment_buffer 1
		.amdhsa_user_sgpr_dispatch_ptr 0
		.amdhsa_user_sgpr_queue_ptr 0
		.amdhsa_user_sgpr_kernarg_segment_ptr 1
		.amdhsa_user_sgpr_dispatch_id 0
		.amdhsa_user_sgpr_flat_scratch_init 0
		.amdhsa_user_sgpr_kernarg_preload_length 0
		.amdhsa_user_sgpr_kernarg_preload_offset 0
		.amdhsa_user_sgpr_private_segment_size 0
		.amdhsa_uses_dynamic_stack 0
		.amdhsa_system_sgpr_private_segment_wavefront_offset 0
		.amdhsa_system_sgpr_workgroup_id_x 1
		.amdhsa_system_sgpr_workgroup_id_y 0
		.amdhsa_system_sgpr_workgroup_id_z 0
		.amdhsa_system_sgpr_workgroup_info 0
		.amdhsa_system_vgpr_workitem_id 0
		.amdhsa_next_free_vgpr 1
		.amdhsa_next_free_sgpr 0
		.amdhsa_accum_offset 4
		.amdhsa_reserve_vcc 0
		.amdhsa_reserve_flat_scratch 0
		.amdhsa_float_round_mode_32 0
		.amdhsa_float_round_mode_16_64 0
		.amdhsa_float_denorm_mode_32 3
		.amdhsa_float_denorm_mode_16_64 3
		.amdhsa_dx10_clamp 1
		.amdhsa_ieee_mode 1
		.amdhsa_fp16_overflow 0
		.amdhsa_tg_split 0
		.amdhsa_exception_fp_ieee_invalid_op 0
		.amdhsa_exception_fp_denorm_src 0
		.amdhsa_exception_fp_ieee_div_zero 0
		.amdhsa_exception_fp_ieee_overflow 0
		.amdhsa_exception_fp_ieee_underflow 0
		.amdhsa_exception_fp_ieee_inexact 0
		.amdhsa_exception_int_div_zero 0
	.end_amdhsa_kernel
	.section	.text._ZN7rocprim17ROCPRIM_400000_NS6detail17trampoline_kernelINS0_14default_configENS1_22reduce_config_selectorIN6thrust23THRUST_200600_302600_NS5tupleIblNS6_9null_typeES8_S8_S8_S8_S8_S8_S8_EEEEZNS1_11reduce_implILb1ES3_NS6_12zip_iteratorINS7_INS6_11hip_rocprim26transform_input_iterator_tIbNSD_35transform_pair_of_input_iterators_tIbNS6_6detail15normal_iteratorINS6_10device_ptrIKxEEEESL_NS6_8equal_toIxEEEENSG_9not_fun_tINSD_8identityEEEEENSD_19counting_iterator_tIlEES8_S8_S8_S8_S8_S8_S8_S8_EEEEPS9_S9_NSD_9__find_if7functorIS9_EEEE10hipError_tPvRmT1_T2_T3_mT4_P12ihipStream_tbEUlT_E0_NS1_11comp_targetILNS1_3genE3ELNS1_11target_archE908ELNS1_3gpuE7ELNS1_3repE0EEENS1_30default_config_static_selectorELNS0_4arch9wavefront6targetE1EEEvS14_,"axG",@progbits,_ZN7rocprim17ROCPRIM_400000_NS6detail17trampoline_kernelINS0_14default_configENS1_22reduce_config_selectorIN6thrust23THRUST_200600_302600_NS5tupleIblNS6_9null_typeES8_S8_S8_S8_S8_S8_S8_EEEEZNS1_11reduce_implILb1ES3_NS6_12zip_iteratorINS7_INS6_11hip_rocprim26transform_input_iterator_tIbNSD_35transform_pair_of_input_iterators_tIbNS6_6detail15normal_iteratorINS6_10device_ptrIKxEEEESL_NS6_8equal_toIxEEEENSG_9not_fun_tINSD_8identityEEEEENSD_19counting_iterator_tIlEES8_S8_S8_S8_S8_S8_S8_S8_EEEEPS9_S9_NSD_9__find_if7functorIS9_EEEE10hipError_tPvRmT1_T2_T3_mT4_P12ihipStream_tbEUlT_E0_NS1_11comp_targetILNS1_3genE3ELNS1_11target_archE908ELNS1_3gpuE7ELNS1_3repE0EEENS1_30default_config_static_selectorELNS0_4arch9wavefront6targetE1EEEvS14_,comdat
.Lfunc_end228:
	.size	_ZN7rocprim17ROCPRIM_400000_NS6detail17trampoline_kernelINS0_14default_configENS1_22reduce_config_selectorIN6thrust23THRUST_200600_302600_NS5tupleIblNS6_9null_typeES8_S8_S8_S8_S8_S8_S8_EEEEZNS1_11reduce_implILb1ES3_NS6_12zip_iteratorINS7_INS6_11hip_rocprim26transform_input_iterator_tIbNSD_35transform_pair_of_input_iterators_tIbNS6_6detail15normal_iteratorINS6_10device_ptrIKxEEEESL_NS6_8equal_toIxEEEENSG_9not_fun_tINSD_8identityEEEEENSD_19counting_iterator_tIlEES8_S8_S8_S8_S8_S8_S8_S8_EEEEPS9_S9_NSD_9__find_if7functorIS9_EEEE10hipError_tPvRmT1_T2_T3_mT4_P12ihipStream_tbEUlT_E0_NS1_11comp_targetILNS1_3genE3ELNS1_11target_archE908ELNS1_3gpuE7ELNS1_3repE0EEENS1_30default_config_static_selectorELNS0_4arch9wavefront6targetE1EEEvS14_, .Lfunc_end228-_ZN7rocprim17ROCPRIM_400000_NS6detail17trampoline_kernelINS0_14default_configENS1_22reduce_config_selectorIN6thrust23THRUST_200600_302600_NS5tupleIblNS6_9null_typeES8_S8_S8_S8_S8_S8_S8_EEEEZNS1_11reduce_implILb1ES3_NS6_12zip_iteratorINS7_INS6_11hip_rocprim26transform_input_iterator_tIbNSD_35transform_pair_of_input_iterators_tIbNS6_6detail15normal_iteratorINS6_10device_ptrIKxEEEESL_NS6_8equal_toIxEEEENSG_9not_fun_tINSD_8identityEEEEENSD_19counting_iterator_tIlEES8_S8_S8_S8_S8_S8_S8_S8_EEEEPS9_S9_NSD_9__find_if7functorIS9_EEEE10hipError_tPvRmT1_T2_T3_mT4_P12ihipStream_tbEUlT_E0_NS1_11comp_targetILNS1_3genE3ELNS1_11target_archE908ELNS1_3gpuE7ELNS1_3repE0EEENS1_30default_config_static_selectorELNS0_4arch9wavefront6targetE1EEEvS14_
                                        ; -- End function
	.section	.AMDGPU.csdata,"",@progbits
; Kernel info:
; codeLenInByte = 0
; NumSgprs: 4
; NumVgprs: 0
; NumAgprs: 0
; TotalNumVgprs: 0
; ScratchSize: 0
; MemoryBound: 0
; FloatMode: 240
; IeeeMode: 1
; LDSByteSize: 0 bytes/workgroup (compile time only)
; SGPRBlocks: 0
; VGPRBlocks: 0
; NumSGPRsForWavesPerEU: 4
; NumVGPRsForWavesPerEU: 1
; AccumOffset: 4
; Occupancy: 8
; WaveLimiterHint : 0
; COMPUTE_PGM_RSRC2:SCRATCH_EN: 0
; COMPUTE_PGM_RSRC2:USER_SGPR: 6
; COMPUTE_PGM_RSRC2:TRAP_HANDLER: 0
; COMPUTE_PGM_RSRC2:TGID_X_EN: 1
; COMPUTE_PGM_RSRC2:TGID_Y_EN: 0
; COMPUTE_PGM_RSRC2:TGID_Z_EN: 0
; COMPUTE_PGM_RSRC2:TIDIG_COMP_CNT: 0
; COMPUTE_PGM_RSRC3_GFX90A:ACCUM_OFFSET: 0
; COMPUTE_PGM_RSRC3_GFX90A:TG_SPLIT: 0
	.section	.text._ZN7rocprim17ROCPRIM_400000_NS6detail17trampoline_kernelINS0_14default_configENS1_22reduce_config_selectorIN6thrust23THRUST_200600_302600_NS5tupleIblNS6_9null_typeES8_S8_S8_S8_S8_S8_S8_EEEEZNS1_11reduce_implILb1ES3_NS6_12zip_iteratorINS7_INS6_11hip_rocprim26transform_input_iterator_tIbNSD_35transform_pair_of_input_iterators_tIbNS6_6detail15normal_iteratorINS6_10device_ptrIKxEEEESL_NS6_8equal_toIxEEEENSG_9not_fun_tINSD_8identityEEEEENSD_19counting_iterator_tIlEES8_S8_S8_S8_S8_S8_S8_S8_EEEEPS9_S9_NSD_9__find_if7functorIS9_EEEE10hipError_tPvRmT1_T2_T3_mT4_P12ihipStream_tbEUlT_E0_NS1_11comp_targetILNS1_3genE2ELNS1_11target_archE906ELNS1_3gpuE6ELNS1_3repE0EEENS1_30default_config_static_selectorELNS0_4arch9wavefront6targetE1EEEvS14_,"axG",@progbits,_ZN7rocprim17ROCPRIM_400000_NS6detail17trampoline_kernelINS0_14default_configENS1_22reduce_config_selectorIN6thrust23THRUST_200600_302600_NS5tupleIblNS6_9null_typeES8_S8_S8_S8_S8_S8_S8_EEEEZNS1_11reduce_implILb1ES3_NS6_12zip_iteratorINS7_INS6_11hip_rocprim26transform_input_iterator_tIbNSD_35transform_pair_of_input_iterators_tIbNS6_6detail15normal_iteratorINS6_10device_ptrIKxEEEESL_NS6_8equal_toIxEEEENSG_9not_fun_tINSD_8identityEEEEENSD_19counting_iterator_tIlEES8_S8_S8_S8_S8_S8_S8_S8_EEEEPS9_S9_NSD_9__find_if7functorIS9_EEEE10hipError_tPvRmT1_T2_T3_mT4_P12ihipStream_tbEUlT_E0_NS1_11comp_targetILNS1_3genE2ELNS1_11target_archE906ELNS1_3gpuE6ELNS1_3repE0EEENS1_30default_config_static_selectorELNS0_4arch9wavefront6targetE1EEEvS14_,comdat
	.protected	_ZN7rocprim17ROCPRIM_400000_NS6detail17trampoline_kernelINS0_14default_configENS1_22reduce_config_selectorIN6thrust23THRUST_200600_302600_NS5tupleIblNS6_9null_typeES8_S8_S8_S8_S8_S8_S8_EEEEZNS1_11reduce_implILb1ES3_NS6_12zip_iteratorINS7_INS6_11hip_rocprim26transform_input_iterator_tIbNSD_35transform_pair_of_input_iterators_tIbNS6_6detail15normal_iteratorINS6_10device_ptrIKxEEEESL_NS6_8equal_toIxEEEENSG_9not_fun_tINSD_8identityEEEEENSD_19counting_iterator_tIlEES8_S8_S8_S8_S8_S8_S8_S8_EEEEPS9_S9_NSD_9__find_if7functorIS9_EEEE10hipError_tPvRmT1_T2_T3_mT4_P12ihipStream_tbEUlT_E0_NS1_11comp_targetILNS1_3genE2ELNS1_11target_archE906ELNS1_3gpuE6ELNS1_3repE0EEENS1_30default_config_static_selectorELNS0_4arch9wavefront6targetE1EEEvS14_ ; -- Begin function _ZN7rocprim17ROCPRIM_400000_NS6detail17trampoline_kernelINS0_14default_configENS1_22reduce_config_selectorIN6thrust23THRUST_200600_302600_NS5tupleIblNS6_9null_typeES8_S8_S8_S8_S8_S8_S8_EEEEZNS1_11reduce_implILb1ES3_NS6_12zip_iteratorINS7_INS6_11hip_rocprim26transform_input_iterator_tIbNSD_35transform_pair_of_input_iterators_tIbNS6_6detail15normal_iteratorINS6_10device_ptrIKxEEEESL_NS6_8equal_toIxEEEENSG_9not_fun_tINSD_8identityEEEEENSD_19counting_iterator_tIlEES8_S8_S8_S8_S8_S8_S8_S8_EEEEPS9_S9_NSD_9__find_if7functorIS9_EEEE10hipError_tPvRmT1_T2_T3_mT4_P12ihipStream_tbEUlT_E0_NS1_11comp_targetILNS1_3genE2ELNS1_11target_archE906ELNS1_3gpuE6ELNS1_3repE0EEENS1_30default_config_static_selectorELNS0_4arch9wavefront6targetE1EEEvS14_
	.globl	_ZN7rocprim17ROCPRIM_400000_NS6detail17trampoline_kernelINS0_14default_configENS1_22reduce_config_selectorIN6thrust23THRUST_200600_302600_NS5tupleIblNS6_9null_typeES8_S8_S8_S8_S8_S8_S8_EEEEZNS1_11reduce_implILb1ES3_NS6_12zip_iteratorINS7_INS6_11hip_rocprim26transform_input_iterator_tIbNSD_35transform_pair_of_input_iterators_tIbNS6_6detail15normal_iteratorINS6_10device_ptrIKxEEEESL_NS6_8equal_toIxEEEENSG_9not_fun_tINSD_8identityEEEEENSD_19counting_iterator_tIlEES8_S8_S8_S8_S8_S8_S8_S8_EEEEPS9_S9_NSD_9__find_if7functorIS9_EEEE10hipError_tPvRmT1_T2_T3_mT4_P12ihipStream_tbEUlT_E0_NS1_11comp_targetILNS1_3genE2ELNS1_11target_archE906ELNS1_3gpuE6ELNS1_3repE0EEENS1_30default_config_static_selectorELNS0_4arch9wavefront6targetE1EEEvS14_
	.p2align	8
	.type	_ZN7rocprim17ROCPRIM_400000_NS6detail17trampoline_kernelINS0_14default_configENS1_22reduce_config_selectorIN6thrust23THRUST_200600_302600_NS5tupleIblNS6_9null_typeES8_S8_S8_S8_S8_S8_S8_EEEEZNS1_11reduce_implILb1ES3_NS6_12zip_iteratorINS7_INS6_11hip_rocprim26transform_input_iterator_tIbNSD_35transform_pair_of_input_iterators_tIbNS6_6detail15normal_iteratorINS6_10device_ptrIKxEEEESL_NS6_8equal_toIxEEEENSG_9not_fun_tINSD_8identityEEEEENSD_19counting_iterator_tIlEES8_S8_S8_S8_S8_S8_S8_S8_EEEEPS9_S9_NSD_9__find_if7functorIS9_EEEE10hipError_tPvRmT1_T2_T3_mT4_P12ihipStream_tbEUlT_E0_NS1_11comp_targetILNS1_3genE2ELNS1_11target_archE906ELNS1_3gpuE6ELNS1_3repE0EEENS1_30default_config_static_selectorELNS0_4arch9wavefront6targetE1EEEvS14_,@function
_ZN7rocprim17ROCPRIM_400000_NS6detail17trampoline_kernelINS0_14default_configENS1_22reduce_config_selectorIN6thrust23THRUST_200600_302600_NS5tupleIblNS6_9null_typeES8_S8_S8_S8_S8_S8_S8_EEEEZNS1_11reduce_implILb1ES3_NS6_12zip_iteratorINS7_INS6_11hip_rocprim26transform_input_iterator_tIbNSD_35transform_pair_of_input_iterators_tIbNS6_6detail15normal_iteratorINS6_10device_ptrIKxEEEESL_NS6_8equal_toIxEEEENSG_9not_fun_tINSD_8identityEEEEENSD_19counting_iterator_tIlEES8_S8_S8_S8_S8_S8_S8_S8_EEEEPS9_S9_NSD_9__find_if7functorIS9_EEEE10hipError_tPvRmT1_T2_T3_mT4_P12ihipStream_tbEUlT_E0_NS1_11comp_targetILNS1_3genE2ELNS1_11target_archE906ELNS1_3gpuE6ELNS1_3repE0EEENS1_30default_config_static_selectorELNS0_4arch9wavefront6targetE1EEEvS14_: ; @_ZN7rocprim17ROCPRIM_400000_NS6detail17trampoline_kernelINS0_14default_configENS1_22reduce_config_selectorIN6thrust23THRUST_200600_302600_NS5tupleIblNS6_9null_typeES8_S8_S8_S8_S8_S8_S8_EEEEZNS1_11reduce_implILb1ES3_NS6_12zip_iteratorINS7_INS6_11hip_rocprim26transform_input_iterator_tIbNSD_35transform_pair_of_input_iterators_tIbNS6_6detail15normal_iteratorINS6_10device_ptrIKxEEEESL_NS6_8equal_toIxEEEENSG_9not_fun_tINSD_8identityEEEEENSD_19counting_iterator_tIlEES8_S8_S8_S8_S8_S8_S8_S8_EEEEPS9_S9_NSD_9__find_if7functorIS9_EEEE10hipError_tPvRmT1_T2_T3_mT4_P12ihipStream_tbEUlT_E0_NS1_11comp_targetILNS1_3genE2ELNS1_11target_archE906ELNS1_3gpuE6ELNS1_3repE0EEENS1_30default_config_static_selectorELNS0_4arch9wavefront6targetE1EEEvS14_
; %bb.0:
	.section	.rodata,"a",@progbits
	.p2align	6, 0x0
	.amdhsa_kernel _ZN7rocprim17ROCPRIM_400000_NS6detail17trampoline_kernelINS0_14default_configENS1_22reduce_config_selectorIN6thrust23THRUST_200600_302600_NS5tupleIblNS6_9null_typeES8_S8_S8_S8_S8_S8_S8_EEEEZNS1_11reduce_implILb1ES3_NS6_12zip_iteratorINS7_INS6_11hip_rocprim26transform_input_iterator_tIbNSD_35transform_pair_of_input_iterators_tIbNS6_6detail15normal_iteratorINS6_10device_ptrIKxEEEESL_NS6_8equal_toIxEEEENSG_9not_fun_tINSD_8identityEEEEENSD_19counting_iterator_tIlEES8_S8_S8_S8_S8_S8_S8_S8_EEEEPS9_S9_NSD_9__find_if7functorIS9_EEEE10hipError_tPvRmT1_T2_T3_mT4_P12ihipStream_tbEUlT_E0_NS1_11comp_targetILNS1_3genE2ELNS1_11target_archE906ELNS1_3gpuE6ELNS1_3repE0EEENS1_30default_config_static_selectorELNS0_4arch9wavefront6targetE1EEEvS14_
		.amdhsa_group_segment_fixed_size 0
		.amdhsa_private_segment_fixed_size 0
		.amdhsa_kernarg_size 104
		.amdhsa_user_sgpr_count 6
		.amdhsa_user_sgpr_private_segment_buffer 1
		.amdhsa_user_sgpr_dispatch_ptr 0
		.amdhsa_user_sgpr_queue_ptr 0
		.amdhsa_user_sgpr_kernarg_segment_ptr 1
		.amdhsa_user_sgpr_dispatch_id 0
		.amdhsa_user_sgpr_flat_scratch_init 0
		.amdhsa_user_sgpr_kernarg_preload_length 0
		.amdhsa_user_sgpr_kernarg_preload_offset 0
		.amdhsa_user_sgpr_private_segment_size 0
		.amdhsa_uses_dynamic_stack 0
		.amdhsa_system_sgpr_private_segment_wavefront_offset 0
		.amdhsa_system_sgpr_workgroup_id_x 1
		.amdhsa_system_sgpr_workgroup_id_y 0
		.amdhsa_system_sgpr_workgroup_id_z 0
		.amdhsa_system_sgpr_workgroup_info 0
		.amdhsa_system_vgpr_workitem_id 0
		.amdhsa_next_free_vgpr 1
		.amdhsa_next_free_sgpr 0
		.amdhsa_accum_offset 4
		.amdhsa_reserve_vcc 0
		.amdhsa_reserve_flat_scratch 0
		.amdhsa_float_round_mode_32 0
		.amdhsa_float_round_mode_16_64 0
		.amdhsa_float_denorm_mode_32 3
		.amdhsa_float_denorm_mode_16_64 3
		.amdhsa_dx10_clamp 1
		.amdhsa_ieee_mode 1
		.amdhsa_fp16_overflow 0
		.amdhsa_tg_split 0
		.amdhsa_exception_fp_ieee_invalid_op 0
		.amdhsa_exception_fp_denorm_src 0
		.amdhsa_exception_fp_ieee_div_zero 0
		.amdhsa_exception_fp_ieee_overflow 0
		.amdhsa_exception_fp_ieee_underflow 0
		.amdhsa_exception_fp_ieee_inexact 0
		.amdhsa_exception_int_div_zero 0
	.end_amdhsa_kernel
	.section	.text._ZN7rocprim17ROCPRIM_400000_NS6detail17trampoline_kernelINS0_14default_configENS1_22reduce_config_selectorIN6thrust23THRUST_200600_302600_NS5tupleIblNS6_9null_typeES8_S8_S8_S8_S8_S8_S8_EEEEZNS1_11reduce_implILb1ES3_NS6_12zip_iteratorINS7_INS6_11hip_rocprim26transform_input_iterator_tIbNSD_35transform_pair_of_input_iterators_tIbNS6_6detail15normal_iteratorINS6_10device_ptrIKxEEEESL_NS6_8equal_toIxEEEENSG_9not_fun_tINSD_8identityEEEEENSD_19counting_iterator_tIlEES8_S8_S8_S8_S8_S8_S8_S8_EEEEPS9_S9_NSD_9__find_if7functorIS9_EEEE10hipError_tPvRmT1_T2_T3_mT4_P12ihipStream_tbEUlT_E0_NS1_11comp_targetILNS1_3genE2ELNS1_11target_archE906ELNS1_3gpuE6ELNS1_3repE0EEENS1_30default_config_static_selectorELNS0_4arch9wavefront6targetE1EEEvS14_,"axG",@progbits,_ZN7rocprim17ROCPRIM_400000_NS6detail17trampoline_kernelINS0_14default_configENS1_22reduce_config_selectorIN6thrust23THRUST_200600_302600_NS5tupleIblNS6_9null_typeES8_S8_S8_S8_S8_S8_S8_EEEEZNS1_11reduce_implILb1ES3_NS6_12zip_iteratorINS7_INS6_11hip_rocprim26transform_input_iterator_tIbNSD_35transform_pair_of_input_iterators_tIbNS6_6detail15normal_iteratorINS6_10device_ptrIKxEEEESL_NS6_8equal_toIxEEEENSG_9not_fun_tINSD_8identityEEEEENSD_19counting_iterator_tIlEES8_S8_S8_S8_S8_S8_S8_S8_EEEEPS9_S9_NSD_9__find_if7functorIS9_EEEE10hipError_tPvRmT1_T2_T3_mT4_P12ihipStream_tbEUlT_E0_NS1_11comp_targetILNS1_3genE2ELNS1_11target_archE906ELNS1_3gpuE6ELNS1_3repE0EEENS1_30default_config_static_selectorELNS0_4arch9wavefront6targetE1EEEvS14_,comdat
.Lfunc_end229:
	.size	_ZN7rocprim17ROCPRIM_400000_NS6detail17trampoline_kernelINS0_14default_configENS1_22reduce_config_selectorIN6thrust23THRUST_200600_302600_NS5tupleIblNS6_9null_typeES8_S8_S8_S8_S8_S8_S8_EEEEZNS1_11reduce_implILb1ES3_NS6_12zip_iteratorINS7_INS6_11hip_rocprim26transform_input_iterator_tIbNSD_35transform_pair_of_input_iterators_tIbNS6_6detail15normal_iteratorINS6_10device_ptrIKxEEEESL_NS6_8equal_toIxEEEENSG_9not_fun_tINSD_8identityEEEEENSD_19counting_iterator_tIlEES8_S8_S8_S8_S8_S8_S8_S8_EEEEPS9_S9_NSD_9__find_if7functorIS9_EEEE10hipError_tPvRmT1_T2_T3_mT4_P12ihipStream_tbEUlT_E0_NS1_11comp_targetILNS1_3genE2ELNS1_11target_archE906ELNS1_3gpuE6ELNS1_3repE0EEENS1_30default_config_static_selectorELNS0_4arch9wavefront6targetE1EEEvS14_, .Lfunc_end229-_ZN7rocprim17ROCPRIM_400000_NS6detail17trampoline_kernelINS0_14default_configENS1_22reduce_config_selectorIN6thrust23THRUST_200600_302600_NS5tupleIblNS6_9null_typeES8_S8_S8_S8_S8_S8_S8_EEEEZNS1_11reduce_implILb1ES3_NS6_12zip_iteratorINS7_INS6_11hip_rocprim26transform_input_iterator_tIbNSD_35transform_pair_of_input_iterators_tIbNS6_6detail15normal_iteratorINS6_10device_ptrIKxEEEESL_NS6_8equal_toIxEEEENSG_9not_fun_tINSD_8identityEEEEENSD_19counting_iterator_tIlEES8_S8_S8_S8_S8_S8_S8_S8_EEEEPS9_S9_NSD_9__find_if7functorIS9_EEEE10hipError_tPvRmT1_T2_T3_mT4_P12ihipStream_tbEUlT_E0_NS1_11comp_targetILNS1_3genE2ELNS1_11target_archE906ELNS1_3gpuE6ELNS1_3repE0EEENS1_30default_config_static_selectorELNS0_4arch9wavefront6targetE1EEEvS14_
                                        ; -- End function
	.section	.AMDGPU.csdata,"",@progbits
; Kernel info:
; codeLenInByte = 0
; NumSgprs: 4
; NumVgprs: 0
; NumAgprs: 0
; TotalNumVgprs: 0
; ScratchSize: 0
; MemoryBound: 0
; FloatMode: 240
; IeeeMode: 1
; LDSByteSize: 0 bytes/workgroup (compile time only)
; SGPRBlocks: 0
; VGPRBlocks: 0
; NumSGPRsForWavesPerEU: 4
; NumVGPRsForWavesPerEU: 1
; AccumOffset: 4
; Occupancy: 8
; WaveLimiterHint : 0
; COMPUTE_PGM_RSRC2:SCRATCH_EN: 0
; COMPUTE_PGM_RSRC2:USER_SGPR: 6
; COMPUTE_PGM_RSRC2:TRAP_HANDLER: 0
; COMPUTE_PGM_RSRC2:TGID_X_EN: 1
; COMPUTE_PGM_RSRC2:TGID_Y_EN: 0
; COMPUTE_PGM_RSRC2:TGID_Z_EN: 0
; COMPUTE_PGM_RSRC2:TIDIG_COMP_CNT: 0
; COMPUTE_PGM_RSRC3_GFX90A:ACCUM_OFFSET: 0
; COMPUTE_PGM_RSRC3_GFX90A:TG_SPLIT: 0
	.section	.text._ZN7rocprim17ROCPRIM_400000_NS6detail17trampoline_kernelINS0_14default_configENS1_22reduce_config_selectorIN6thrust23THRUST_200600_302600_NS5tupleIblNS6_9null_typeES8_S8_S8_S8_S8_S8_S8_EEEEZNS1_11reduce_implILb1ES3_NS6_12zip_iteratorINS7_INS6_11hip_rocprim26transform_input_iterator_tIbNSD_35transform_pair_of_input_iterators_tIbNS6_6detail15normal_iteratorINS6_10device_ptrIKxEEEESL_NS6_8equal_toIxEEEENSG_9not_fun_tINSD_8identityEEEEENSD_19counting_iterator_tIlEES8_S8_S8_S8_S8_S8_S8_S8_EEEEPS9_S9_NSD_9__find_if7functorIS9_EEEE10hipError_tPvRmT1_T2_T3_mT4_P12ihipStream_tbEUlT_E0_NS1_11comp_targetILNS1_3genE10ELNS1_11target_archE1201ELNS1_3gpuE5ELNS1_3repE0EEENS1_30default_config_static_selectorELNS0_4arch9wavefront6targetE1EEEvS14_,"axG",@progbits,_ZN7rocprim17ROCPRIM_400000_NS6detail17trampoline_kernelINS0_14default_configENS1_22reduce_config_selectorIN6thrust23THRUST_200600_302600_NS5tupleIblNS6_9null_typeES8_S8_S8_S8_S8_S8_S8_EEEEZNS1_11reduce_implILb1ES3_NS6_12zip_iteratorINS7_INS6_11hip_rocprim26transform_input_iterator_tIbNSD_35transform_pair_of_input_iterators_tIbNS6_6detail15normal_iteratorINS6_10device_ptrIKxEEEESL_NS6_8equal_toIxEEEENSG_9not_fun_tINSD_8identityEEEEENSD_19counting_iterator_tIlEES8_S8_S8_S8_S8_S8_S8_S8_EEEEPS9_S9_NSD_9__find_if7functorIS9_EEEE10hipError_tPvRmT1_T2_T3_mT4_P12ihipStream_tbEUlT_E0_NS1_11comp_targetILNS1_3genE10ELNS1_11target_archE1201ELNS1_3gpuE5ELNS1_3repE0EEENS1_30default_config_static_selectorELNS0_4arch9wavefront6targetE1EEEvS14_,comdat
	.protected	_ZN7rocprim17ROCPRIM_400000_NS6detail17trampoline_kernelINS0_14default_configENS1_22reduce_config_selectorIN6thrust23THRUST_200600_302600_NS5tupleIblNS6_9null_typeES8_S8_S8_S8_S8_S8_S8_EEEEZNS1_11reduce_implILb1ES3_NS6_12zip_iteratorINS7_INS6_11hip_rocprim26transform_input_iterator_tIbNSD_35transform_pair_of_input_iterators_tIbNS6_6detail15normal_iteratorINS6_10device_ptrIKxEEEESL_NS6_8equal_toIxEEEENSG_9not_fun_tINSD_8identityEEEEENSD_19counting_iterator_tIlEES8_S8_S8_S8_S8_S8_S8_S8_EEEEPS9_S9_NSD_9__find_if7functorIS9_EEEE10hipError_tPvRmT1_T2_T3_mT4_P12ihipStream_tbEUlT_E0_NS1_11comp_targetILNS1_3genE10ELNS1_11target_archE1201ELNS1_3gpuE5ELNS1_3repE0EEENS1_30default_config_static_selectorELNS0_4arch9wavefront6targetE1EEEvS14_ ; -- Begin function _ZN7rocprim17ROCPRIM_400000_NS6detail17trampoline_kernelINS0_14default_configENS1_22reduce_config_selectorIN6thrust23THRUST_200600_302600_NS5tupleIblNS6_9null_typeES8_S8_S8_S8_S8_S8_S8_EEEEZNS1_11reduce_implILb1ES3_NS6_12zip_iteratorINS7_INS6_11hip_rocprim26transform_input_iterator_tIbNSD_35transform_pair_of_input_iterators_tIbNS6_6detail15normal_iteratorINS6_10device_ptrIKxEEEESL_NS6_8equal_toIxEEEENSG_9not_fun_tINSD_8identityEEEEENSD_19counting_iterator_tIlEES8_S8_S8_S8_S8_S8_S8_S8_EEEEPS9_S9_NSD_9__find_if7functorIS9_EEEE10hipError_tPvRmT1_T2_T3_mT4_P12ihipStream_tbEUlT_E0_NS1_11comp_targetILNS1_3genE10ELNS1_11target_archE1201ELNS1_3gpuE5ELNS1_3repE0EEENS1_30default_config_static_selectorELNS0_4arch9wavefront6targetE1EEEvS14_
	.globl	_ZN7rocprim17ROCPRIM_400000_NS6detail17trampoline_kernelINS0_14default_configENS1_22reduce_config_selectorIN6thrust23THRUST_200600_302600_NS5tupleIblNS6_9null_typeES8_S8_S8_S8_S8_S8_S8_EEEEZNS1_11reduce_implILb1ES3_NS6_12zip_iteratorINS7_INS6_11hip_rocprim26transform_input_iterator_tIbNSD_35transform_pair_of_input_iterators_tIbNS6_6detail15normal_iteratorINS6_10device_ptrIKxEEEESL_NS6_8equal_toIxEEEENSG_9not_fun_tINSD_8identityEEEEENSD_19counting_iterator_tIlEES8_S8_S8_S8_S8_S8_S8_S8_EEEEPS9_S9_NSD_9__find_if7functorIS9_EEEE10hipError_tPvRmT1_T2_T3_mT4_P12ihipStream_tbEUlT_E0_NS1_11comp_targetILNS1_3genE10ELNS1_11target_archE1201ELNS1_3gpuE5ELNS1_3repE0EEENS1_30default_config_static_selectorELNS0_4arch9wavefront6targetE1EEEvS14_
	.p2align	8
	.type	_ZN7rocprim17ROCPRIM_400000_NS6detail17trampoline_kernelINS0_14default_configENS1_22reduce_config_selectorIN6thrust23THRUST_200600_302600_NS5tupleIblNS6_9null_typeES8_S8_S8_S8_S8_S8_S8_EEEEZNS1_11reduce_implILb1ES3_NS6_12zip_iteratorINS7_INS6_11hip_rocprim26transform_input_iterator_tIbNSD_35transform_pair_of_input_iterators_tIbNS6_6detail15normal_iteratorINS6_10device_ptrIKxEEEESL_NS6_8equal_toIxEEEENSG_9not_fun_tINSD_8identityEEEEENSD_19counting_iterator_tIlEES8_S8_S8_S8_S8_S8_S8_S8_EEEEPS9_S9_NSD_9__find_if7functorIS9_EEEE10hipError_tPvRmT1_T2_T3_mT4_P12ihipStream_tbEUlT_E0_NS1_11comp_targetILNS1_3genE10ELNS1_11target_archE1201ELNS1_3gpuE5ELNS1_3repE0EEENS1_30default_config_static_selectorELNS0_4arch9wavefront6targetE1EEEvS14_,@function
_ZN7rocprim17ROCPRIM_400000_NS6detail17trampoline_kernelINS0_14default_configENS1_22reduce_config_selectorIN6thrust23THRUST_200600_302600_NS5tupleIblNS6_9null_typeES8_S8_S8_S8_S8_S8_S8_EEEEZNS1_11reduce_implILb1ES3_NS6_12zip_iteratorINS7_INS6_11hip_rocprim26transform_input_iterator_tIbNSD_35transform_pair_of_input_iterators_tIbNS6_6detail15normal_iteratorINS6_10device_ptrIKxEEEESL_NS6_8equal_toIxEEEENSG_9not_fun_tINSD_8identityEEEEENSD_19counting_iterator_tIlEES8_S8_S8_S8_S8_S8_S8_S8_EEEEPS9_S9_NSD_9__find_if7functorIS9_EEEE10hipError_tPvRmT1_T2_T3_mT4_P12ihipStream_tbEUlT_E0_NS1_11comp_targetILNS1_3genE10ELNS1_11target_archE1201ELNS1_3gpuE5ELNS1_3repE0EEENS1_30default_config_static_selectorELNS0_4arch9wavefront6targetE1EEEvS14_: ; @_ZN7rocprim17ROCPRIM_400000_NS6detail17trampoline_kernelINS0_14default_configENS1_22reduce_config_selectorIN6thrust23THRUST_200600_302600_NS5tupleIblNS6_9null_typeES8_S8_S8_S8_S8_S8_S8_EEEEZNS1_11reduce_implILb1ES3_NS6_12zip_iteratorINS7_INS6_11hip_rocprim26transform_input_iterator_tIbNSD_35transform_pair_of_input_iterators_tIbNS6_6detail15normal_iteratorINS6_10device_ptrIKxEEEESL_NS6_8equal_toIxEEEENSG_9not_fun_tINSD_8identityEEEEENSD_19counting_iterator_tIlEES8_S8_S8_S8_S8_S8_S8_S8_EEEEPS9_S9_NSD_9__find_if7functorIS9_EEEE10hipError_tPvRmT1_T2_T3_mT4_P12ihipStream_tbEUlT_E0_NS1_11comp_targetILNS1_3genE10ELNS1_11target_archE1201ELNS1_3gpuE5ELNS1_3repE0EEENS1_30default_config_static_selectorELNS0_4arch9wavefront6targetE1EEEvS14_
; %bb.0:
	.section	.rodata,"a",@progbits
	.p2align	6, 0x0
	.amdhsa_kernel _ZN7rocprim17ROCPRIM_400000_NS6detail17trampoline_kernelINS0_14default_configENS1_22reduce_config_selectorIN6thrust23THRUST_200600_302600_NS5tupleIblNS6_9null_typeES8_S8_S8_S8_S8_S8_S8_EEEEZNS1_11reduce_implILb1ES3_NS6_12zip_iteratorINS7_INS6_11hip_rocprim26transform_input_iterator_tIbNSD_35transform_pair_of_input_iterators_tIbNS6_6detail15normal_iteratorINS6_10device_ptrIKxEEEESL_NS6_8equal_toIxEEEENSG_9not_fun_tINSD_8identityEEEEENSD_19counting_iterator_tIlEES8_S8_S8_S8_S8_S8_S8_S8_EEEEPS9_S9_NSD_9__find_if7functorIS9_EEEE10hipError_tPvRmT1_T2_T3_mT4_P12ihipStream_tbEUlT_E0_NS1_11comp_targetILNS1_3genE10ELNS1_11target_archE1201ELNS1_3gpuE5ELNS1_3repE0EEENS1_30default_config_static_selectorELNS0_4arch9wavefront6targetE1EEEvS14_
		.amdhsa_group_segment_fixed_size 0
		.amdhsa_private_segment_fixed_size 0
		.amdhsa_kernarg_size 104
		.amdhsa_user_sgpr_count 6
		.amdhsa_user_sgpr_private_segment_buffer 1
		.amdhsa_user_sgpr_dispatch_ptr 0
		.amdhsa_user_sgpr_queue_ptr 0
		.amdhsa_user_sgpr_kernarg_segment_ptr 1
		.amdhsa_user_sgpr_dispatch_id 0
		.amdhsa_user_sgpr_flat_scratch_init 0
		.amdhsa_user_sgpr_kernarg_preload_length 0
		.amdhsa_user_sgpr_kernarg_preload_offset 0
		.amdhsa_user_sgpr_private_segment_size 0
		.amdhsa_uses_dynamic_stack 0
		.amdhsa_system_sgpr_private_segment_wavefront_offset 0
		.amdhsa_system_sgpr_workgroup_id_x 1
		.amdhsa_system_sgpr_workgroup_id_y 0
		.amdhsa_system_sgpr_workgroup_id_z 0
		.amdhsa_system_sgpr_workgroup_info 0
		.amdhsa_system_vgpr_workitem_id 0
		.amdhsa_next_free_vgpr 1
		.amdhsa_next_free_sgpr 0
		.amdhsa_accum_offset 4
		.amdhsa_reserve_vcc 0
		.amdhsa_reserve_flat_scratch 0
		.amdhsa_float_round_mode_32 0
		.amdhsa_float_round_mode_16_64 0
		.amdhsa_float_denorm_mode_32 3
		.amdhsa_float_denorm_mode_16_64 3
		.amdhsa_dx10_clamp 1
		.amdhsa_ieee_mode 1
		.amdhsa_fp16_overflow 0
		.amdhsa_tg_split 0
		.amdhsa_exception_fp_ieee_invalid_op 0
		.amdhsa_exception_fp_denorm_src 0
		.amdhsa_exception_fp_ieee_div_zero 0
		.amdhsa_exception_fp_ieee_overflow 0
		.amdhsa_exception_fp_ieee_underflow 0
		.amdhsa_exception_fp_ieee_inexact 0
		.amdhsa_exception_int_div_zero 0
	.end_amdhsa_kernel
	.section	.text._ZN7rocprim17ROCPRIM_400000_NS6detail17trampoline_kernelINS0_14default_configENS1_22reduce_config_selectorIN6thrust23THRUST_200600_302600_NS5tupleIblNS6_9null_typeES8_S8_S8_S8_S8_S8_S8_EEEEZNS1_11reduce_implILb1ES3_NS6_12zip_iteratorINS7_INS6_11hip_rocprim26transform_input_iterator_tIbNSD_35transform_pair_of_input_iterators_tIbNS6_6detail15normal_iteratorINS6_10device_ptrIKxEEEESL_NS6_8equal_toIxEEEENSG_9not_fun_tINSD_8identityEEEEENSD_19counting_iterator_tIlEES8_S8_S8_S8_S8_S8_S8_S8_EEEEPS9_S9_NSD_9__find_if7functorIS9_EEEE10hipError_tPvRmT1_T2_T3_mT4_P12ihipStream_tbEUlT_E0_NS1_11comp_targetILNS1_3genE10ELNS1_11target_archE1201ELNS1_3gpuE5ELNS1_3repE0EEENS1_30default_config_static_selectorELNS0_4arch9wavefront6targetE1EEEvS14_,"axG",@progbits,_ZN7rocprim17ROCPRIM_400000_NS6detail17trampoline_kernelINS0_14default_configENS1_22reduce_config_selectorIN6thrust23THRUST_200600_302600_NS5tupleIblNS6_9null_typeES8_S8_S8_S8_S8_S8_S8_EEEEZNS1_11reduce_implILb1ES3_NS6_12zip_iteratorINS7_INS6_11hip_rocprim26transform_input_iterator_tIbNSD_35transform_pair_of_input_iterators_tIbNS6_6detail15normal_iteratorINS6_10device_ptrIKxEEEESL_NS6_8equal_toIxEEEENSG_9not_fun_tINSD_8identityEEEEENSD_19counting_iterator_tIlEES8_S8_S8_S8_S8_S8_S8_S8_EEEEPS9_S9_NSD_9__find_if7functorIS9_EEEE10hipError_tPvRmT1_T2_T3_mT4_P12ihipStream_tbEUlT_E0_NS1_11comp_targetILNS1_3genE10ELNS1_11target_archE1201ELNS1_3gpuE5ELNS1_3repE0EEENS1_30default_config_static_selectorELNS0_4arch9wavefront6targetE1EEEvS14_,comdat
.Lfunc_end230:
	.size	_ZN7rocprim17ROCPRIM_400000_NS6detail17trampoline_kernelINS0_14default_configENS1_22reduce_config_selectorIN6thrust23THRUST_200600_302600_NS5tupleIblNS6_9null_typeES8_S8_S8_S8_S8_S8_S8_EEEEZNS1_11reduce_implILb1ES3_NS6_12zip_iteratorINS7_INS6_11hip_rocprim26transform_input_iterator_tIbNSD_35transform_pair_of_input_iterators_tIbNS6_6detail15normal_iteratorINS6_10device_ptrIKxEEEESL_NS6_8equal_toIxEEEENSG_9not_fun_tINSD_8identityEEEEENSD_19counting_iterator_tIlEES8_S8_S8_S8_S8_S8_S8_S8_EEEEPS9_S9_NSD_9__find_if7functorIS9_EEEE10hipError_tPvRmT1_T2_T3_mT4_P12ihipStream_tbEUlT_E0_NS1_11comp_targetILNS1_3genE10ELNS1_11target_archE1201ELNS1_3gpuE5ELNS1_3repE0EEENS1_30default_config_static_selectorELNS0_4arch9wavefront6targetE1EEEvS14_, .Lfunc_end230-_ZN7rocprim17ROCPRIM_400000_NS6detail17trampoline_kernelINS0_14default_configENS1_22reduce_config_selectorIN6thrust23THRUST_200600_302600_NS5tupleIblNS6_9null_typeES8_S8_S8_S8_S8_S8_S8_EEEEZNS1_11reduce_implILb1ES3_NS6_12zip_iteratorINS7_INS6_11hip_rocprim26transform_input_iterator_tIbNSD_35transform_pair_of_input_iterators_tIbNS6_6detail15normal_iteratorINS6_10device_ptrIKxEEEESL_NS6_8equal_toIxEEEENSG_9not_fun_tINSD_8identityEEEEENSD_19counting_iterator_tIlEES8_S8_S8_S8_S8_S8_S8_S8_EEEEPS9_S9_NSD_9__find_if7functorIS9_EEEE10hipError_tPvRmT1_T2_T3_mT4_P12ihipStream_tbEUlT_E0_NS1_11comp_targetILNS1_3genE10ELNS1_11target_archE1201ELNS1_3gpuE5ELNS1_3repE0EEENS1_30default_config_static_selectorELNS0_4arch9wavefront6targetE1EEEvS14_
                                        ; -- End function
	.section	.AMDGPU.csdata,"",@progbits
; Kernel info:
; codeLenInByte = 0
; NumSgprs: 4
; NumVgprs: 0
; NumAgprs: 0
; TotalNumVgprs: 0
; ScratchSize: 0
; MemoryBound: 0
; FloatMode: 240
; IeeeMode: 1
; LDSByteSize: 0 bytes/workgroup (compile time only)
; SGPRBlocks: 0
; VGPRBlocks: 0
; NumSGPRsForWavesPerEU: 4
; NumVGPRsForWavesPerEU: 1
; AccumOffset: 4
; Occupancy: 8
; WaveLimiterHint : 0
; COMPUTE_PGM_RSRC2:SCRATCH_EN: 0
; COMPUTE_PGM_RSRC2:USER_SGPR: 6
; COMPUTE_PGM_RSRC2:TRAP_HANDLER: 0
; COMPUTE_PGM_RSRC2:TGID_X_EN: 1
; COMPUTE_PGM_RSRC2:TGID_Y_EN: 0
; COMPUTE_PGM_RSRC2:TGID_Z_EN: 0
; COMPUTE_PGM_RSRC2:TIDIG_COMP_CNT: 0
; COMPUTE_PGM_RSRC3_GFX90A:ACCUM_OFFSET: 0
; COMPUTE_PGM_RSRC3_GFX90A:TG_SPLIT: 0
	.section	.text._ZN7rocprim17ROCPRIM_400000_NS6detail17trampoline_kernelINS0_14default_configENS1_22reduce_config_selectorIN6thrust23THRUST_200600_302600_NS5tupleIblNS6_9null_typeES8_S8_S8_S8_S8_S8_S8_EEEEZNS1_11reduce_implILb1ES3_NS6_12zip_iteratorINS7_INS6_11hip_rocprim26transform_input_iterator_tIbNSD_35transform_pair_of_input_iterators_tIbNS6_6detail15normal_iteratorINS6_10device_ptrIKxEEEESL_NS6_8equal_toIxEEEENSG_9not_fun_tINSD_8identityEEEEENSD_19counting_iterator_tIlEES8_S8_S8_S8_S8_S8_S8_S8_EEEEPS9_S9_NSD_9__find_if7functorIS9_EEEE10hipError_tPvRmT1_T2_T3_mT4_P12ihipStream_tbEUlT_E0_NS1_11comp_targetILNS1_3genE10ELNS1_11target_archE1200ELNS1_3gpuE4ELNS1_3repE0EEENS1_30default_config_static_selectorELNS0_4arch9wavefront6targetE1EEEvS14_,"axG",@progbits,_ZN7rocprim17ROCPRIM_400000_NS6detail17trampoline_kernelINS0_14default_configENS1_22reduce_config_selectorIN6thrust23THRUST_200600_302600_NS5tupleIblNS6_9null_typeES8_S8_S8_S8_S8_S8_S8_EEEEZNS1_11reduce_implILb1ES3_NS6_12zip_iteratorINS7_INS6_11hip_rocprim26transform_input_iterator_tIbNSD_35transform_pair_of_input_iterators_tIbNS6_6detail15normal_iteratorINS6_10device_ptrIKxEEEESL_NS6_8equal_toIxEEEENSG_9not_fun_tINSD_8identityEEEEENSD_19counting_iterator_tIlEES8_S8_S8_S8_S8_S8_S8_S8_EEEEPS9_S9_NSD_9__find_if7functorIS9_EEEE10hipError_tPvRmT1_T2_T3_mT4_P12ihipStream_tbEUlT_E0_NS1_11comp_targetILNS1_3genE10ELNS1_11target_archE1200ELNS1_3gpuE4ELNS1_3repE0EEENS1_30default_config_static_selectorELNS0_4arch9wavefront6targetE1EEEvS14_,comdat
	.protected	_ZN7rocprim17ROCPRIM_400000_NS6detail17trampoline_kernelINS0_14default_configENS1_22reduce_config_selectorIN6thrust23THRUST_200600_302600_NS5tupleIblNS6_9null_typeES8_S8_S8_S8_S8_S8_S8_EEEEZNS1_11reduce_implILb1ES3_NS6_12zip_iteratorINS7_INS6_11hip_rocprim26transform_input_iterator_tIbNSD_35transform_pair_of_input_iterators_tIbNS6_6detail15normal_iteratorINS6_10device_ptrIKxEEEESL_NS6_8equal_toIxEEEENSG_9not_fun_tINSD_8identityEEEEENSD_19counting_iterator_tIlEES8_S8_S8_S8_S8_S8_S8_S8_EEEEPS9_S9_NSD_9__find_if7functorIS9_EEEE10hipError_tPvRmT1_T2_T3_mT4_P12ihipStream_tbEUlT_E0_NS1_11comp_targetILNS1_3genE10ELNS1_11target_archE1200ELNS1_3gpuE4ELNS1_3repE0EEENS1_30default_config_static_selectorELNS0_4arch9wavefront6targetE1EEEvS14_ ; -- Begin function _ZN7rocprim17ROCPRIM_400000_NS6detail17trampoline_kernelINS0_14default_configENS1_22reduce_config_selectorIN6thrust23THRUST_200600_302600_NS5tupleIblNS6_9null_typeES8_S8_S8_S8_S8_S8_S8_EEEEZNS1_11reduce_implILb1ES3_NS6_12zip_iteratorINS7_INS6_11hip_rocprim26transform_input_iterator_tIbNSD_35transform_pair_of_input_iterators_tIbNS6_6detail15normal_iteratorINS6_10device_ptrIKxEEEESL_NS6_8equal_toIxEEEENSG_9not_fun_tINSD_8identityEEEEENSD_19counting_iterator_tIlEES8_S8_S8_S8_S8_S8_S8_S8_EEEEPS9_S9_NSD_9__find_if7functorIS9_EEEE10hipError_tPvRmT1_T2_T3_mT4_P12ihipStream_tbEUlT_E0_NS1_11comp_targetILNS1_3genE10ELNS1_11target_archE1200ELNS1_3gpuE4ELNS1_3repE0EEENS1_30default_config_static_selectorELNS0_4arch9wavefront6targetE1EEEvS14_
	.globl	_ZN7rocprim17ROCPRIM_400000_NS6detail17trampoline_kernelINS0_14default_configENS1_22reduce_config_selectorIN6thrust23THRUST_200600_302600_NS5tupleIblNS6_9null_typeES8_S8_S8_S8_S8_S8_S8_EEEEZNS1_11reduce_implILb1ES3_NS6_12zip_iteratorINS7_INS6_11hip_rocprim26transform_input_iterator_tIbNSD_35transform_pair_of_input_iterators_tIbNS6_6detail15normal_iteratorINS6_10device_ptrIKxEEEESL_NS6_8equal_toIxEEEENSG_9not_fun_tINSD_8identityEEEEENSD_19counting_iterator_tIlEES8_S8_S8_S8_S8_S8_S8_S8_EEEEPS9_S9_NSD_9__find_if7functorIS9_EEEE10hipError_tPvRmT1_T2_T3_mT4_P12ihipStream_tbEUlT_E0_NS1_11comp_targetILNS1_3genE10ELNS1_11target_archE1200ELNS1_3gpuE4ELNS1_3repE0EEENS1_30default_config_static_selectorELNS0_4arch9wavefront6targetE1EEEvS14_
	.p2align	8
	.type	_ZN7rocprim17ROCPRIM_400000_NS6detail17trampoline_kernelINS0_14default_configENS1_22reduce_config_selectorIN6thrust23THRUST_200600_302600_NS5tupleIblNS6_9null_typeES8_S8_S8_S8_S8_S8_S8_EEEEZNS1_11reduce_implILb1ES3_NS6_12zip_iteratorINS7_INS6_11hip_rocprim26transform_input_iterator_tIbNSD_35transform_pair_of_input_iterators_tIbNS6_6detail15normal_iteratorINS6_10device_ptrIKxEEEESL_NS6_8equal_toIxEEEENSG_9not_fun_tINSD_8identityEEEEENSD_19counting_iterator_tIlEES8_S8_S8_S8_S8_S8_S8_S8_EEEEPS9_S9_NSD_9__find_if7functorIS9_EEEE10hipError_tPvRmT1_T2_T3_mT4_P12ihipStream_tbEUlT_E0_NS1_11comp_targetILNS1_3genE10ELNS1_11target_archE1200ELNS1_3gpuE4ELNS1_3repE0EEENS1_30default_config_static_selectorELNS0_4arch9wavefront6targetE1EEEvS14_,@function
_ZN7rocprim17ROCPRIM_400000_NS6detail17trampoline_kernelINS0_14default_configENS1_22reduce_config_selectorIN6thrust23THRUST_200600_302600_NS5tupleIblNS6_9null_typeES8_S8_S8_S8_S8_S8_S8_EEEEZNS1_11reduce_implILb1ES3_NS6_12zip_iteratorINS7_INS6_11hip_rocprim26transform_input_iterator_tIbNSD_35transform_pair_of_input_iterators_tIbNS6_6detail15normal_iteratorINS6_10device_ptrIKxEEEESL_NS6_8equal_toIxEEEENSG_9not_fun_tINSD_8identityEEEEENSD_19counting_iterator_tIlEES8_S8_S8_S8_S8_S8_S8_S8_EEEEPS9_S9_NSD_9__find_if7functorIS9_EEEE10hipError_tPvRmT1_T2_T3_mT4_P12ihipStream_tbEUlT_E0_NS1_11comp_targetILNS1_3genE10ELNS1_11target_archE1200ELNS1_3gpuE4ELNS1_3repE0EEENS1_30default_config_static_selectorELNS0_4arch9wavefront6targetE1EEEvS14_: ; @_ZN7rocprim17ROCPRIM_400000_NS6detail17trampoline_kernelINS0_14default_configENS1_22reduce_config_selectorIN6thrust23THRUST_200600_302600_NS5tupleIblNS6_9null_typeES8_S8_S8_S8_S8_S8_S8_EEEEZNS1_11reduce_implILb1ES3_NS6_12zip_iteratorINS7_INS6_11hip_rocprim26transform_input_iterator_tIbNSD_35transform_pair_of_input_iterators_tIbNS6_6detail15normal_iteratorINS6_10device_ptrIKxEEEESL_NS6_8equal_toIxEEEENSG_9not_fun_tINSD_8identityEEEEENSD_19counting_iterator_tIlEES8_S8_S8_S8_S8_S8_S8_S8_EEEEPS9_S9_NSD_9__find_if7functorIS9_EEEE10hipError_tPvRmT1_T2_T3_mT4_P12ihipStream_tbEUlT_E0_NS1_11comp_targetILNS1_3genE10ELNS1_11target_archE1200ELNS1_3gpuE4ELNS1_3repE0EEENS1_30default_config_static_selectorELNS0_4arch9wavefront6targetE1EEEvS14_
; %bb.0:
	.section	.rodata,"a",@progbits
	.p2align	6, 0x0
	.amdhsa_kernel _ZN7rocprim17ROCPRIM_400000_NS6detail17trampoline_kernelINS0_14default_configENS1_22reduce_config_selectorIN6thrust23THRUST_200600_302600_NS5tupleIblNS6_9null_typeES8_S8_S8_S8_S8_S8_S8_EEEEZNS1_11reduce_implILb1ES3_NS6_12zip_iteratorINS7_INS6_11hip_rocprim26transform_input_iterator_tIbNSD_35transform_pair_of_input_iterators_tIbNS6_6detail15normal_iteratorINS6_10device_ptrIKxEEEESL_NS6_8equal_toIxEEEENSG_9not_fun_tINSD_8identityEEEEENSD_19counting_iterator_tIlEES8_S8_S8_S8_S8_S8_S8_S8_EEEEPS9_S9_NSD_9__find_if7functorIS9_EEEE10hipError_tPvRmT1_T2_T3_mT4_P12ihipStream_tbEUlT_E0_NS1_11comp_targetILNS1_3genE10ELNS1_11target_archE1200ELNS1_3gpuE4ELNS1_3repE0EEENS1_30default_config_static_selectorELNS0_4arch9wavefront6targetE1EEEvS14_
		.amdhsa_group_segment_fixed_size 0
		.amdhsa_private_segment_fixed_size 0
		.amdhsa_kernarg_size 104
		.amdhsa_user_sgpr_count 6
		.amdhsa_user_sgpr_private_segment_buffer 1
		.amdhsa_user_sgpr_dispatch_ptr 0
		.amdhsa_user_sgpr_queue_ptr 0
		.amdhsa_user_sgpr_kernarg_segment_ptr 1
		.amdhsa_user_sgpr_dispatch_id 0
		.amdhsa_user_sgpr_flat_scratch_init 0
		.amdhsa_user_sgpr_kernarg_preload_length 0
		.amdhsa_user_sgpr_kernarg_preload_offset 0
		.amdhsa_user_sgpr_private_segment_size 0
		.amdhsa_uses_dynamic_stack 0
		.amdhsa_system_sgpr_private_segment_wavefront_offset 0
		.amdhsa_system_sgpr_workgroup_id_x 1
		.amdhsa_system_sgpr_workgroup_id_y 0
		.amdhsa_system_sgpr_workgroup_id_z 0
		.amdhsa_system_sgpr_workgroup_info 0
		.amdhsa_system_vgpr_workitem_id 0
		.amdhsa_next_free_vgpr 1
		.amdhsa_next_free_sgpr 0
		.amdhsa_accum_offset 4
		.amdhsa_reserve_vcc 0
		.amdhsa_reserve_flat_scratch 0
		.amdhsa_float_round_mode_32 0
		.amdhsa_float_round_mode_16_64 0
		.amdhsa_float_denorm_mode_32 3
		.amdhsa_float_denorm_mode_16_64 3
		.amdhsa_dx10_clamp 1
		.amdhsa_ieee_mode 1
		.amdhsa_fp16_overflow 0
		.amdhsa_tg_split 0
		.amdhsa_exception_fp_ieee_invalid_op 0
		.amdhsa_exception_fp_denorm_src 0
		.amdhsa_exception_fp_ieee_div_zero 0
		.amdhsa_exception_fp_ieee_overflow 0
		.amdhsa_exception_fp_ieee_underflow 0
		.amdhsa_exception_fp_ieee_inexact 0
		.amdhsa_exception_int_div_zero 0
	.end_amdhsa_kernel
	.section	.text._ZN7rocprim17ROCPRIM_400000_NS6detail17trampoline_kernelINS0_14default_configENS1_22reduce_config_selectorIN6thrust23THRUST_200600_302600_NS5tupleIblNS6_9null_typeES8_S8_S8_S8_S8_S8_S8_EEEEZNS1_11reduce_implILb1ES3_NS6_12zip_iteratorINS7_INS6_11hip_rocprim26transform_input_iterator_tIbNSD_35transform_pair_of_input_iterators_tIbNS6_6detail15normal_iteratorINS6_10device_ptrIKxEEEESL_NS6_8equal_toIxEEEENSG_9not_fun_tINSD_8identityEEEEENSD_19counting_iterator_tIlEES8_S8_S8_S8_S8_S8_S8_S8_EEEEPS9_S9_NSD_9__find_if7functorIS9_EEEE10hipError_tPvRmT1_T2_T3_mT4_P12ihipStream_tbEUlT_E0_NS1_11comp_targetILNS1_3genE10ELNS1_11target_archE1200ELNS1_3gpuE4ELNS1_3repE0EEENS1_30default_config_static_selectorELNS0_4arch9wavefront6targetE1EEEvS14_,"axG",@progbits,_ZN7rocprim17ROCPRIM_400000_NS6detail17trampoline_kernelINS0_14default_configENS1_22reduce_config_selectorIN6thrust23THRUST_200600_302600_NS5tupleIblNS6_9null_typeES8_S8_S8_S8_S8_S8_S8_EEEEZNS1_11reduce_implILb1ES3_NS6_12zip_iteratorINS7_INS6_11hip_rocprim26transform_input_iterator_tIbNSD_35transform_pair_of_input_iterators_tIbNS6_6detail15normal_iteratorINS6_10device_ptrIKxEEEESL_NS6_8equal_toIxEEEENSG_9not_fun_tINSD_8identityEEEEENSD_19counting_iterator_tIlEES8_S8_S8_S8_S8_S8_S8_S8_EEEEPS9_S9_NSD_9__find_if7functorIS9_EEEE10hipError_tPvRmT1_T2_T3_mT4_P12ihipStream_tbEUlT_E0_NS1_11comp_targetILNS1_3genE10ELNS1_11target_archE1200ELNS1_3gpuE4ELNS1_3repE0EEENS1_30default_config_static_selectorELNS0_4arch9wavefront6targetE1EEEvS14_,comdat
.Lfunc_end231:
	.size	_ZN7rocprim17ROCPRIM_400000_NS6detail17trampoline_kernelINS0_14default_configENS1_22reduce_config_selectorIN6thrust23THRUST_200600_302600_NS5tupleIblNS6_9null_typeES8_S8_S8_S8_S8_S8_S8_EEEEZNS1_11reduce_implILb1ES3_NS6_12zip_iteratorINS7_INS6_11hip_rocprim26transform_input_iterator_tIbNSD_35transform_pair_of_input_iterators_tIbNS6_6detail15normal_iteratorINS6_10device_ptrIKxEEEESL_NS6_8equal_toIxEEEENSG_9not_fun_tINSD_8identityEEEEENSD_19counting_iterator_tIlEES8_S8_S8_S8_S8_S8_S8_S8_EEEEPS9_S9_NSD_9__find_if7functorIS9_EEEE10hipError_tPvRmT1_T2_T3_mT4_P12ihipStream_tbEUlT_E0_NS1_11comp_targetILNS1_3genE10ELNS1_11target_archE1200ELNS1_3gpuE4ELNS1_3repE0EEENS1_30default_config_static_selectorELNS0_4arch9wavefront6targetE1EEEvS14_, .Lfunc_end231-_ZN7rocprim17ROCPRIM_400000_NS6detail17trampoline_kernelINS0_14default_configENS1_22reduce_config_selectorIN6thrust23THRUST_200600_302600_NS5tupleIblNS6_9null_typeES8_S8_S8_S8_S8_S8_S8_EEEEZNS1_11reduce_implILb1ES3_NS6_12zip_iteratorINS7_INS6_11hip_rocprim26transform_input_iterator_tIbNSD_35transform_pair_of_input_iterators_tIbNS6_6detail15normal_iteratorINS6_10device_ptrIKxEEEESL_NS6_8equal_toIxEEEENSG_9not_fun_tINSD_8identityEEEEENSD_19counting_iterator_tIlEES8_S8_S8_S8_S8_S8_S8_S8_EEEEPS9_S9_NSD_9__find_if7functorIS9_EEEE10hipError_tPvRmT1_T2_T3_mT4_P12ihipStream_tbEUlT_E0_NS1_11comp_targetILNS1_3genE10ELNS1_11target_archE1200ELNS1_3gpuE4ELNS1_3repE0EEENS1_30default_config_static_selectorELNS0_4arch9wavefront6targetE1EEEvS14_
                                        ; -- End function
	.section	.AMDGPU.csdata,"",@progbits
; Kernel info:
; codeLenInByte = 0
; NumSgprs: 4
; NumVgprs: 0
; NumAgprs: 0
; TotalNumVgprs: 0
; ScratchSize: 0
; MemoryBound: 0
; FloatMode: 240
; IeeeMode: 1
; LDSByteSize: 0 bytes/workgroup (compile time only)
; SGPRBlocks: 0
; VGPRBlocks: 0
; NumSGPRsForWavesPerEU: 4
; NumVGPRsForWavesPerEU: 1
; AccumOffset: 4
; Occupancy: 8
; WaveLimiterHint : 0
; COMPUTE_PGM_RSRC2:SCRATCH_EN: 0
; COMPUTE_PGM_RSRC2:USER_SGPR: 6
; COMPUTE_PGM_RSRC2:TRAP_HANDLER: 0
; COMPUTE_PGM_RSRC2:TGID_X_EN: 1
; COMPUTE_PGM_RSRC2:TGID_Y_EN: 0
; COMPUTE_PGM_RSRC2:TGID_Z_EN: 0
; COMPUTE_PGM_RSRC2:TIDIG_COMP_CNT: 0
; COMPUTE_PGM_RSRC3_GFX90A:ACCUM_OFFSET: 0
; COMPUTE_PGM_RSRC3_GFX90A:TG_SPLIT: 0
	.section	.text._ZN7rocprim17ROCPRIM_400000_NS6detail17trampoline_kernelINS0_14default_configENS1_22reduce_config_selectorIN6thrust23THRUST_200600_302600_NS5tupleIblNS6_9null_typeES8_S8_S8_S8_S8_S8_S8_EEEEZNS1_11reduce_implILb1ES3_NS6_12zip_iteratorINS7_INS6_11hip_rocprim26transform_input_iterator_tIbNSD_35transform_pair_of_input_iterators_tIbNS6_6detail15normal_iteratorINS6_10device_ptrIKxEEEESL_NS6_8equal_toIxEEEENSG_9not_fun_tINSD_8identityEEEEENSD_19counting_iterator_tIlEES8_S8_S8_S8_S8_S8_S8_S8_EEEEPS9_S9_NSD_9__find_if7functorIS9_EEEE10hipError_tPvRmT1_T2_T3_mT4_P12ihipStream_tbEUlT_E0_NS1_11comp_targetILNS1_3genE9ELNS1_11target_archE1100ELNS1_3gpuE3ELNS1_3repE0EEENS1_30default_config_static_selectorELNS0_4arch9wavefront6targetE1EEEvS14_,"axG",@progbits,_ZN7rocprim17ROCPRIM_400000_NS6detail17trampoline_kernelINS0_14default_configENS1_22reduce_config_selectorIN6thrust23THRUST_200600_302600_NS5tupleIblNS6_9null_typeES8_S8_S8_S8_S8_S8_S8_EEEEZNS1_11reduce_implILb1ES3_NS6_12zip_iteratorINS7_INS6_11hip_rocprim26transform_input_iterator_tIbNSD_35transform_pair_of_input_iterators_tIbNS6_6detail15normal_iteratorINS6_10device_ptrIKxEEEESL_NS6_8equal_toIxEEEENSG_9not_fun_tINSD_8identityEEEEENSD_19counting_iterator_tIlEES8_S8_S8_S8_S8_S8_S8_S8_EEEEPS9_S9_NSD_9__find_if7functorIS9_EEEE10hipError_tPvRmT1_T2_T3_mT4_P12ihipStream_tbEUlT_E0_NS1_11comp_targetILNS1_3genE9ELNS1_11target_archE1100ELNS1_3gpuE3ELNS1_3repE0EEENS1_30default_config_static_selectorELNS0_4arch9wavefront6targetE1EEEvS14_,comdat
	.protected	_ZN7rocprim17ROCPRIM_400000_NS6detail17trampoline_kernelINS0_14default_configENS1_22reduce_config_selectorIN6thrust23THRUST_200600_302600_NS5tupleIblNS6_9null_typeES8_S8_S8_S8_S8_S8_S8_EEEEZNS1_11reduce_implILb1ES3_NS6_12zip_iteratorINS7_INS6_11hip_rocprim26transform_input_iterator_tIbNSD_35transform_pair_of_input_iterators_tIbNS6_6detail15normal_iteratorINS6_10device_ptrIKxEEEESL_NS6_8equal_toIxEEEENSG_9not_fun_tINSD_8identityEEEEENSD_19counting_iterator_tIlEES8_S8_S8_S8_S8_S8_S8_S8_EEEEPS9_S9_NSD_9__find_if7functorIS9_EEEE10hipError_tPvRmT1_T2_T3_mT4_P12ihipStream_tbEUlT_E0_NS1_11comp_targetILNS1_3genE9ELNS1_11target_archE1100ELNS1_3gpuE3ELNS1_3repE0EEENS1_30default_config_static_selectorELNS0_4arch9wavefront6targetE1EEEvS14_ ; -- Begin function _ZN7rocprim17ROCPRIM_400000_NS6detail17trampoline_kernelINS0_14default_configENS1_22reduce_config_selectorIN6thrust23THRUST_200600_302600_NS5tupleIblNS6_9null_typeES8_S8_S8_S8_S8_S8_S8_EEEEZNS1_11reduce_implILb1ES3_NS6_12zip_iteratorINS7_INS6_11hip_rocprim26transform_input_iterator_tIbNSD_35transform_pair_of_input_iterators_tIbNS6_6detail15normal_iteratorINS6_10device_ptrIKxEEEESL_NS6_8equal_toIxEEEENSG_9not_fun_tINSD_8identityEEEEENSD_19counting_iterator_tIlEES8_S8_S8_S8_S8_S8_S8_S8_EEEEPS9_S9_NSD_9__find_if7functorIS9_EEEE10hipError_tPvRmT1_T2_T3_mT4_P12ihipStream_tbEUlT_E0_NS1_11comp_targetILNS1_3genE9ELNS1_11target_archE1100ELNS1_3gpuE3ELNS1_3repE0EEENS1_30default_config_static_selectorELNS0_4arch9wavefront6targetE1EEEvS14_
	.globl	_ZN7rocprim17ROCPRIM_400000_NS6detail17trampoline_kernelINS0_14default_configENS1_22reduce_config_selectorIN6thrust23THRUST_200600_302600_NS5tupleIblNS6_9null_typeES8_S8_S8_S8_S8_S8_S8_EEEEZNS1_11reduce_implILb1ES3_NS6_12zip_iteratorINS7_INS6_11hip_rocprim26transform_input_iterator_tIbNSD_35transform_pair_of_input_iterators_tIbNS6_6detail15normal_iteratorINS6_10device_ptrIKxEEEESL_NS6_8equal_toIxEEEENSG_9not_fun_tINSD_8identityEEEEENSD_19counting_iterator_tIlEES8_S8_S8_S8_S8_S8_S8_S8_EEEEPS9_S9_NSD_9__find_if7functorIS9_EEEE10hipError_tPvRmT1_T2_T3_mT4_P12ihipStream_tbEUlT_E0_NS1_11comp_targetILNS1_3genE9ELNS1_11target_archE1100ELNS1_3gpuE3ELNS1_3repE0EEENS1_30default_config_static_selectorELNS0_4arch9wavefront6targetE1EEEvS14_
	.p2align	8
	.type	_ZN7rocprim17ROCPRIM_400000_NS6detail17trampoline_kernelINS0_14default_configENS1_22reduce_config_selectorIN6thrust23THRUST_200600_302600_NS5tupleIblNS6_9null_typeES8_S8_S8_S8_S8_S8_S8_EEEEZNS1_11reduce_implILb1ES3_NS6_12zip_iteratorINS7_INS6_11hip_rocprim26transform_input_iterator_tIbNSD_35transform_pair_of_input_iterators_tIbNS6_6detail15normal_iteratorINS6_10device_ptrIKxEEEESL_NS6_8equal_toIxEEEENSG_9not_fun_tINSD_8identityEEEEENSD_19counting_iterator_tIlEES8_S8_S8_S8_S8_S8_S8_S8_EEEEPS9_S9_NSD_9__find_if7functorIS9_EEEE10hipError_tPvRmT1_T2_T3_mT4_P12ihipStream_tbEUlT_E0_NS1_11comp_targetILNS1_3genE9ELNS1_11target_archE1100ELNS1_3gpuE3ELNS1_3repE0EEENS1_30default_config_static_selectorELNS0_4arch9wavefront6targetE1EEEvS14_,@function
_ZN7rocprim17ROCPRIM_400000_NS6detail17trampoline_kernelINS0_14default_configENS1_22reduce_config_selectorIN6thrust23THRUST_200600_302600_NS5tupleIblNS6_9null_typeES8_S8_S8_S8_S8_S8_S8_EEEEZNS1_11reduce_implILb1ES3_NS6_12zip_iteratorINS7_INS6_11hip_rocprim26transform_input_iterator_tIbNSD_35transform_pair_of_input_iterators_tIbNS6_6detail15normal_iteratorINS6_10device_ptrIKxEEEESL_NS6_8equal_toIxEEEENSG_9not_fun_tINSD_8identityEEEEENSD_19counting_iterator_tIlEES8_S8_S8_S8_S8_S8_S8_S8_EEEEPS9_S9_NSD_9__find_if7functorIS9_EEEE10hipError_tPvRmT1_T2_T3_mT4_P12ihipStream_tbEUlT_E0_NS1_11comp_targetILNS1_3genE9ELNS1_11target_archE1100ELNS1_3gpuE3ELNS1_3repE0EEENS1_30default_config_static_selectorELNS0_4arch9wavefront6targetE1EEEvS14_: ; @_ZN7rocprim17ROCPRIM_400000_NS6detail17trampoline_kernelINS0_14default_configENS1_22reduce_config_selectorIN6thrust23THRUST_200600_302600_NS5tupleIblNS6_9null_typeES8_S8_S8_S8_S8_S8_S8_EEEEZNS1_11reduce_implILb1ES3_NS6_12zip_iteratorINS7_INS6_11hip_rocprim26transform_input_iterator_tIbNSD_35transform_pair_of_input_iterators_tIbNS6_6detail15normal_iteratorINS6_10device_ptrIKxEEEESL_NS6_8equal_toIxEEEENSG_9not_fun_tINSD_8identityEEEEENSD_19counting_iterator_tIlEES8_S8_S8_S8_S8_S8_S8_S8_EEEEPS9_S9_NSD_9__find_if7functorIS9_EEEE10hipError_tPvRmT1_T2_T3_mT4_P12ihipStream_tbEUlT_E0_NS1_11comp_targetILNS1_3genE9ELNS1_11target_archE1100ELNS1_3gpuE3ELNS1_3repE0EEENS1_30default_config_static_selectorELNS0_4arch9wavefront6targetE1EEEvS14_
; %bb.0:
	.section	.rodata,"a",@progbits
	.p2align	6, 0x0
	.amdhsa_kernel _ZN7rocprim17ROCPRIM_400000_NS6detail17trampoline_kernelINS0_14default_configENS1_22reduce_config_selectorIN6thrust23THRUST_200600_302600_NS5tupleIblNS6_9null_typeES8_S8_S8_S8_S8_S8_S8_EEEEZNS1_11reduce_implILb1ES3_NS6_12zip_iteratorINS7_INS6_11hip_rocprim26transform_input_iterator_tIbNSD_35transform_pair_of_input_iterators_tIbNS6_6detail15normal_iteratorINS6_10device_ptrIKxEEEESL_NS6_8equal_toIxEEEENSG_9not_fun_tINSD_8identityEEEEENSD_19counting_iterator_tIlEES8_S8_S8_S8_S8_S8_S8_S8_EEEEPS9_S9_NSD_9__find_if7functorIS9_EEEE10hipError_tPvRmT1_T2_T3_mT4_P12ihipStream_tbEUlT_E0_NS1_11comp_targetILNS1_3genE9ELNS1_11target_archE1100ELNS1_3gpuE3ELNS1_3repE0EEENS1_30default_config_static_selectorELNS0_4arch9wavefront6targetE1EEEvS14_
		.amdhsa_group_segment_fixed_size 0
		.amdhsa_private_segment_fixed_size 0
		.amdhsa_kernarg_size 104
		.amdhsa_user_sgpr_count 6
		.amdhsa_user_sgpr_private_segment_buffer 1
		.amdhsa_user_sgpr_dispatch_ptr 0
		.amdhsa_user_sgpr_queue_ptr 0
		.amdhsa_user_sgpr_kernarg_segment_ptr 1
		.amdhsa_user_sgpr_dispatch_id 0
		.amdhsa_user_sgpr_flat_scratch_init 0
		.amdhsa_user_sgpr_kernarg_preload_length 0
		.amdhsa_user_sgpr_kernarg_preload_offset 0
		.amdhsa_user_sgpr_private_segment_size 0
		.amdhsa_uses_dynamic_stack 0
		.amdhsa_system_sgpr_private_segment_wavefront_offset 0
		.amdhsa_system_sgpr_workgroup_id_x 1
		.amdhsa_system_sgpr_workgroup_id_y 0
		.amdhsa_system_sgpr_workgroup_id_z 0
		.amdhsa_system_sgpr_workgroup_info 0
		.amdhsa_system_vgpr_workitem_id 0
		.amdhsa_next_free_vgpr 1
		.amdhsa_next_free_sgpr 0
		.amdhsa_accum_offset 4
		.amdhsa_reserve_vcc 0
		.amdhsa_reserve_flat_scratch 0
		.amdhsa_float_round_mode_32 0
		.amdhsa_float_round_mode_16_64 0
		.amdhsa_float_denorm_mode_32 3
		.amdhsa_float_denorm_mode_16_64 3
		.amdhsa_dx10_clamp 1
		.amdhsa_ieee_mode 1
		.amdhsa_fp16_overflow 0
		.amdhsa_tg_split 0
		.amdhsa_exception_fp_ieee_invalid_op 0
		.amdhsa_exception_fp_denorm_src 0
		.amdhsa_exception_fp_ieee_div_zero 0
		.amdhsa_exception_fp_ieee_overflow 0
		.amdhsa_exception_fp_ieee_underflow 0
		.amdhsa_exception_fp_ieee_inexact 0
		.amdhsa_exception_int_div_zero 0
	.end_amdhsa_kernel
	.section	.text._ZN7rocprim17ROCPRIM_400000_NS6detail17trampoline_kernelINS0_14default_configENS1_22reduce_config_selectorIN6thrust23THRUST_200600_302600_NS5tupleIblNS6_9null_typeES8_S8_S8_S8_S8_S8_S8_EEEEZNS1_11reduce_implILb1ES3_NS6_12zip_iteratorINS7_INS6_11hip_rocprim26transform_input_iterator_tIbNSD_35transform_pair_of_input_iterators_tIbNS6_6detail15normal_iteratorINS6_10device_ptrIKxEEEESL_NS6_8equal_toIxEEEENSG_9not_fun_tINSD_8identityEEEEENSD_19counting_iterator_tIlEES8_S8_S8_S8_S8_S8_S8_S8_EEEEPS9_S9_NSD_9__find_if7functorIS9_EEEE10hipError_tPvRmT1_T2_T3_mT4_P12ihipStream_tbEUlT_E0_NS1_11comp_targetILNS1_3genE9ELNS1_11target_archE1100ELNS1_3gpuE3ELNS1_3repE0EEENS1_30default_config_static_selectorELNS0_4arch9wavefront6targetE1EEEvS14_,"axG",@progbits,_ZN7rocprim17ROCPRIM_400000_NS6detail17trampoline_kernelINS0_14default_configENS1_22reduce_config_selectorIN6thrust23THRUST_200600_302600_NS5tupleIblNS6_9null_typeES8_S8_S8_S8_S8_S8_S8_EEEEZNS1_11reduce_implILb1ES3_NS6_12zip_iteratorINS7_INS6_11hip_rocprim26transform_input_iterator_tIbNSD_35transform_pair_of_input_iterators_tIbNS6_6detail15normal_iteratorINS6_10device_ptrIKxEEEESL_NS6_8equal_toIxEEEENSG_9not_fun_tINSD_8identityEEEEENSD_19counting_iterator_tIlEES8_S8_S8_S8_S8_S8_S8_S8_EEEEPS9_S9_NSD_9__find_if7functorIS9_EEEE10hipError_tPvRmT1_T2_T3_mT4_P12ihipStream_tbEUlT_E0_NS1_11comp_targetILNS1_3genE9ELNS1_11target_archE1100ELNS1_3gpuE3ELNS1_3repE0EEENS1_30default_config_static_selectorELNS0_4arch9wavefront6targetE1EEEvS14_,comdat
.Lfunc_end232:
	.size	_ZN7rocprim17ROCPRIM_400000_NS6detail17trampoline_kernelINS0_14default_configENS1_22reduce_config_selectorIN6thrust23THRUST_200600_302600_NS5tupleIblNS6_9null_typeES8_S8_S8_S8_S8_S8_S8_EEEEZNS1_11reduce_implILb1ES3_NS6_12zip_iteratorINS7_INS6_11hip_rocprim26transform_input_iterator_tIbNSD_35transform_pair_of_input_iterators_tIbNS6_6detail15normal_iteratorINS6_10device_ptrIKxEEEESL_NS6_8equal_toIxEEEENSG_9not_fun_tINSD_8identityEEEEENSD_19counting_iterator_tIlEES8_S8_S8_S8_S8_S8_S8_S8_EEEEPS9_S9_NSD_9__find_if7functorIS9_EEEE10hipError_tPvRmT1_T2_T3_mT4_P12ihipStream_tbEUlT_E0_NS1_11comp_targetILNS1_3genE9ELNS1_11target_archE1100ELNS1_3gpuE3ELNS1_3repE0EEENS1_30default_config_static_selectorELNS0_4arch9wavefront6targetE1EEEvS14_, .Lfunc_end232-_ZN7rocprim17ROCPRIM_400000_NS6detail17trampoline_kernelINS0_14default_configENS1_22reduce_config_selectorIN6thrust23THRUST_200600_302600_NS5tupleIblNS6_9null_typeES8_S8_S8_S8_S8_S8_S8_EEEEZNS1_11reduce_implILb1ES3_NS6_12zip_iteratorINS7_INS6_11hip_rocprim26transform_input_iterator_tIbNSD_35transform_pair_of_input_iterators_tIbNS6_6detail15normal_iteratorINS6_10device_ptrIKxEEEESL_NS6_8equal_toIxEEEENSG_9not_fun_tINSD_8identityEEEEENSD_19counting_iterator_tIlEES8_S8_S8_S8_S8_S8_S8_S8_EEEEPS9_S9_NSD_9__find_if7functorIS9_EEEE10hipError_tPvRmT1_T2_T3_mT4_P12ihipStream_tbEUlT_E0_NS1_11comp_targetILNS1_3genE9ELNS1_11target_archE1100ELNS1_3gpuE3ELNS1_3repE0EEENS1_30default_config_static_selectorELNS0_4arch9wavefront6targetE1EEEvS14_
                                        ; -- End function
	.section	.AMDGPU.csdata,"",@progbits
; Kernel info:
; codeLenInByte = 0
; NumSgprs: 4
; NumVgprs: 0
; NumAgprs: 0
; TotalNumVgprs: 0
; ScratchSize: 0
; MemoryBound: 0
; FloatMode: 240
; IeeeMode: 1
; LDSByteSize: 0 bytes/workgroup (compile time only)
; SGPRBlocks: 0
; VGPRBlocks: 0
; NumSGPRsForWavesPerEU: 4
; NumVGPRsForWavesPerEU: 1
; AccumOffset: 4
; Occupancy: 8
; WaveLimiterHint : 0
; COMPUTE_PGM_RSRC2:SCRATCH_EN: 0
; COMPUTE_PGM_RSRC2:USER_SGPR: 6
; COMPUTE_PGM_RSRC2:TRAP_HANDLER: 0
; COMPUTE_PGM_RSRC2:TGID_X_EN: 1
; COMPUTE_PGM_RSRC2:TGID_Y_EN: 0
; COMPUTE_PGM_RSRC2:TGID_Z_EN: 0
; COMPUTE_PGM_RSRC2:TIDIG_COMP_CNT: 0
; COMPUTE_PGM_RSRC3_GFX90A:ACCUM_OFFSET: 0
; COMPUTE_PGM_RSRC3_GFX90A:TG_SPLIT: 0
	.section	.text._ZN7rocprim17ROCPRIM_400000_NS6detail17trampoline_kernelINS0_14default_configENS1_22reduce_config_selectorIN6thrust23THRUST_200600_302600_NS5tupleIblNS6_9null_typeES8_S8_S8_S8_S8_S8_S8_EEEEZNS1_11reduce_implILb1ES3_NS6_12zip_iteratorINS7_INS6_11hip_rocprim26transform_input_iterator_tIbNSD_35transform_pair_of_input_iterators_tIbNS6_6detail15normal_iteratorINS6_10device_ptrIKxEEEESL_NS6_8equal_toIxEEEENSG_9not_fun_tINSD_8identityEEEEENSD_19counting_iterator_tIlEES8_S8_S8_S8_S8_S8_S8_S8_EEEEPS9_S9_NSD_9__find_if7functorIS9_EEEE10hipError_tPvRmT1_T2_T3_mT4_P12ihipStream_tbEUlT_E0_NS1_11comp_targetILNS1_3genE8ELNS1_11target_archE1030ELNS1_3gpuE2ELNS1_3repE0EEENS1_30default_config_static_selectorELNS0_4arch9wavefront6targetE1EEEvS14_,"axG",@progbits,_ZN7rocprim17ROCPRIM_400000_NS6detail17trampoline_kernelINS0_14default_configENS1_22reduce_config_selectorIN6thrust23THRUST_200600_302600_NS5tupleIblNS6_9null_typeES8_S8_S8_S8_S8_S8_S8_EEEEZNS1_11reduce_implILb1ES3_NS6_12zip_iteratorINS7_INS6_11hip_rocprim26transform_input_iterator_tIbNSD_35transform_pair_of_input_iterators_tIbNS6_6detail15normal_iteratorINS6_10device_ptrIKxEEEESL_NS6_8equal_toIxEEEENSG_9not_fun_tINSD_8identityEEEEENSD_19counting_iterator_tIlEES8_S8_S8_S8_S8_S8_S8_S8_EEEEPS9_S9_NSD_9__find_if7functorIS9_EEEE10hipError_tPvRmT1_T2_T3_mT4_P12ihipStream_tbEUlT_E0_NS1_11comp_targetILNS1_3genE8ELNS1_11target_archE1030ELNS1_3gpuE2ELNS1_3repE0EEENS1_30default_config_static_selectorELNS0_4arch9wavefront6targetE1EEEvS14_,comdat
	.protected	_ZN7rocprim17ROCPRIM_400000_NS6detail17trampoline_kernelINS0_14default_configENS1_22reduce_config_selectorIN6thrust23THRUST_200600_302600_NS5tupleIblNS6_9null_typeES8_S8_S8_S8_S8_S8_S8_EEEEZNS1_11reduce_implILb1ES3_NS6_12zip_iteratorINS7_INS6_11hip_rocprim26transform_input_iterator_tIbNSD_35transform_pair_of_input_iterators_tIbNS6_6detail15normal_iteratorINS6_10device_ptrIKxEEEESL_NS6_8equal_toIxEEEENSG_9not_fun_tINSD_8identityEEEEENSD_19counting_iterator_tIlEES8_S8_S8_S8_S8_S8_S8_S8_EEEEPS9_S9_NSD_9__find_if7functorIS9_EEEE10hipError_tPvRmT1_T2_T3_mT4_P12ihipStream_tbEUlT_E0_NS1_11comp_targetILNS1_3genE8ELNS1_11target_archE1030ELNS1_3gpuE2ELNS1_3repE0EEENS1_30default_config_static_selectorELNS0_4arch9wavefront6targetE1EEEvS14_ ; -- Begin function _ZN7rocprim17ROCPRIM_400000_NS6detail17trampoline_kernelINS0_14default_configENS1_22reduce_config_selectorIN6thrust23THRUST_200600_302600_NS5tupleIblNS6_9null_typeES8_S8_S8_S8_S8_S8_S8_EEEEZNS1_11reduce_implILb1ES3_NS6_12zip_iteratorINS7_INS6_11hip_rocprim26transform_input_iterator_tIbNSD_35transform_pair_of_input_iterators_tIbNS6_6detail15normal_iteratorINS6_10device_ptrIKxEEEESL_NS6_8equal_toIxEEEENSG_9not_fun_tINSD_8identityEEEEENSD_19counting_iterator_tIlEES8_S8_S8_S8_S8_S8_S8_S8_EEEEPS9_S9_NSD_9__find_if7functorIS9_EEEE10hipError_tPvRmT1_T2_T3_mT4_P12ihipStream_tbEUlT_E0_NS1_11comp_targetILNS1_3genE8ELNS1_11target_archE1030ELNS1_3gpuE2ELNS1_3repE0EEENS1_30default_config_static_selectorELNS0_4arch9wavefront6targetE1EEEvS14_
	.globl	_ZN7rocprim17ROCPRIM_400000_NS6detail17trampoline_kernelINS0_14default_configENS1_22reduce_config_selectorIN6thrust23THRUST_200600_302600_NS5tupleIblNS6_9null_typeES8_S8_S8_S8_S8_S8_S8_EEEEZNS1_11reduce_implILb1ES3_NS6_12zip_iteratorINS7_INS6_11hip_rocprim26transform_input_iterator_tIbNSD_35transform_pair_of_input_iterators_tIbNS6_6detail15normal_iteratorINS6_10device_ptrIKxEEEESL_NS6_8equal_toIxEEEENSG_9not_fun_tINSD_8identityEEEEENSD_19counting_iterator_tIlEES8_S8_S8_S8_S8_S8_S8_S8_EEEEPS9_S9_NSD_9__find_if7functorIS9_EEEE10hipError_tPvRmT1_T2_T3_mT4_P12ihipStream_tbEUlT_E0_NS1_11comp_targetILNS1_3genE8ELNS1_11target_archE1030ELNS1_3gpuE2ELNS1_3repE0EEENS1_30default_config_static_selectorELNS0_4arch9wavefront6targetE1EEEvS14_
	.p2align	8
	.type	_ZN7rocprim17ROCPRIM_400000_NS6detail17trampoline_kernelINS0_14default_configENS1_22reduce_config_selectorIN6thrust23THRUST_200600_302600_NS5tupleIblNS6_9null_typeES8_S8_S8_S8_S8_S8_S8_EEEEZNS1_11reduce_implILb1ES3_NS6_12zip_iteratorINS7_INS6_11hip_rocprim26transform_input_iterator_tIbNSD_35transform_pair_of_input_iterators_tIbNS6_6detail15normal_iteratorINS6_10device_ptrIKxEEEESL_NS6_8equal_toIxEEEENSG_9not_fun_tINSD_8identityEEEEENSD_19counting_iterator_tIlEES8_S8_S8_S8_S8_S8_S8_S8_EEEEPS9_S9_NSD_9__find_if7functorIS9_EEEE10hipError_tPvRmT1_T2_T3_mT4_P12ihipStream_tbEUlT_E0_NS1_11comp_targetILNS1_3genE8ELNS1_11target_archE1030ELNS1_3gpuE2ELNS1_3repE0EEENS1_30default_config_static_selectorELNS0_4arch9wavefront6targetE1EEEvS14_,@function
_ZN7rocprim17ROCPRIM_400000_NS6detail17trampoline_kernelINS0_14default_configENS1_22reduce_config_selectorIN6thrust23THRUST_200600_302600_NS5tupleIblNS6_9null_typeES8_S8_S8_S8_S8_S8_S8_EEEEZNS1_11reduce_implILb1ES3_NS6_12zip_iteratorINS7_INS6_11hip_rocprim26transform_input_iterator_tIbNSD_35transform_pair_of_input_iterators_tIbNS6_6detail15normal_iteratorINS6_10device_ptrIKxEEEESL_NS6_8equal_toIxEEEENSG_9not_fun_tINSD_8identityEEEEENSD_19counting_iterator_tIlEES8_S8_S8_S8_S8_S8_S8_S8_EEEEPS9_S9_NSD_9__find_if7functorIS9_EEEE10hipError_tPvRmT1_T2_T3_mT4_P12ihipStream_tbEUlT_E0_NS1_11comp_targetILNS1_3genE8ELNS1_11target_archE1030ELNS1_3gpuE2ELNS1_3repE0EEENS1_30default_config_static_selectorELNS0_4arch9wavefront6targetE1EEEvS14_: ; @_ZN7rocprim17ROCPRIM_400000_NS6detail17trampoline_kernelINS0_14default_configENS1_22reduce_config_selectorIN6thrust23THRUST_200600_302600_NS5tupleIblNS6_9null_typeES8_S8_S8_S8_S8_S8_S8_EEEEZNS1_11reduce_implILb1ES3_NS6_12zip_iteratorINS7_INS6_11hip_rocprim26transform_input_iterator_tIbNSD_35transform_pair_of_input_iterators_tIbNS6_6detail15normal_iteratorINS6_10device_ptrIKxEEEESL_NS6_8equal_toIxEEEENSG_9not_fun_tINSD_8identityEEEEENSD_19counting_iterator_tIlEES8_S8_S8_S8_S8_S8_S8_S8_EEEEPS9_S9_NSD_9__find_if7functorIS9_EEEE10hipError_tPvRmT1_T2_T3_mT4_P12ihipStream_tbEUlT_E0_NS1_11comp_targetILNS1_3genE8ELNS1_11target_archE1030ELNS1_3gpuE2ELNS1_3repE0EEENS1_30default_config_static_selectorELNS0_4arch9wavefront6targetE1EEEvS14_
; %bb.0:
	.section	.rodata,"a",@progbits
	.p2align	6, 0x0
	.amdhsa_kernel _ZN7rocprim17ROCPRIM_400000_NS6detail17trampoline_kernelINS0_14default_configENS1_22reduce_config_selectorIN6thrust23THRUST_200600_302600_NS5tupleIblNS6_9null_typeES8_S8_S8_S8_S8_S8_S8_EEEEZNS1_11reduce_implILb1ES3_NS6_12zip_iteratorINS7_INS6_11hip_rocprim26transform_input_iterator_tIbNSD_35transform_pair_of_input_iterators_tIbNS6_6detail15normal_iteratorINS6_10device_ptrIKxEEEESL_NS6_8equal_toIxEEEENSG_9not_fun_tINSD_8identityEEEEENSD_19counting_iterator_tIlEES8_S8_S8_S8_S8_S8_S8_S8_EEEEPS9_S9_NSD_9__find_if7functorIS9_EEEE10hipError_tPvRmT1_T2_T3_mT4_P12ihipStream_tbEUlT_E0_NS1_11comp_targetILNS1_3genE8ELNS1_11target_archE1030ELNS1_3gpuE2ELNS1_3repE0EEENS1_30default_config_static_selectorELNS0_4arch9wavefront6targetE1EEEvS14_
		.amdhsa_group_segment_fixed_size 0
		.amdhsa_private_segment_fixed_size 0
		.amdhsa_kernarg_size 104
		.amdhsa_user_sgpr_count 6
		.amdhsa_user_sgpr_private_segment_buffer 1
		.amdhsa_user_sgpr_dispatch_ptr 0
		.amdhsa_user_sgpr_queue_ptr 0
		.amdhsa_user_sgpr_kernarg_segment_ptr 1
		.amdhsa_user_sgpr_dispatch_id 0
		.amdhsa_user_sgpr_flat_scratch_init 0
		.amdhsa_user_sgpr_kernarg_preload_length 0
		.amdhsa_user_sgpr_kernarg_preload_offset 0
		.amdhsa_user_sgpr_private_segment_size 0
		.amdhsa_uses_dynamic_stack 0
		.amdhsa_system_sgpr_private_segment_wavefront_offset 0
		.amdhsa_system_sgpr_workgroup_id_x 1
		.amdhsa_system_sgpr_workgroup_id_y 0
		.amdhsa_system_sgpr_workgroup_id_z 0
		.amdhsa_system_sgpr_workgroup_info 0
		.amdhsa_system_vgpr_workitem_id 0
		.amdhsa_next_free_vgpr 1
		.amdhsa_next_free_sgpr 0
		.amdhsa_accum_offset 4
		.amdhsa_reserve_vcc 0
		.amdhsa_reserve_flat_scratch 0
		.amdhsa_float_round_mode_32 0
		.amdhsa_float_round_mode_16_64 0
		.amdhsa_float_denorm_mode_32 3
		.amdhsa_float_denorm_mode_16_64 3
		.amdhsa_dx10_clamp 1
		.amdhsa_ieee_mode 1
		.amdhsa_fp16_overflow 0
		.amdhsa_tg_split 0
		.amdhsa_exception_fp_ieee_invalid_op 0
		.amdhsa_exception_fp_denorm_src 0
		.amdhsa_exception_fp_ieee_div_zero 0
		.amdhsa_exception_fp_ieee_overflow 0
		.amdhsa_exception_fp_ieee_underflow 0
		.amdhsa_exception_fp_ieee_inexact 0
		.amdhsa_exception_int_div_zero 0
	.end_amdhsa_kernel
	.section	.text._ZN7rocprim17ROCPRIM_400000_NS6detail17trampoline_kernelINS0_14default_configENS1_22reduce_config_selectorIN6thrust23THRUST_200600_302600_NS5tupleIblNS6_9null_typeES8_S8_S8_S8_S8_S8_S8_EEEEZNS1_11reduce_implILb1ES3_NS6_12zip_iteratorINS7_INS6_11hip_rocprim26transform_input_iterator_tIbNSD_35transform_pair_of_input_iterators_tIbNS6_6detail15normal_iteratorINS6_10device_ptrIKxEEEESL_NS6_8equal_toIxEEEENSG_9not_fun_tINSD_8identityEEEEENSD_19counting_iterator_tIlEES8_S8_S8_S8_S8_S8_S8_S8_EEEEPS9_S9_NSD_9__find_if7functorIS9_EEEE10hipError_tPvRmT1_T2_T3_mT4_P12ihipStream_tbEUlT_E0_NS1_11comp_targetILNS1_3genE8ELNS1_11target_archE1030ELNS1_3gpuE2ELNS1_3repE0EEENS1_30default_config_static_selectorELNS0_4arch9wavefront6targetE1EEEvS14_,"axG",@progbits,_ZN7rocprim17ROCPRIM_400000_NS6detail17trampoline_kernelINS0_14default_configENS1_22reduce_config_selectorIN6thrust23THRUST_200600_302600_NS5tupleIblNS6_9null_typeES8_S8_S8_S8_S8_S8_S8_EEEEZNS1_11reduce_implILb1ES3_NS6_12zip_iteratorINS7_INS6_11hip_rocprim26transform_input_iterator_tIbNSD_35transform_pair_of_input_iterators_tIbNS6_6detail15normal_iteratorINS6_10device_ptrIKxEEEESL_NS6_8equal_toIxEEEENSG_9not_fun_tINSD_8identityEEEEENSD_19counting_iterator_tIlEES8_S8_S8_S8_S8_S8_S8_S8_EEEEPS9_S9_NSD_9__find_if7functorIS9_EEEE10hipError_tPvRmT1_T2_T3_mT4_P12ihipStream_tbEUlT_E0_NS1_11comp_targetILNS1_3genE8ELNS1_11target_archE1030ELNS1_3gpuE2ELNS1_3repE0EEENS1_30default_config_static_selectorELNS0_4arch9wavefront6targetE1EEEvS14_,comdat
.Lfunc_end233:
	.size	_ZN7rocprim17ROCPRIM_400000_NS6detail17trampoline_kernelINS0_14default_configENS1_22reduce_config_selectorIN6thrust23THRUST_200600_302600_NS5tupleIblNS6_9null_typeES8_S8_S8_S8_S8_S8_S8_EEEEZNS1_11reduce_implILb1ES3_NS6_12zip_iteratorINS7_INS6_11hip_rocprim26transform_input_iterator_tIbNSD_35transform_pair_of_input_iterators_tIbNS6_6detail15normal_iteratorINS6_10device_ptrIKxEEEESL_NS6_8equal_toIxEEEENSG_9not_fun_tINSD_8identityEEEEENSD_19counting_iterator_tIlEES8_S8_S8_S8_S8_S8_S8_S8_EEEEPS9_S9_NSD_9__find_if7functorIS9_EEEE10hipError_tPvRmT1_T2_T3_mT4_P12ihipStream_tbEUlT_E0_NS1_11comp_targetILNS1_3genE8ELNS1_11target_archE1030ELNS1_3gpuE2ELNS1_3repE0EEENS1_30default_config_static_selectorELNS0_4arch9wavefront6targetE1EEEvS14_, .Lfunc_end233-_ZN7rocprim17ROCPRIM_400000_NS6detail17trampoline_kernelINS0_14default_configENS1_22reduce_config_selectorIN6thrust23THRUST_200600_302600_NS5tupleIblNS6_9null_typeES8_S8_S8_S8_S8_S8_S8_EEEEZNS1_11reduce_implILb1ES3_NS6_12zip_iteratorINS7_INS6_11hip_rocprim26transform_input_iterator_tIbNSD_35transform_pair_of_input_iterators_tIbNS6_6detail15normal_iteratorINS6_10device_ptrIKxEEEESL_NS6_8equal_toIxEEEENSG_9not_fun_tINSD_8identityEEEEENSD_19counting_iterator_tIlEES8_S8_S8_S8_S8_S8_S8_S8_EEEEPS9_S9_NSD_9__find_if7functorIS9_EEEE10hipError_tPvRmT1_T2_T3_mT4_P12ihipStream_tbEUlT_E0_NS1_11comp_targetILNS1_3genE8ELNS1_11target_archE1030ELNS1_3gpuE2ELNS1_3repE0EEENS1_30default_config_static_selectorELNS0_4arch9wavefront6targetE1EEEvS14_
                                        ; -- End function
	.section	.AMDGPU.csdata,"",@progbits
; Kernel info:
; codeLenInByte = 0
; NumSgprs: 4
; NumVgprs: 0
; NumAgprs: 0
; TotalNumVgprs: 0
; ScratchSize: 0
; MemoryBound: 0
; FloatMode: 240
; IeeeMode: 1
; LDSByteSize: 0 bytes/workgroup (compile time only)
; SGPRBlocks: 0
; VGPRBlocks: 0
; NumSGPRsForWavesPerEU: 4
; NumVGPRsForWavesPerEU: 1
; AccumOffset: 4
; Occupancy: 8
; WaveLimiterHint : 0
; COMPUTE_PGM_RSRC2:SCRATCH_EN: 0
; COMPUTE_PGM_RSRC2:USER_SGPR: 6
; COMPUTE_PGM_RSRC2:TRAP_HANDLER: 0
; COMPUTE_PGM_RSRC2:TGID_X_EN: 1
; COMPUTE_PGM_RSRC2:TGID_Y_EN: 0
; COMPUTE_PGM_RSRC2:TGID_Z_EN: 0
; COMPUTE_PGM_RSRC2:TIDIG_COMP_CNT: 0
; COMPUTE_PGM_RSRC3_GFX90A:ACCUM_OFFSET: 0
; COMPUTE_PGM_RSRC3_GFX90A:TG_SPLIT: 0
	.section	.text._ZN7rocprim17ROCPRIM_400000_NS6detail17trampoline_kernelINS0_14default_configENS1_22reduce_config_selectorIN6thrust23THRUST_200600_302600_NS5tupleIblNS6_9null_typeES8_S8_S8_S8_S8_S8_S8_EEEEZNS1_11reduce_implILb1ES3_NS6_12zip_iteratorINS7_INS6_11hip_rocprim26transform_input_iterator_tIbNSD_35transform_pair_of_input_iterators_tIbNS6_6detail15normal_iteratorINS6_10device_ptrIKxEEEESL_NS6_8equal_toIxEEEENSG_9not_fun_tINSD_8identityEEEEENSD_19counting_iterator_tIlEES8_S8_S8_S8_S8_S8_S8_S8_EEEEPS9_S9_NSD_9__find_if7functorIS9_EEEE10hipError_tPvRmT1_T2_T3_mT4_P12ihipStream_tbEUlT_E1_NS1_11comp_targetILNS1_3genE0ELNS1_11target_archE4294967295ELNS1_3gpuE0ELNS1_3repE0EEENS1_30default_config_static_selectorELNS0_4arch9wavefront6targetE1EEEvS14_,"axG",@progbits,_ZN7rocprim17ROCPRIM_400000_NS6detail17trampoline_kernelINS0_14default_configENS1_22reduce_config_selectorIN6thrust23THRUST_200600_302600_NS5tupleIblNS6_9null_typeES8_S8_S8_S8_S8_S8_S8_EEEEZNS1_11reduce_implILb1ES3_NS6_12zip_iteratorINS7_INS6_11hip_rocprim26transform_input_iterator_tIbNSD_35transform_pair_of_input_iterators_tIbNS6_6detail15normal_iteratorINS6_10device_ptrIKxEEEESL_NS6_8equal_toIxEEEENSG_9not_fun_tINSD_8identityEEEEENSD_19counting_iterator_tIlEES8_S8_S8_S8_S8_S8_S8_S8_EEEEPS9_S9_NSD_9__find_if7functorIS9_EEEE10hipError_tPvRmT1_T2_T3_mT4_P12ihipStream_tbEUlT_E1_NS1_11comp_targetILNS1_3genE0ELNS1_11target_archE4294967295ELNS1_3gpuE0ELNS1_3repE0EEENS1_30default_config_static_selectorELNS0_4arch9wavefront6targetE1EEEvS14_,comdat
	.protected	_ZN7rocprim17ROCPRIM_400000_NS6detail17trampoline_kernelINS0_14default_configENS1_22reduce_config_selectorIN6thrust23THRUST_200600_302600_NS5tupleIblNS6_9null_typeES8_S8_S8_S8_S8_S8_S8_EEEEZNS1_11reduce_implILb1ES3_NS6_12zip_iteratorINS7_INS6_11hip_rocprim26transform_input_iterator_tIbNSD_35transform_pair_of_input_iterators_tIbNS6_6detail15normal_iteratorINS6_10device_ptrIKxEEEESL_NS6_8equal_toIxEEEENSG_9not_fun_tINSD_8identityEEEEENSD_19counting_iterator_tIlEES8_S8_S8_S8_S8_S8_S8_S8_EEEEPS9_S9_NSD_9__find_if7functorIS9_EEEE10hipError_tPvRmT1_T2_T3_mT4_P12ihipStream_tbEUlT_E1_NS1_11comp_targetILNS1_3genE0ELNS1_11target_archE4294967295ELNS1_3gpuE0ELNS1_3repE0EEENS1_30default_config_static_selectorELNS0_4arch9wavefront6targetE1EEEvS14_ ; -- Begin function _ZN7rocprim17ROCPRIM_400000_NS6detail17trampoline_kernelINS0_14default_configENS1_22reduce_config_selectorIN6thrust23THRUST_200600_302600_NS5tupleIblNS6_9null_typeES8_S8_S8_S8_S8_S8_S8_EEEEZNS1_11reduce_implILb1ES3_NS6_12zip_iteratorINS7_INS6_11hip_rocprim26transform_input_iterator_tIbNSD_35transform_pair_of_input_iterators_tIbNS6_6detail15normal_iteratorINS6_10device_ptrIKxEEEESL_NS6_8equal_toIxEEEENSG_9not_fun_tINSD_8identityEEEEENSD_19counting_iterator_tIlEES8_S8_S8_S8_S8_S8_S8_S8_EEEEPS9_S9_NSD_9__find_if7functorIS9_EEEE10hipError_tPvRmT1_T2_T3_mT4_P12ihipStream_tbEUlT_E1_NS1_11comp_targetILNS1_3genE0ELNS1_11target_archE4294967295ELNS1_3gpuE0ELNS1_3repE0EEENS1_30default_config_static_selectorELNS0_4arch9wavefront6targetE1EEEvS14_
	.globl	_ZN7rocprim17ROCPRIM_400000_NS6detail17trampoline_kernelINS0_14default_configENS1_22reduce_config_selectorIN6thrust23THRUST_200600_302600_NS5tupleIblNS6_9null_typeES8_S8_S8_S8_S8_S8_S8_EEEEZNS1_11reduce_implILb1ES3_NS6_12zip_iteratorINS7_INS6_11hip_rocprim26transform_input_iterator_tIbNSD_35transform_pair_of_input_iterators_tIbNS6_6detail15normal_iteratorINS6_10device_ptrIKxEEEESL_NS6_8equal_toIxEEEENSG_9not_fun_tINSD_8identityEEEEENSD_19counting_iterator_tIlEES8_S8_S8_S8_S8_S8_S8_S8_EEEEPS9_S9_NSD_9__find_if7functorIS9_EEEE10hipError_tPvRmT1_T2_T3_mT4_P12ihipStream_tbEUlT_E1_NS1_11comp_targetILNS1_3genE0ELNS1_11target_archE4294967295ELNS1_3gpuE0ELNS1_3repE0EEENS1_30default_config_static_selectorELNS0_4arch9wavefront6targetE1EEEvS14_
	.p2align	8
	.type	_ZN7rocprim17ROCPRIM_400000_NS6detail17trampoline_kernelINS0_14default_configENS1_22reduce_config_selectorIN6thrust23THRUST_200600_302600_NS5tupleIblNS6_9null_typeES8_S8_S8_S8_S8_S8_S8_EEEEZNS1_11reduce_implILb1ES3_NS6_12zip_iteratorINS7_INS6_11hip_rocprim26transform_input_iterator_tIbNSD_35transform_pair_of_input_iterators_tIbNS6_6detail15normal_iteratorINS6_10device_ptrIKxEEEESL_NS6_8equal_toIxEEEENSG_9not_fun_tINSD_8identityEEEEENSD_19counting_iterator_tIlEES8_S8_S8_S8_S8_S8_S8_S8_EEEEPS9_S9_NSD_9__find_if7functorIS9_EEEE10hipError_tPvRmT1_T2_T3_mT4_P12ihipStream_tbEUlT_E1_NS1_11comp_targetILNS1_3genE0ELNS1_11target_archE4294967295ELNS1_3gpuE0ELNS1_3repE0EEENS1_30default_config_static_selectorELNS0_4arch9wavefront6targetE1EEEvS14_,@function
_ZN7rocprim17ROCPRIM_400000_NS6detail17trampoline_kernelINS0_14default_configENS1_22reduce_config_selectorIN6thrust23THRUST_200600_302600_NS5tupleIblNS6_9null_typeES8_S8_S8_S8_S8_S8_S8_EEEEZNS1_11reduce_implILb1ES3_NS6_12zip_iteratorINS7_INS6_11hip_rocprim26transform_input_iterator_tIbNSD_35transform_pair_of_input_iterators_tIbNS6_6detail15normal_iteratorINS6_10device_ptrIKxEEEESL_NS6_8equal_toIxEEEENSG_9not_fun_tINSD_8identityEEEEENSD_19counting_iterator_tIlEES8_S8_S8_S8_S8_S8_S8_S8_EEEEPS9_S9_NSD_9__find_if7functorIS9_EEEE10hipError_tPvRmT1_T2_T3_mT4_P12ihipStream_tbEUlT_E1_NS1_11comp_targetILNS1_3genE0ELNS1_11target_archE4294967295ELNS1_3gpuE0ELNS1_3repE0EEENS1_30default_config_static_selectorELNS0_4arch9wavefront6targetE1EEEvS14_: ; @_ZN7rocprim17ROCPRIM_400000_NS6detail17trampoline_kernelINS0_14default_configENS1_22reduce_config_selectorIN6thrust23THRUST_200600_302600_NS5tupleIblNS6_9null_typeES8_S8_S8_S8_S8_S8_S8_EEEEZNS1_11reduce_implILb1ES3_NS6_12zip_iteratorINS7_INS6_11hip_rocprim26transform_input_iterator_tIbNSD_35transform_pair_of_input_iterators_tIbNS6_6detail15normal_iteratorINS6_10device_ptrIKxEEEESL_NS6_8equal_toIxEEEENSG_9not_fun_tINSD_8identityEEEEENSD_19counting_iterator_tIlEES8_S8_S8_S8_S8_S8_S8_S8_EEEEPS9_S9_NSD_9__find_if7functorIS9_EEEE10hipError_tPvRmT1_T2_T3_mT4_P12ihipStream_tbEUlT_E1_NS1_11comp_targetILNS1_3genE0ELNS1_11target_archE4294967295ELNS1_3gpuE0ELNS1_3repE0EEENS1_30default_config_static_selectorELNS0_4arch9wavefront6targetE1EEEvS14_
; %bb.0:
	.section	.rodata,"a",@progbits
	.p2align	6, 0x0
	.amdhsa_kernel _ZN7rocprim17ROCPRIM_400000_NS6detail17trampoline_kernelINS0_14default_configENS1_22reduce_config_selectorIN6thrust23THRUST_200600_302600_NS5tupleIblNS6_9null_typeES8_S8_S8_S8_S8_S8_S8_EEEEZNS1_11reduce_implILb1ES3_NS6_12zip_iteratorINS7_INS6_11hip_rocprim26transform_input_iterator_tIbNSD_35transform_pair_of_input_iterators_tIbNS6_6detail15normal_iteratorINS6_10device_ptrIKxEEEESL_NS6_8equal_toIxEEEENSG_9not_fun_tINSD_8identityEEEEENSD_19counting_iterator_tIlEES8_S8_S8_S8_S8_S8_S8_S8_EEEEPS9_S9_NSD_9__find_if7functorIS9_EEEE10hipError_tPvRmT1_T2_T3_mT4_P12ihipStream_tbEUlT_E1_NS1_11comp_targetILNS1_3genE0ELNS1_11target_archE4294967295ELNS1_3gpuE0ELNS1_3repE0EEENS1_30default_config_static_selectorELNS0_4arch9wavefront6targetE1EEEvS14_
		.amdhsa_group_segment_fixed_size 0
		.amdhsa_private_segment_fixed_size 0
		.amdhsa_kernarg_size 88
		.amdhsa_user_sgpr_count 6
		.amdhsa_user_sgpr_private_segment_buffer 1
		.amdhsa_user_sgpr_dispatch_ptr 0
		.amdhsa_user_sgpr_queue_ptr 0
		.amdhsa_user_sgpr_kernarg_segment_ptr 1
		.amdhsa_user_sgpr_dispatch_id 0
		.amdhsa_user_sgpr_flat_scratch_init 0
		.amdhsa_user_sgpr_kernarg_preload_length 0
		.amdhsa_user_sgpr_kernarg_preload_offset 0
		.amdhsa_user_sgpr_private_segment_size 0
		.amdhsa_uses_dynamic_stack 0
		.amdhsa_system_sgpr_private_segment_wavefront_offset 0
		.amdhsa_system_sgpr_workgroup_id_x 1
		.amdhsa_system_sgpr_workgroup_id_y 0
		.amdhsa_system_sgpr_workgroup_id_z 0
		.amdhsa_system_sgpr_workgroup_info 0
		.amdhsa_system_vgpr_workitem_id 0
		.amdhsa_next_free_vgpr 1
		.amdhsa_next_free_sgpr 0
		.amdhsa_accum_offset 4
		.amdhsa_reserve_vcc 0
		.amdhsa_reserve_flat_scratch 0
		.amdhsa_float_round_mode_32 0
		.amdhsa_float_round_mode_16_64 0
		.amdhsa_float_denorm_mode_32 3
		.amdhsa_float_denorm_mode_16_64 3
		.amdhsa_dx10_clamp 1
		.amdhsa_ieee_mode 1
		.amdhsa_fp16_overflow 0
		.amdhsa_tg_split 0
		.amdhsa_exception_fp_ieee_invalid_op 0
		.amdhsa_exception_fp_denorm_src 0
		.amdhsa_exception_fp_ieee_div_zero 0
		.amdhsa_exception_fp_ieee_overflow 0
		.amdhsa_exception_fp_ieee_underflow 0
		.amdhsa_exception_fp_ieee_inexact 0
		.amdhsa_exception_int_div_zero 0
	.end_amdhsa_kernel
	.section	.text._ZN7rocprim17ROCPRIM_400000_NS6detail17trampoline_kernelINS0_14default_configENS1_22reduce_config_selectorIN6thrust23THRUST_200600_302600_NS5tupleIblNS6_9null_typeES8_S8_S8_S8_S8_S8_S8_EEEEZNS1_11reduce_implILb1ES3_NS6_12zip_iteratorINS7_INS6_11hip_rocprim26transform_input_iterator_tIbNSD_35transform_pair_of_input_iterators_tIbNS6_6detail15normal_iteratorINS6_10device_ptrIKxEEEESL_NS6_8equal_toIxEEEENSG_9not_fun_tINSD_8identityEEEEENSD_19counting_iterator_tIlEES8_S8_S8_S8_S8_S8_S8_S8_EEEEPS9_S9_NSD_9__find_if7functorIS9_EEEE10hipError_tPvRmT1_T2_T3_mT4_P12ihipStream_tbEUlT_E1_NS1_11comp_targetILNS1_3genE0ELNS1_11target_archE4294967295ELNS1_3gpuE0ELNS1_3repE0EEENS1_30default_config_static_selectorELNS0_4arch9wavefront6targetE1EEEvS14_,"axG",@progbits,_ZN7rocprim17ROCPRIM_400000_NS6detail17trampoline_kernelINS0_14default_configENS1_22reduce_config_selectorIN6thrust23THRUST_200600_302600_NS5tupleIblNS6_9null_typeES8_S8_S8_S8_S8_S8_S8_EEEEZNS1_11reduce_implILb1ES3_NS6_12zip_iteratorINS7_INS6_11hip_rocprim26transform_input_iterator_tIbNSD_35transform_pair_of_input_iterators_tIbNS6_6detail15normal_iteratorINS6_10device_ptrIKxEEEESL_NS6_8equal_toIxEEEENSG_9not_fun_tINSD_8identityEEEEENSD_19counting_iterator_tIlEES8_S8_S8_S8_S8_S8_S8_S8_EEEEPS9_S9_NSD_9__find_if7functorIS9_EEEE10hipError_tPvRmT1_T2_T3_mT4_P12ihipStream_tbEUlT_E1_NS1_11comp_targetILNS1_3genE0ELNS1_11target_archE4294967295ELNS1_3gpuE0ELNS1_3repE0EEENS1_30default_config_static_selectorELNS0_4arch9wavefront6targetE1EEEvS14_,comdat
.Lfunc_end234:
	.size	_ZN7rocprim17ROCPRIM_400000_NS6detail17trampoline_kernelINS0_14default_configENS1_22reduce_config_selectorIN6thrust23THRUST_200600_302600_NS5tupleIblNS6_9null_typeES8_S8_S8_S8_S8_S8_S8_EEEEZNS1_11reduce_implILb1ES3_NS6_12zip_iteratorINS7_INS6_11hip_rocprim26transform_input_iterator_tIbNSD_35transform_pair_of_input_iterators_tIbNS6_6detail15normal_iteratorINS6_10device_ptrIKxEEEESL_NS6_8equal_toIxEEEENSG_9not_fun_tINSD_8identityEEEEENSD_19counting_iterator_tIlEES8_S8_S8_S8_S8_S8_S8_S8_EEEEPS9_S9_NSD_9__find_if7functorIS9_EEEE10hipError_tPvRmT1_T2_T3_mT4_P12ihipStream_tbEUlT_E1_NS1_11comp_targetILNS1_3genE0ELNS1_11target_archE4294967295ELNS1_3gpuE0ELNS1_3repE0EEENS1_30default_config_static_selectorELNS0_4arch9wavefront6targetE1EEEvS14_, .Lfunc_end234-_ZN7rocprim17ROCPRIM_400000_NS6detail17trampoline_kernelINS0_14default_configENS1_22reduce_config_selectorIN6thrust23THRUST_200600_302600_NS5tupleIblNS6_9null_typeES8_S8_S8_S8_S8_S8_S8_EEEEZNS1_11reduce_implILb1ES3_NS6_12zip_iteratorINS7_INS6_11hip_rocprim26transform_input_iterator_tIbNSD_35transform_pair_of_input_iterators_tIbNS6_6detail15normal_iteratorINS6_10device_ptrIKxEEEESL_NS6_8equal_toIxEEEENSG_9not_fun_tINSD_8identityEEEEENSD_19counting_iterator_tIlEES8_S8_S8_S8_S8_S8_S8_S8_EEEEPS9_S9_NSD_9__find_if7functorIS9_EEEE10hipError_tPvRmT1_T2_T3_mT4_P12ihipStream_tbEUlT_E1_NS1_11comp_targetILNS1_3genE0ELNS1_11target_archE4294967295ELNS1_3gpuE0ELNS1_3repE0EEENS1_30default_config_static_selectorELNS0_4arch9wavefront6targetE1EEEvS14_
                                        ; -- End function
	.section	.AMDGPU.csdata,"",@progbits
; Kernel info:
; codeLenInByte = 0
; NumSgprs: 4
; NumVgprs: 0
; NumAgprs: 0
; TotalNumVgprs: 0
; ScratchSize: 0
; MemoryBound: 0
; FloatMode: 240
; IeeeMode: 1
; LDSByteSize: 0 bytes/workgroup (compile time only)
; SGPRBlocks: 0
; VGPRBlocks: 0
; NumSGPRsForWavesPerEU: 4
; NumVGPRsForWavesPerEU: 1
; AccumOffset: 4
; Occupancy: 8
; WaveLimiterHint : 0
; COMPUTE_PGM_RSRC2:SCRATCH_EN: 0
; COMPUTE_PGM_RSRC2:USER_SGPR: 6
; COMPUTE_PGM_RSRC2:TRAP_HANDLER: 0
; COMPUTE_PGM_RSRC2:TGID_X_EN: 1
; COMPUTE_PGM_RSRC2:TGID_Y_EN: 0
; COMPUTE_PGM_RSRC2:TGID_Z_EN: 0
; COMPUTE_PGM_RSRC2:TIDIG_COMP_CNT: 0
; COMPUTE_PGM_RSRC3_GFX90A:ACCUM_OFFSET: 0
; COMPUTE_PGM_RSRC3_GFX90A:TG_SPLIT: 0
	.section	.text._ZN7rocprim17ROCPRIM_400000_NS6detail17trampoline_kernelINS0_14default_configENS1_22reduce_config_selectorIN6thrust23THRUST_200600_302600_NS5tupleIblNS6_9null_typeES8_S8_S8_S8_S8_S8_S8_EEEEZNS1_11reduce_implILb1ES3_NS6_12zip_iteratorINS7_INS6_11hip_rocprim26transform_input_iterator_tIbNSD_35transform_pair_of_input_iterators_tIbNS6_6detail15normal_iteratorINS6_10device_ptrIKxEEEESL_NS6_8equal_toIxEEEENSG_9not_fun_tINSD_8identityEEEEENSD_19counting_iterator_tIlEES8_S8_S8_S8_S8_S8_S8_S8_EEEEPS9_S9_NSD_9__find_if7functorIS9_EEEE10hipError_tPvRmT1_T2_T3_mT4_P12ihipStream_tbEUlT_E1_NS1_11comp_targetILNS1_3genE5ELNS1_11target_archE942ELNS1_3gpuE9ELNS1_3repE0EEENS1_30default_config_static_selectorELNS0_4arch9wavefront6targetE1EEEvS14_,"axG",@progbits,_ZN7rocprim17ROCPRIM_400000_NS6detail17trampoline_kernelINS0_14default_configENS1_22reduce_config_selectorIN6thrust23THRUST_200600_302600_NS5tupleIblNS6_9null_typeES8_S8_S8_S8_S8_S8_S8_EEEEZNS1_11reduce_implILb1ES3_NS6_12zip_iteratorINS7_INS6_11hip_rocprim26transform_input_iterator_tIbNSD_35transform_pair_of_input_iterators_tIbNS6_6detail15normal_iteratorINS6_10device_ptrIKxEEEESL_NS6_8equal_toIxEEEENSG_9not_fun_tINSD_8identityEEEEENSD_19counting_iterator_tIlEES8_S8_S8_S8_S8_S8_S8_S8_EEEEPS9_S9_NSD_9__find_if7functorIS9_EEEE10hipError_tPvRmT1_T2_T3_mT4_P12ihipStream_tbEUlT_E1_NS1_11comp_targetILNS1_3genE5ELNS1_11target_archE942ELNS1_3gpuE9ELNS1_3repE0EEENS1_30default_config_static_selectorELNS0_4arch9wavefront6targetE1EEEvS14_,comdat
	.protected	_ZN7rocprim17ROCPRIM_400000_NS6detail17trampoline_kernelINS0_14default_configENS1_22reduce_config_selectorIN6thrust23THRUST_200600_302600_NS5tupleIblNS6_9null_typeES8_S8_S8_S8_S8_S8_S8_EEEEZNS1_11reduce_implILb1ES3_NS6_12zip_iteratorINS7_INS6_11hip_rocprim26transform_input_iterator_tIbNSD_35transform_pair_of_input_iterators_tIbNS6_6detail15normal_iteratorINS6_10device_ptrIKxEEEESL_NS6_8equal_toIxEEEENSG_9not_fun_tINSD_8identityEEEEENSD_19counting_iterator_tIlEES8_S8_S8_S8_S8_S8_S8_S8_EEEEPS9_S9_NSD_9__find_if7functorIS9_EEEE10hipError_tPvRmT1_T2_T3_mT4_P12ihipStream_tbEUlT_E1_NS1_11comp_targetILNS1_3genE5ELNS1_11target_archE942ELNS1_3gpuE9ELNS1_3repE0EEENS1_30default_config_static_selectorELNS0_4arch9wavefront6targetE1EEEvS14_ ; -- Begin function _ZN7rocprim17ROCPRIM_400000_NS6detail17trampoline_kernelINS0_14default_configENS1_22reduce_config_selectorIN6thrust23THRUST_200600_302600_NS5tupleIblNS6_9null_typeES8_S8_S8_S8_S8_S8_S8_EEEEZNS1_11reduce_implILb1ES3_NS6_12zip_iteratorINS7_INS6_11hip_rocprim26transform_input_iterator_tIbNSD_35transform_pair_of_input_iterators_tIbNS6_6detail15normal_iteratorINS6_10device_ptrIKxEEEESL_NS6_8equal_toIxEEEENSG_9not_fun_tINSD_8identityEEEEENSD_19counting_iterator_tIlEES8_S8_S8_S8_S8_S8_S8_S8_EEEEPS9_S9_NSD_9__find_if7functorIS9_EEEE10hipError_tPvRmT1_T2_T3_mT4_P12ihipStream_tbEUlT_E1_NS1_11comp_targetILNS1_3genE5ELNS1_11target_archE942ELNS1_3gpuE9ELNS1_3repE0EEENS1_30default_config_static_selectorELNS0_4arch9wavefront6targetE1EEEvS14_
	.globl	_ZN7rocprim17ROCPRIM_400000_NS6detail17trampoline_kernelINS0_14default_configENS1_22reduce_config_selectorIN6thrust23THRUST_200600_302600_NS5tupleIblNS6_9null_typeES8_S8_S8_S8_S8_S8_S8_EEEEZNS1_11reduce_implILb1ES3_NS6_12zip_iteratorINS7_INS6_11hip_rocprim26transform_input_iterator_tIbNSD_35transform_pair_of_input_iterators_tIbNS6_6detail15normal_iteratorINS6_10device_ptrIKxEEEESL_NS6_8equal_toIxEEEENSG_9not_fun_tINSD_8identityEEEEENSD_19counting_iterator_tIlEES8_S8_S8_S8_S8_S8_S8_S8_EEEEPS9_S9_NSD_9__find_if7functorIS9_EEEE10hipError_tPvRmT1_T2_T3_mT4_P12ihipStream_tbEUlT_E1_NS1_11comp_targetILNS1_3genE5ELNS1_11target_archE942ELNS1_3gpuE9ELNS1_3repE0EEENS1_30default_config_static_selectorELNS0_4arch9wavefront6targetE1EEEvS14_
	.p2align	8
	.type	_ZN7rocprim17ROCPRIM_400000_NS6detail17trampoline_kernelINS0_14default_configENS1_22reduce_config_selectorIN6thrust23THRUST_200600_302600_NS5tupleIblNS6_9null_typeES8_S8_S8_S8_S8_S8_S8_EEEEZNS1_11reduce_implILb1ES3_NS6_12zip_iteratorINS7_INS6_11hip_rocprim26transform_input_iterator_tIbNSD_35transform_pair_of_input_iterators_tIbNS6_6detail15normal_iteratorINS6_10device_ptrIKxEEEESL_NS6_8equal_toIxEEEENSG_9not_fun_tINSD_8identityEEEEENSD_19counting_iterator_tIlEES8_S8_S8_S8_S8_S8_S8_S8_EEEEPS9_S9_NSD_9__find_if7functorIS9_EEEE10hipError_tPvRmT1_T2_T3_mT4_P12ihipStream_tbEUlT_E1_NS1_11comp_targetILNS1_3genE5ELNS1_11target_archE942ELNS1_3gpuE9ELNS1_3repE0EEENS1_30default_config_static_selectorELNS0_4arch9wavefront6targetE1EEEvS14_,@function
_ZN7rocprim17ROCPRIM_400000_NS6detail17trampoline_kernelINS0_14default_configENS1_22reduce_config_selectorIN6thrust23THRUST_200600_302600_NS5tupleIblNS6_9null_typeES8_S8_S8_S8_S8_S8_S8_EEEEZNS1_11reduce_implILb1ES3_NS6_12zip_iteratorINS7_INS6_11hip_rocprim26transform_input_iterator_tIbNSD_35transform_pair_of_input_iterators_tIbNS6_6detail15normal_iteratorINS6_10device_ptrIKxEEEESL_NS6_8equal_toIxEEEENSG_9not_fun_tINSD_8identityEEEEENSD_19counting_iterator_tIlEES8_S8_S8_S8_S8_S8_S8_S8_EEEEPS9_S9_NSD_9__find_if7functorIS9_EEEE10hipError_tPvRmT1_T2_T3_mT4_P12ihipStream_tbEUlT_E1_NS1_11comp_targetILNS1_3genE5ELNS1_11target_archE942ELNS1_3gpuE9ELNS1_3repE0EEENS1_30default_config_static_selectorELNS0_4arch9wavefront6targetE1EEEvS14_: ; @_ZN7rocprim17ROCPRIM_400000_NS6detail17trampoline_kernelINS0_14default_configENS1_22reduce_config_selectorIN6thrust23THRUST_200600_302600_NS5tupleIblNS6_9null_typeES8_S8_S8_S8_S8_S8_S8_EEEEZNS1_11reduce_implILb1ES3_NS6_12zip_iteratorINS7_INS6_11hip_rocprim26transform_input_iterator_tIbNSD_35transform_pair_of_input_iterators_tIbNS6_6detail15normal_iteratorINS6_10device_ptrIKxEEEESL_NS6_8equal_toIxEEEENSG_9not_fun_tINSD_8identityEEEEENSD_19counting_iterator_tIlEES8_S8_S8_S8_S8_S8_S8_S8_EEEEPS9_S9_NSD_9__find_if7functorIS9_EEEE10hipError_tPvRmT1_T2_T3_mT4_P12ihipStream_tbEUlT_E1_NS1_11comp_targetILNS1_3genE5ELNS1_11target_archE942ELNS1_3gpuE9ELNS1_3repE0EEENS1_30default_config_static_selectorELNS0_4arch9wavefront6targetE1EEEvS14_
; %bb.0:
	.section	.rodata,"a",@progbits
	.p2align	6, 0x0
	.amdhsa_kernel _ZN7rocprim17ROCPRIM_400000_NS6detail17trampoline_kernelINS0_14default_configENS1_22reduce_config_selectorIN6thrust23THRUST_200600_302600_NS5tupleIblNS6_9null_typeES8_S8_S8_S8_S8_S8_S8_EEEEZNS1_11reduce_implILb1ES3_NS6_12zip_iteratorINS7_INS6_11hip_rocprim26transform_input_iterator_tIbNSD_35transform_pair_of_input_iterators_tIbNS6_6detail15normal_iteratorINS6_10device_ptrIKxEEEESL_NS6_8equal_toIxEEEENSG_9not_fun_tINSD_8identityEEEEENSD_19counting_iterator_tIlEES8_S8_S8_S8_S8_S8_S8_S8_EEEEPS9_S9_NSD_9__find_if7functorIS9_EEEE10hipError_tPvRmT1_T2_T3_mT4_P12ihipStream_tbEUlT_E1_NS1_11comp_targetILNS1_3genE5ELNS1_11target_archE942ELNS1_3gpuE9ELNS1_3repE0EEENS1_30default_config_static_selectorELNS0_4arch9wavefront6targetE1EEEvS14_
		.amdhsa_group_segment_fixed_size 0
		.amdhsa_private_segment_fixed_size 0
		.amdhsa_kernarg_size 88
		.amdhsa_user_sgpr_count 6
		.amdhsa_user_sgpr_private_segment_buffer 1
		.amdhsa_user_sgpr_dispatch_ptr 0
		.amdhsa_user_sgpr_queue_ptr 0
		.amdhsa_user_sgpr_kernarg_segment_ptr 1
		.amdhsa_user_sgpr_dispatch_id 0
		.amdhsa_user_sgpr_flat_scratch_init 0
		.amdhsa_user_sgpr_kernarg_preload_length 0
		.amdhsa_user_sgpr_kernarg_preload_offset 0
		.amdhsa_user_sgpr_private_segment_size 0
		.amdhsa_uses_dynamic_stack 0
		.amdhsa_system_sgpr_private_segment_wavefront_offset 0
		.amdhsa_system_sgpr_workgroup_id_x 1
		.amdhsa_system_sgpr_workgroup_id_y 0
		.amdhsa_system_sgpr_workgroup_id_z 0
		.amdhsa_system_sgpr_workgroup_info 0
		.amdhsa_system_vgpr_workitem_id 0
		.amdhsa_next_free_vgpr 1
		.amdhsa_next_free_sgpr 0
		.amdhsa_accum_offset 4
		.amdhsa_reserve_vcc 0
		.amdhsa_reserve_flat_scratch 0
		.amdhsa_float_round_mode_32 0
		.amdhsa_float_round_mode_16_64 0
		.amdhsa_float_denorm_mode_32 3
		.amdhsa_float_denorm_mode_16_64 3
		.amdhsa_dx10_clamp 1
		.amdhsa_ieee_mode 1
		.amdhsa_fp16_overflow 0
		.amdhsa_tg_split 0
		.amdhsa_exception_fp_ieee_invalid_op 0
		.amdhsa_exception_fp_denorm_src 0
		.amdhsa_exception_fp_ieee_div_zero 0
		.amdhsa_exception_fp_ieee_overflow 0
		.amdhsa_exception_fp_ieee_underflow 0
		.amdhsa_exception_fp_ieee_inexact 0
		.amdhsa_exception_int_div_zero 0
	.end_amdhsa_kernel
	.section	.text._ZN7rocprim17ROCPRIM_400000_NS6detail17trampoline_kernelINS0_14default_configENS1_22reduce_config_selectorIN6thrust23THRUST_200600_302600_NS5tupleIblNS6_9null_typeES8_S8_S8_S8_S8_S8_S8_EEEEZNS1_11reduce_implILb1ES3_NS6_12zip_iteratorINS7_INS6_11hip_rocprim26transform_input_iterator_tIbNSD_35transform_pair_of_input_iterators_tIbNS6_6detail15normal_iteratorINS6_10device_ptrIKxEEEESL_NS6_8equal_toIxEEEENSG_9not_fun_tINSD_8identityEEEEENSD_19counting_iterator_tIlEES8_S8_S8_S8_S8_S8_S8_S8_EEEEPS9_S9_NSD_9__find_if7functorIS9_EEEE10hipError_tPvRmT1_T2_T3_mT4_P12ihipStream_tbEUlT_E1_NS1_11comp_targetILNS1_3genE5ELNS1_11target_archE942ELNS1_3gpuE9ELNS1_3repE0EEENS1_30default_config_static_selectorELNS0_4arch9wavefront6targetE1EEEvS14_,"axG",@progbits,_ZN7rocprim17ROCPRIM_400000_NS6detail17trampoline_kernelINS0_14default_configENS1_22reduce_config_selectorIN6thrust23THRUST_200600_302600_NS5tupleIblNS6_9null_typeES8_S8_S8_S8_S8_S8_S8_EEEEZNS1_11reduce_implILb1ES3_NS6_12zip_iteratorINS7_INS6_11hip_rocprim26transform_input_iterator_tIbNSD_35transform_pair_of_input_iterators_tIbNS6_6detail15normal_iteratorINS6_10device_ptrIKxEEEESL_NS6_8equal_toIxEEEENSG_9not_fun_tINSD_8identityEEEEENSD_19counting_iterator_tIlEES8_S8_S8_S8_S8_S8_S8_S8_EEEEPS9_S9_NSD_9__find_if7functorIS9_EEEE10hipError_tPvRmT1_T2_T3_mT4_P12ihipStream_tbEUlT_E1_NS1_11comp_targetILNS1_3genE5ELNS1_11target_archE942ELNS1_3gpuE9ELNS1_3repE0EEENS1_30default_config_static_selectorELNS0_4arch9wavefront6targetE1EEEvS14_,comdat
.Lfunc_end235:
	.size	_ZN7rocprim17ROCPRIM_400000_NS6detail17trampoline_kernelINS0_14default_configENS1_22reduce_config_selectorIN6thrust23THRUST_200600_302600_NS5tupleIblNS6_9null_typeES8_S8_S8_S8_S8_S8_S8_EEEEZNS1_11reduce_implILb1ES3_NS6_12zip_iteratorINS7_INS6_11hip_rocprim26transform_input_iterator_tIbNSD_35transform_pair_of_input_iterators_tIbNS6_6detail15normal_iteratorINS6_10device_ptrIKxEEEESL_NS6_8equal_toIxEEEENSG_9not_fun_tINSD_8identityEEEEENSD_19counting_iterator_tIlEES8_S8_S8_S8_S8_S8_S8_S8_EEEEPS9_S9_NSD_9__find_if7functorIS9_EEEE10hipError_tPvRmT1_T2_T3_mT4_P12ihipStream_tbEUlT_E1_NS1_11comp_targetILNS1_3genE5ELNS1_11target_archE942ELNS1_3gpuE9ELNS1_3repE0EEENS1_30default_config_static_selectorELNS0_4arch9wavefront6targetE1EEEvS14_, .Lfunc_end235-_ZN7rocprim17ROCPRIM_400000_NS6detail17trampoline_kernelINS0_14default_configENS1_22reduce_config_selectorIN6thrust23THRUST_200600_302600_NS5tupleIblNS6_9null_typeES8_S8_S8_S8_S8_S8_S8_EEEEZNS1_11reduce_implILb1ES3_NS6_12zip_iteratorINS7_INS6_11hip_rocprim26transform_input_iterator_tIbNSD_35transform_pair_of_input_iterators_tIbNS6_6detail15normal_iteratorINS6_10device_ptrIKxEEEESL_NS6_8equal_toIxEEEENSG_9not_fun_tINSD_8identityEEEEENSD_19counting_iterator_tIlEES8_S8_S8_S8_S8_S8_S8_S8_EEEEPS9_S9_NSD_9__find_if7functorIS9_EEEE10hipError_tPvRmT1_T2_T3_mT4_P12ihipStream_tbEUlT_E1_NS1_11comp_targetILNS1_3genE5ELNS1_11target_archE942ELNS1_3gpuE9ELNS1_3repE0EEENS1_30default_config_static_selectorELNS0_4arch9wavefront6targetE1EEEvS14_
                                        ; -- End function
	.section	.AMDGPU.csdata,"",@progbits
; Kernel info:
; codeLenInByte = 0
; NumSgprs: 4
; NumVgprs: 0
; NumAgprs: 0
; TotalNumVgprs: 0
; ScratchSize: 0
; MemoryBound: 0
; FloatMode: 240
; IeeeMode: 1
; LDSByteSize: 0 bytes/workgroup (compile time only)
; SGPRBlocks: 0
; VGPRBlocks: 0
; NumSGPRsForWavesPerEU: 4
; NumVGPRsForWavesPerEU: 1
; AccumOffset: 4
; Occupancy: 8
; WaveLimiterHint : 0
; COMPUTE_PGM_RSRC2:SCRATCH_EN: 0
; COMPUTE_PGM_RSRC2:USER_SGPR: 6
; COMPUTE_PGM_RSRC2:TRAP_HANDLER: 0
; COMPUTE_PGM_RSRC2:TGID_X_EN: 1
; COMPUTE_PGM_RSRC2:TGID_Y_EN: 0
; COMPUTE_PGM_RSRC2:TGID_Z_EN: 0
; COMPUTE_PGM_RSRC2:TIDIG_COMP_CNT: 0
; COMPUTE_PGM_RSRC3_GFX90A:ACCUM_OFFSET: 0
; COMPUTE_PGM_RSRC3_GFX90A:TG_SPLIT: 0
	.section	.text._ZN7rocprim17ROCPRIM_400000_NS6detail17trampoline_kernelINS0_14default_configENS1_22reduce_config_selectorIN6thrust23THRUST_200600_302600_NS5tupleIblNS6_9null_typeES8_S8_S8_S8_S8_S8_S8_EEEEZNS1_11reduce_implILb1ES3_NS6_12zip_iteratorINS7_INS6_11hip_rocprim26transform_input_iterator_tIbNSD_35transform_pair_of_input_iterators_tIbNS6_6detail15normal_iteratorINS6_10device_ptrIKxEEEESL_NS6_8equal_toIxEEEENSG_9not_fun_tINSD_8identityEEEEENSD_19counting_iterator_tIlEES8_S8_S8_S8_S8_S8_S8_S8_EEEEPS9_S9_NSD_9__find_if7functorIS9_EEEE10hipError_tPvRmT1_T2_T3_mT4_P12ihipStream_tbEUlT_E1_NS1_11comp_targetILNS1_3genE4ELNS1_11target_archE910ELNS1_3gpuE8ELNS1_3repE0EEENS1_30default_config_static_selectorELNS0_4arch9wavefront6targetE1EEEvS14_,"axG",@progbits,_ZN7rocprim17ROCPRIM_400000_NS6detail17trampoline_kernelINS0_14default_configENS1_22reduce_config_selectorIN6thrust23THRUST_200600_302600_NS5tupleIblNS6_9null_typeES8_S8_S8_S8_S8_S8_S8_EEEEZNS1_11reduce_implILb1ES3_NS6_12zip_iteratorINS7_INS6_11hip_rocprim26transform_input_iterator_tIbNSD_35transform_pair_of_input_iterators_tIbNS6_6detail15normal_iteratorINS6_10device_ptrIKxEEEESL_NS6_8equal_toIxEEEENSG_9not_fun_tINSD_8identityEEEEENSD_19counting_iterator_tIlEES8_S8_S8_S8_S8_S8_S8_S8_EEEEPS9_S9_NSD_9__find_if7functorIS9_EEEE10hipError_tPvRmT1_T2_T3_mT4_P12ihipStream_tbEUlT_E1_NS1_11comp_targetILNS1_3genE4ELNS1_11target_archE910ELNS1_3gpuE8ELNS1_3repE0EEENS1_30default_config_static_selectorELNS0_4arch9wavefront6targetE1EEEvS14_,comdat
	.protected	_ZN7rocprim17ROCPRIM_400000_NS6detail17trampoline_kernelINS0_14default_configENS1_22reduce_config_selectorIN6thrust23THRUST_200600_302600_NS5tupleIblNS6_9null_typeES8_S8_S8_S8_S8_S8_S8_EEEEZNS1_11reduce_implILb1ES3_NS6_12zip_iteratorINS7_INS6_11hip_rocprim26transform_input_iterator_tIbNSD_35transform_pair_of_input_iterators_tIbNS6_6detail15normal_iteratorINS6_10device_ptrIKxEEEESL_NS6_8equal_toIxEEEENSG_9not_fun_tINSD_8identityEEEEENSD_19counting_iterator_tIlEES8_S8_S8_S8_S8_S8_S8_S8_EEEEPS9_S9_NSD_9__find_if7functorIS9_EEEE10hipError_tPvRmT1_T2_T3_mT4_P12ihipStream_tbEUlT_E1_NS1_11comp_targetILNS1_3genE4ELNS1_11target_archE910ELNS1_3gpuE8ELNS1_3repE0EEENS1_30default_config_static_selectorELNS0_4arch9wavefront6targetE1EEEvS14_ ; -- Begin function _ZN7rocprim17ROCPRIM_400000_NS6detail17trampoline_kernelINS0_14default_configENS1_22reduce_config_selectorIN6thrust23THRUST_200600_302600_NS5tupleIblNS6_9null_typeES8_S8_S8_S8_S8_S8_S8_EEEEZNS1_11reduce_implILb1ES3_NS6_12zip_iteratorINS7_INS6_11hip_rocprim26transform_input_iterator_tIbNSD_35transform_pair_of_input_iterators_tIbNS6_6detail15normal_iteratorINS6_10device_ptrIKxEEEESL_NS6_8equal_toIxEEEENSG_9not_fun_tINSD_8identityEEEEENSD_19counting_iterator_tIlEES8_S8_S8_S8_S8_S8_S8_S8_EEEEPS9_S9_NSD_9__find_if7functorIS9_EEEE10hipError_tPvRmT1_T2_T3_mT4_P12ihipStream_tbEUlT_E1_NS1_11comp_targetILNS1_3genE4ELNS1_11target_archE910ELNS1_3gpuE8ELNS1_3repE0EEENS1_30default_config_static_selectorELNS0_4arch9wavefront6targetE1EEEvS14_
	.globl	_ZN7rocprim17ROCPRIM_400000_NS6detail17trampoline_kernelINS0_14default_configENS1_22reduce_config_selectorIN6thrust23THRUST_200600_302600_NS5tupleIblNS6_9null_typeES8_S8_S8_S8_S8_S8_S8_EEEEZNS1_11reduce_implILb1ES3_NS6_12zip_iteratorINS7_INS6_11hip_rocprim26transform_input_iterator_tIbNSD_35transform_pair_of_input_iterators_tIbNS6_6detail15normal_iteratorINS6_10device_ptrIKxEEEESL_NS6_8equal_toIxEEEENSG_9not_fun_tINSD_8identityEEEEENSD_19counting_iterator_tIlEES8_S8_S8_S8_S8_S8_S8_S8_EEEEPS9_S9_NSD_9__find_if7functorIS9_EEEE10hipError_tPvRmT1_T2_T3_mT4_P12ihipStream_tbEUlT_E1_NS1_11comp_targetILNS1_3genE4ELNS1_11target_archE910ELNS1_3gpuE8ELNS1_3repE0EEENS1_30default_config_static_selectorELNS0_4arch9wavefront6targetE1EEEvS14_
	.p2align	8
	.type	_ZN7rocprim17ROCPRIM_400000_NS6detail17trampoline_kernelINS0_14default_configENS1_22reduce_config_selectorIN6thrust23THRUST_200600_302600_NS5tupleIblNS6_9null_typeES8_S8_S8_S8_S8_S8_S8_EEEEZNS1_11reduce_implILb1ES3_NS6_12zip_iteratorINS7_INS6_11hip_rocprim26transform_input_iterator_tIbNSD_35transform_pair_of_input_iterators_tIbNS6_6detail15normal_iteratorINS6_10device_ptrIKxEEEESL_NS6_8equal_toIxEEEENSG_9not_fun_tINSD_8identityEEEEENSD_19counting_iterator_tIlEES8_S8_S8_S8_S8_S8_S8_S8_EEEEPS9_S9_NSD_9__find_if7functorIS9_EEEE10hipError_tPvRmT1_T2_T3_mT4_P12ihipStream_tbEUlT_E1_NS1_11comp_targetILNS1_3genE4ELNS1_11target_archE910ELNS1_3gpuE8ELNS1_3repE0EEENS1_30default_config_static_selectorELNS0_4arch9wavefront6targetE1EEEvS14_,@function
_ZN7rocprim17ROCPRIM_400000_NS6detail17trampoline_kernelINS0_14default_configENS1_22reduce_config_selectorIN6thrust23THRUST_200600_302600_NS5tupleIblNS6_9null_typeES8_S8_S8_S8_S8_S8_S8_EEEEZNS1_11reduce_implILb1ES3_NS6_12zip_iteratorINS7_INS6_11hip_rocprim26transform_input_iterator_tIbNSD_35transform_pair_of_input_iterators_tIbNS6_6detail15normal_iteratorINS6_10device_ptrIKxEEEESL_NS6_8equal_toIxEEEENSG_9not_fun_tINSD_8identityEEEEENSD_19counting_iterator_tIlEES8_S8_S8_S8_S8_S8_S8_S8_EEEEPS9_S9_NSD_9__find_if7functorIS9_EEEE10hipError_tPvRmT1_T2_T3_mT4_P12ihipStream_tbEUlT_E1_NS1_11comp_targetILNS1_3genE4ELNS1_11target_archE910ELNS1_3gpuE8ELNS1_3repE0EEENS1_30default_config_static_selectorELNS0_4arch9wavefront6targetE1EEEvS14_: ; @_ZN7rocprim17ROCPRIM_400000_NS6detail17trampoline_kernelINS0_14default_configENS1_22reduce_config_selectorIN6thrust23THRUST_200600_302600_NS5tupleIblNS6_9null_typeES8_S8_S8_S8_S8_S8_S8_EEEEZNS1_11reduce_implILb1ES3_NS6_12zip_iteratorINS7_INS6_11hip_rocprim26transform_input_iterator_tIbNSD_35transform_pair_of_input_iterators_tIbNS6_6detail15normal_iteratorINS6_10device_ptrIKxEEEESL_NS6_8equal_toIxEEEENSG_9not_fun_tINSD_8identityEEEEENSD_19counting_iterator_tIlEES8_S8_S8_S8_S8_S8_S8_S8_EEEEPS9_S9_NSD_9__find_if7functorIS9_EEEE10hipError_tPvRmT1_T2_T3_mT4_P12ihipStream_tbEUlT_E1_NS1_11comp_targetILNS1_3genE4ELNS1_11target_archE910ELNS1_3gpuE8ELNS1_3repE0EEENS1_30default_config_static_selectorELNS0_4arch9wavefront6targetE1EEEvS14_
; %bb.0:
	s_load_dword s36, s[4:5], 0x4
	s_load_dwordx4 s[24:27], s[4:5], 0x8
	s_load_dwordx4 s[20:23], s[4:5], 0x28
	s_load_dword s33, s[4:5], 0x40
	s_load_dwordx2 s[18:19], s[4:5], 0x48
	s_waitcnt lgkmcnt(0)
	s_cmp_lt_i32 s36, 4
	s_cbranch_scc1 .LBB236_21
; %bb.1:
	s_cmp_gt_i32 s36, 7
	s_cbranch_scc0 .LBB236_22
; %bb.2:
	s_cmp_eq_u32 s36, 8
	s_mov_b64 s[28:29], 0
	s_cbranch_scc0 .LBB236_23
; %bb.3:
	s_mov_b32 s7, 0
	s_lshl_b32 s14, s6, 11
	s_mov_b32 s15, s7
	s_lshr_b64 s[0:1], s[22:23], 11
	s_lshl_b64 s[2:3], s[14:15], 3
	s_add_u32 s16, s24, s2
	s_addc_u32 s17, s25, s3
	s_add_u32 s30, s26, s2
	s_addc_u32 s31, s27, s3
	;; [unrolled: 2-line block ×3, first 2 shown]
	s_cmp_lg_u64 s[0:1], s[6:7]
	s_cbranch_scc0 .LBB236_44
; %bb.4:
	v_lshlrev_b32_e32 v1, 3, v0
	v_mov_b32_e32 v2, s17
	v_add_co_u32_e32 v28, vcc, s16, v1
	v_addc_co_u32_e32 v29, vcc, 0, v2, vcc
	v_mov_b32_e32 v2, s31
	v_add_co_u32_e32 v30, vcc, s30, v1
	v_addc_co_u32_e32 v31, vcc, 0, v2, vcc
	s_movk_i32 s0, 0x1000
	v_add_co_u32_e32 v10, vcc, s0, v28
	v_addc_co_u32_e32 v11, vcc, 0, v29, vcc
	s_movk_i32 s1, 0x2000
	v_add_co_u32_e32 v12, vcc, s1, v28
	v_addc_co_u32_e32 v13, vcc, 0, v29, vcc
	v_add_co_u32_e32 v14, vcc, s0, v30
	v_addc_co_u32_e32 v15, vcc, 0, v31, vcc
	v_add_co_u32_e32 v16, vcc, s1, v30
	global_load_dwordx2 v[2:3], v1, s[16:17]
	global_load_dwordx2 v[4:5], v1, s[30:31] offset:2048
	global_load_dwordx2 v[6:7], v1, s[30:31]
	global_load_dwordx2 v[8:9], v1, s[16:17] offset:2048
	v_addc_co_u32_e32 v17, vcc, 0, v31, vcc
	s_movk_i32 s0, 0x3000
	global_load_dwordx2 v[18:19], v[10:11], off offset:2048
	global_load_dwordx2 v[20:21], v[12:13], off offset:-4096
	global_load_dwordx2 v[22:23], v[12:13], off
	global_load_dwordx2 v[24:25], v[16:17], off offset:-4096
	global_load_dwordx2 v[26:27], v[16:17], off
	v_add_co_u32_e32 v10, vcc, s0, v28
	v_addc_co_u32_e32 v11, vcc, 0, v29, vcc
	v_add_co_u32_e32 v28, vcc, s0, v30
	v_addc_co_u32_e32 v29, vcc, 0, v31, vcc
	global_load_dwordx2 v[30:31], v[10:11], off
	global_load_dwordx2 v[32:33], v[10:11], off offset:2048
	global_load_dwordx2 v[34:35], v[28:29], off
	global_load_dwordx2 v[36:37], v[28:29], off offset:2048
	global_load_dwordx2 v[38:39], v[14:15], off offset:2048
	global_load_dwordx2 v[40:41], v[12:13], off offset:2048
	global_load_dwordx2 v[42:43], v[16:17], off offset:2048
	v_mov_b32_e32 v1, s38
	v_add_co_u32_e32 v17, vcc, s37, v0
	v_addc_co_u32_e32 v1, vcc, 0, v1, vcc
	v_mov_b32_e32 v10, 0x200
	v_mov_b32_e32 v11, 0x100
	;; [unrolled: 1-line block ×7, first 2 shown]
	s_waitcnt vmcnt(13)
	v_cmp_ne_u64_e64 s[0:1], v[2:3], v[6:7]
	s_waitcnt vmcnt(12)
	v_cmp_ne_u64_e32 vcc, v[8:9], v[4:5]
	v_cndmask_b32_e32 v4, v10, v11, vcc
	s_or_b64 s[34:35], s[0:1], vcc
	s_waitcnt vmcnt(8)
	v_cmp_ne_u64_e32 vcc, v[20:21], v[24:25]
	s_or_b64 vcc, s[34:35], vcc
	v_cndmask_b32_e64 v2, v4, 0, s[0:1]
	s_waitcnt vmcnt(7)
	v_cmp_ne_u64_e64 s[0:1], v[22:23], v[26:27]
	s_waitcnt vmcnt(4)
	v_cmp_ne_u64_e64 s[2:3], v[30:31], v[34:35]
	;; [unrolled: 2-line block ×4, first 2 shown]
	v_cndmask_b32_e64 v3, v12, v13, s[10:11]
	s_or_b64 s[10:11], vcc, s[10:11]
	s_waitcnt vmcnt(0)
	v_cmp_ne_u64_e64 s[12:13], v[40:41], v[42:43]
	v_cndmask_b32_e32 v2, v3, v2, vcc
	s_or_b64 vcc, s[10:11], s[0:1]
	v_cndmask_b32_e64 v4, v14, v15, s[12:13]
	s_or_b64 s[0:1], vcc, s[12:13]
	v_cndmask_b32_e32 v2, v4, v2, vcc
	s_or_b64 vcc, s[0:1], s[2:3]
	v_cndmask_b32_e32 v2, v16, v2, vcc
	v_add_co_u32_e64 v2, s[0:1], v17, v2
	v_addc_co_u32_e64 v3, s[0:1], 0, v1, s[0:1]
	s_or_b64 s[0:1], vcc, s[8:9]
	v_cndmask_b32_e64 v1, 0, 1, s[0:1]
	v_mov_b32_dpp v4, v2 quad_perm:[1,0,3,2] row_mask:0xf bank_mask:0xf bound_ctrl:1
	v_mov_b32_dpp v5, v3 quad_perm:[1,0,3,2] row_mask:0xf bank_mask:0xf bound_ctrl:1
	;; [unrolled: 1-line block ×3, first 2 shown]
	v_and_b32_e32 v7, 1, v6
	v_cmp_eq_u32_e32 vcc, 1, v7
	s_and_saveexec_b64 s[2:3], vcc
; %bb.5:
	v_cmp_lt_i64_e32 vcc, v[2:3], v[4:5]
	v_cndmask_b32_e64 v6, v6, 1, s[0:1]
	s_and_b64 vcc, s[0:1], vcc
	v_cndmask_b32_e32 v2, v4, v2, vcc
	v_and_b32_e32 v4, 1, v6
	v_cndmask_b32_e32 v3, v5, v3, vcc
	v_cmp_eq_u32_e32 vcc, 1, v4
	s_andn2_b64 s[0:1], s[0:1], exec
	s_and_b64 s[8:9], vcc, exec
	v_and_b32_e32 v1, 0xff, v6
	s_or_b64 s[0:1], s[0:1], s[8:9]
; %bb.6:
	s_or_b64 exec, exec, s[2:3]
	v_mov_b32_dpp v6, v1 quad_perm:[2,3,0,1] row_mask:0xf bank_mask:0xf bound_ctrl:1
	v_and_b32_e32 v7, 1, v6
	v_mov_b32_dpp v4, v2 quad_perm:[2,3,0,1] row_mask:0xf bank_mask:0xf bound_ctrl:1
	v_mov_b32_dpp v5, v3 quad_perm:[2,3,0,1] row_mask:0xf bank_mask:0xf bound_ctrl:1
	v_cmp_eq_u32_e32 vcc, 1, v7
	s_and_saveexec_b64 s[2:3], vcc
; %bb.7:
	v_cmp_lt_i64_e32 vcc, v[2:3], v[4:5]
	v_cndmask_b32_e64 v6, v6, 1, s[0:1]
	s_and_b64 vcc, s[0:1], vcc
	v_cndmask_b32_e32 v2, v4, v2, vcc
	v_and_b32_e32 v4, 1, v6
	v_cndmask_b32_e32 v3, v5, v3, vcc
	v_cmp_eq_u32_e32 vcc, 1, v4
	s_andn2_b64 s[0:1], s[0:1], exec
	s_and_b64 s[8:9], vcc, exec
	v_and_b32_e32 v1, 0xff, v6
	s_or_b64 s[0:1], s[0:1], s[8:9]
; %bb.8:
	s_or_b64 exec, exec, s[2:3]
	v_mov_b32_dpp v6, v1 row_ror:4 row_mask:0xf bank_mask:0xf bound_ctrl:1
	v_and_b32_e32 v7, 1, v6
	v_mov_b32_dpp v4, v2 row_ror:4 row_mask:0xf bank_mask:0xf bound_ctrl:1
	v_mov_b32_dpp v5, v3 row_ror:4 row_mask:0xf bank_mask:0xf bound_ctrl:1
	v_cmp_eq_u32_e32 vcc, 1, v7
	s_and_saveexec_b64 s[2:3], vcc
; %bb.9:
	v_cmp_lt_i64_e32 vcc, v[2:3], v[4:5]
	v_cndmask_b32_e64 v6, v6, 1, s[0:1]
	s_and_b64 vcc, s[0:1], vcc
	v_cndmask_b32_e32 v2, v4, v2, vcc
	v_and_b32_e32 v4, 1, v6
	v_cndmask_b32_e32 v3, v5, v3, vcc
	v_cmp_eq_u32_e32 vcc, 1, v4
	s_andn2_b64 s[0:1], s[0:1], exec
	s_and_b64 s[8:9], vcc, exec
	v_and_b32_e32 v1, 0xff, v6
	s_or_b64 s[0:1], s[0:1], s[8:9]
; %bb.10:
	s_or_b64 exec, exec, s[2:3]
	v_mov_b32_dpp v6, v1 row_ror:8 row_mask:0xf bank_mask:0xf bound_ctrl:1
	v_and_b32_e32 v7, 1, v6
	v_mov_b32_dpp v4, v2 row_ror:8 row_mask:0xf bank_mask:0xf bound_ctrl:1
	v_mov_b32_dpp v5, v3 row_ror:8 row_mask:0xf bank_mask:0xf bound_ctrl:1
	v_cmp_eq_u32_e32 vcc, 1, v7
	s_and_saveexec_b64 s[2:3], vcc
; %bb.11:
	v_cmp_lt_i64_e32 vcc, v[2:3], v[4:5]
	v_cndmask_b32_e64 v6, v6, 1, s[0:1]
	s_and_b64 vcc, s[0:1], vcc
	v_cndmask_b32_e32 v2, v4, v2, vcc
	v_and_b32_e32 v4, 1, v6
	v_cndmask_b32_e32 v3, v5, v3, vcc
	v_cmp_eq_u32_e32 vcc, 1, v4
	s_andn2_b64 s[0:1], s[0:1], exec
	s_and_b64 s[8:9], vcc, exec
	v_and_b32_e32 v1, 0xff, v6
	s_or_b64 s[0:1], s[0:1], s[8:9]
; %bb.12:
	s_or_b64 exec, exec, s[2:3]
	v_mov_b32_dpp v6, v1 row_bcast:15 row_mask:0xf bank_mask:0xf bound_ctrl:1
	v_and_b32_e32 v7, 1, v6
	v_mov_b32_dpp v4, v2 row_bcast:15 row_mask:0xf bank_mask:0xf bound_ctrl:1
	v_mov_b32_dpp v5, v3 row_bcast:15 row_mask:0xf bank_mask:0xf bound_ctrl:1
	v_cmp_eq_u32_e32 vcc, 1, v7
	s_and_saveexec_b64 s[2:3], vcc
; %bb.13:
	v_cmp_lt_i64_e32 vcc, v[2:3], v[4:5]
	v_cndmask_b32_e64 v6, v6, 1, s[0:1]
	s_and_b64 vcc, s[0:1], vcc
	v_cndmask_b32_e32 v2, v4, v2, vcc
	v_and_b32_e32 v4, 1, v6
	v_cndmask_b32_e32 v3, v5, v3, vcc
	v_cmp_eq_u32_e32 vcc, 1, v4
	s_andn2_b64 s[0:1], s[0:1], exec
	s_and_b64 s[8:9], vcc, exec
	v_and_b32_e32 v1, 0xff, v6
	s_or_b64 s[0:1], s[0:1], s[8:9]
; %bb.14:
	s_or_b64 exec, exec, s[2:3]
	v_mov_b32_dpp v6, v1 row_bcast:31 row_mask:0xf bank_mask:0xf bound_ctrl:1
	v_and_b32_e32 v7, 1, v6
	v_mov_b32_dpp v4, v2 row_bcast:31 row_mask:0xf bank_mask:0xf bound_ctrl:1
	v_mov_b32_dpp v5, v3 row_bcast:31 row_mask:0xf bank_mask:0xf bound_ctrl:1
	v_cmp_eq_u32_e32 vcc, 1, v7
	s_and_saveexec_b64 s[2:3], vcc
; %bb.15:
	v_cmp_lt_i64_e32 vcc, v[2:3], v[4:5]
	v_and_b32_e32 v1, 0xff, v6
	s_and_b64 vcc, s[0:1], vcc
	v_cndmask_b32_e32 v2, v4, v2, vcc
	v_cndmask_b32_e32 v3, v5, v3, vcc
	v_cndmask_b32_e64 v1, v1, 1, s[0:1]
; %bb.16:
	s_or_b64 exec, exec, s[2:3]
	v_mbcnt_lo_u32_b32 v4, -1, 0
	v_mbcnt_hi_u32_b32 v4, -1, v4
	v_bfrev_b32_e32 v5, 0.5
	v_lshl_or_b32 v5, v4, 2, v5
	ds_bpermute_b32 v7, v5, v1
	ds_bpermute_b32 v2, v5, v2
	;; [unrolled: 1-line block ×3, first 2 shown]
	v_cmp_eq_u32_e32 vcc, 0, v4
	s_and_saveexec_b64 s[0:1], vcc
	s_cbranch_execz .LBB236_18
; %bb.17:
	v_lshrrev_b32_e32 v1, 2, v0
	v_and_b32_e32 v1, 48, v1
	s_waitcnt lgkmcnt(2)
	ds_write_b8 v1, v7 offset:192
	s_waitcnt lgkmcnt(1)
	ds_write_b64 v1, v[2:3] offset:200
.LBB236_18:
	s_or_b64 exec, exec, s[0:1]
	v_cmp_gt_u32_e32 vcc, 64, v0
	s_waitcnt lgkmcnt(0)
	s_barrier
	s_and_saveexec_b64 s[2:3], vcc
	s_cbranch_execz .LBB236_20
; %bb.19:
	v_and_b32_e32 v1, 3, v4
	v_lshlrev_b32_e32 v2, 4, v1
	ds_read_u8 v5, v2 offset:192
	ds_read_b64 v[2:3], v2 offset:200
	v_cmp_ne_u32_e32 vcc, 3, v1
	v_addc_co_u32_e32 v6, vcc, 0, v4, vcc
	s_waitcnt lgkmcnt(1)
	v_and_b32_e32 v7, 0xff, v5
	v_lshlrev_b32_e32 v8, 2, v6
	ds_bpermute_b32 v9, v8, v7
	s_waitcnt lgkmcnt(1)
	ds_bpermute_b32 v6, v8, v2
	ds_bpermute_b32 v7, v8, v3
	v_and_b32_e32 v8, 1, v5
	s_waitcnt lgkmcnt(2)
	v_and_b32_e32 v10, 1, v9
	v_cmp_eq_u32_e64 s[0:1], 1, v10
	s_waitcnt lgkmcnt(0)
	v_cmp_lt_i64_e32 vcc, v[6:7], v[2:3]
	s_and_b64 vcc, s[0:1], vcc
	v_cndmask_b32_e64 v5, v5, 1, s[0:1]
	v_cndmask_b32_e32 v2, v2, v6, vcc
	v_cndmask_b32_e32 v3, v3, v7, vcc
	v_cmp_eq_u32_e32 vcc, 1, v8
	v_cndmask_b32_e32 v8, v9, v5, vcc
	v_cndmask_b32_e32 v3, v7, v3, vcc
	;; [unrolled: 1-line block ×3, first 2 shown]
	v_cmp_gt_u32_e32 vcc, 2, v1
	v_cndmask_b32_e64 v1, 0, 1, vcc
	v_lshlrev_b32_e32 v1, 1, v1
	v_and_b32_e32 v5, 0xff, v8
	v_add_lshl_u32 v1, v1, v4, 2
	ds_bpermute_b32 v6, v1, v5
	ds_bpermute_b32 v4, v1, v2
	;; [unrolled: 1-line block ×3, first 2 shown]
	v_and_b32_e32 v1, 1, v8
	s_waitcnt lgkmcnt(2)
	v_and_b32_e32 v7, 1, v6
	v_cmp_eq_u32_e64 s[0:1], 1, v7
	s_waitcnt lgkmcnt(0)
	v_cmp_lt_i64_e32 vcc, v[4:5], v[2:3]
	s_and_b64 vcc, s[0:1], vcc
	v_cndmask_b32_e64 v7, v8, 1, s[0:1]
	v_cndmask_b32_e32 v2, v2, v4, vcc
	v_cndmask_b32_e32 v3, v3, v5, vcc
	v_cmp_eq_u32_e32 vcc, 1, v1
	v_cndmask_b32_e32 v1, v6, v7, vcc
	v_cndmask_b32_e32 v3, v5, v3, vcc
	;; [unrolled: 1-line block ×3, first 2 shown]
	v_and_b32_e32 v7, 0xff, v1
.LBB236_20:
	s_or_b64 exec, exec, s[2:3]
	s_branch .LBB236_89
.LBB236_21:
	s_mov_b64 s[10:11], 0
                                        ; implicit-def: $vgpr4_vgpr5
                                        ; implicit-def: $vgpr1
	s_cbranch_execnz .LBB236_133
	s_branch .LBB236_208
.LBB236_22:
	s_mov_b64 s[28:29], -1
.LBB236_23:
	s_mov_b64 s[10:11], 0
                                        ; implicit-def: $vgpr4_vgpr5
                                        ; implicit-def: $vgpr1
	s_and_b64 vcc, exec, s[28:29]
	s_cbranch_vccz .LBB236_94
.LBB236_24:
	s_cmp_eq_u32 s36, 4
	s_cbranch_scc0 .LBB236_43
; %bb.25:
	s_mov_b32 s7, 0
	s_lshl_b32 s14, s6, 10
	s_mov_b32 s15, s7
	s_lshr_b64 s[0:1], s[22:23], 10
	s_lshl_b64 s[2:3], s[14:15], 3
	s_add_u32 s8, s24, s2
	s_addc_u32 s9, s25, s3
	s_add_u32 s12, s26, s2
	s_addc_u32 s13, s27, s3
	;; [unrolled: 2-line block ×3, first 2 shown]
	s_cmp_lg_u64 s[0:1], s[6:7]
	s_cbranch_scc0 .LBB236_95
; %bb.26:
	v_lshlrev_b32_e32 v1, 3, v0
	v_mov_b32_e32 v2, s9
	v_add_co_u32_e32 v10, vcc, s8, v1
	v_addc_co_u32_e32 v11, vcc, 0, v2, vcc
	v_mov_b32_e32 v2, s13
	v_add_co_u32_e32 v12, vcc, s12, v1
	v_addc_co_u32_e32 v13, vcc, 0, v2, vcc
	s_movk_i32 s0, 0x1000
	v_add_co_u32_e32 v10, vcc, s0, v10
	global_load_dwordx2 v[2:3], v1, s[8:9]
	s_waitcnt lgkmcnt(0)
	global_load_dwordx2 v[4:5], v1, s[12:13] offset:2048
	global_load_dwordx2 v[6:7], v1, s[12:13]
	global_load_dwordx2 v[8:9], v1, s[8:9] offset:2048
	v_addc_co_u32_e32 v11, vcc, 0, v11, vcc
	v_add_co_u32_e32 v12, vcc, s0, v12
	v_addc_co_u32_e32 v13, vcc, 0, v13, vcc
	global_load_dwordx2 v[14:15], v[10:11], off
	global_load_dwordx2 v[16:17], v[10:11], off offset:2048
	global_load_dwordx2 v[18:19], v[12:13], off
	global_load_dwordx2 v[20:21], v[12:13], off offset:2048
	v_mov_b32_e32 v1, s17
	v_add_co_u32_e32 v13, vcc, s16, v0
	v_addc_co_u32_e32 v1, vcc, 0, v1, vcc
	v_mov_b32_e32 v10, 0x200
	v_mov_b32_e32 v11, 0x100
	;; [unrolled: 1-line block ×3, first 2 shown]
	s_waitcnt vmcnt(5)
	v_cmp_ne_u64_e64 s[0:1], v[2:3], v[6:7]
	s_waitcnt vmcnt(4)
	v_cmp_ne_u64_e32 vcc, v[8:9], v[4:5]
	v_cndmask_b32_e32 v4, v10, v11, vcc
	s_or_b64 s[2:3], s[0:1], vcc
	v_cndmask_b32_e64 v2, v4, 0, s[0:1]
	s_waitcnt vmcnt(1)
	v_cmp_ne_u64_e32 vcc, v[14:15], v[18:19]
	s_or_b64 vcc, s[2:3], vcc
	s_waitcnt vmcnt(0)
	v_cmp_ne_u64_e64 s[0:1], v[16:17], v[20:21]
	v_cndmask_b32_e32 v2, v12, v2, vcc
	v_add_co_u32_e64 v2, s[2:3], v13, v2
	s_or_b64 s[0:1], vcc, s[0:1]
	v_addc_co_u32_e64 v3, s[2:3], 0, v1, s[2:3]
	v_cndmask_b32_e64 v1, 0, 1, s[0:1]
	v_mov_b32_dpp v4, v2 quad_perm:[1,0,3,2] row_mask:0xf bank_mask:0xf bound_ctrl:1
	v_mov_b32_dpp v5, v3 quad_perm:[1,0,3,2] row_mask:0xf bank_mask:0xf bound_ctrl:1
	;; [unrolled: 1-line block ×3, first 2 shown]
	v_and_b32_e32 v7, 1, v6
	v_cmp_eq_u32_e32 vcc, 1, v7
	s_and_saveexec_b64 s[2:3], vcc
; %bb.27:
	v_cmp_lt_i64_e32 vcc, v[2:3], v[4:5]
	v_cndmask_b32_e64 v6, v6, 1, s[0:1]
	s_and_b64 vcc, s[0:1], vcc
	v_cndmask_b32_e32 v2, v4, v2, vcc
	v_and_b32_e32 v4, 1, v6
	v_cndmask_b32_e32 v3, v5, v3, vcc
	v_cmp_eq_u32_e32 vcc, 1, v4
	s_andn2_b64 s[0:1], s[0:1], exec
	s_and_b64 s[28:29], vcc, exec
	v_and_b32_e32 v1, 0xff, v6
	s_or_b64 s[0:1], s[0:1], s[28:29]
; %bb.28:
	s_or_b64 exec, exec, s[2:3]
	v_mov_b32_dpp v6, v1 quad_perm:[2,3,0,1] row_mask:0xf bank_mask:0xf bound_ctrl:1
	v_and_b32_e32 v7, 1, v6
	v_mov_b32_dpp v4, v2 quad_perm:[2,3,0,1] row_mask:0xf bank_mask:0xf bound_ctrl:1
	v_mov_b32_dpp v5, v3 quad_perm:[2,3,0,1] row_mask:0xf bank_mask:0xf bound_ctrl:1
	v_cmp_eq_u32_e32 vcc, 1, v7
	s_and_saveexec_b64 s[2:3], vcc
; %bb.29:
	v_cmp_lt_i64_e32 vcc, v[2:3], v[4:5]
	v_cndmask_b32_e64 v6, v6, 1, s[0:1]
	s_and_b64 vcc, s[0:1], vcc
	v_cndmask_b32_e32 v2, v4, v2, vcc
	v_and_b32_e32 v4, 1, v6
	v_cndmask_b32_e32 v3, v5, v3, vcc
	v_cmp_eq_u32_e32 vcc, 1, v4
	s_andn2_b64 s[0:1], s[0:1], exec
	s_and_b64 s[28:29], vcc, exec
	v_and_b32_e32 v1, 0xff, v6
	s_or_b64 s[0:1], s[0:1], s[28:29]
; %bb.30:
	s_or_b64 exec, exec, s[2:3]
	v_mov_b32_dpp v6, v1 row_ror:4 row_mask:0xf bank_mask:0xf bound_ctrl:1
	v_and_b32_e32 v7, 1, v6
	v_mov_b32_dpp v4, v2 row_ror:4 row_mask:0xf bank_mask:0xf bound_ctrl:1
	v_mov_b32_dpp v5, v3 row_ror:4 row_mask:0xf bank_mask:0xf bound_ctrl:1
	v_cmp_eq_u32_e32 vcc, 1, v7
	s_and_saveexec_b64 s[2:3], vcc
; %bb.31:
	v_cmp_lt_i64_e32 vcc, v[2:3], v[4:5]
	v_cndmask_b32_e64 v6, v6, 1, s[0:1]
	s_and_b64 vcc, s[0:1], vcc
	v_cndmask_b32_e32 v2, v4, v2, vcc
	v_and_b32_e32 v4, 1, v6
	v_cndmask_b32_e32 v3, v5, v3, vcc
	v_cmp_eq_u32_e32 vcc, 1, v4
	s_andn2_b64 s[0:1], s[0:1], exec
	s_and_b64 s[28:29], vcc, exec
	v_and_b32_e32 v1, 0xff, v6
	s_or_b64 s[0:1], s[0:1], s[28:29]
; %bb.32:
	s_or_b64 exec, exec, s[2:3]
	v_mov_b32_dpp v6, v1 row_ror:8 row_mask:0xf bank_mask:0xf bound_ctrl:1
	v_and_b32_e32 v7, 1, v6
	v_mov_b32_dpp v4, v2 row_ror:8 row_mask:0xf bank_mask:0xf bound_ctrl:1
	v_mov_b32_dpp v5, v3 row_ror:8 row_mask:0xf bank_mask:0xf bound_ctrl:1
	v_cmp_eq_u32_e32 vcc, 1, v7
	s_and_saveexec_b64 s[2:3], vcc
; %bb.33:
	v_cmp_lt_i64_e32 vcc, v[2:3], v[4:5]
	v_cndmask_b32_e64 v6, v6, 1, s[0:1]
	s_and_b64 vcc, s[0:1], vcc
	v_cndmask_b32_e32 v2, v4, v2, vcc
	v_and_b32_e32 v4, 1, v6
	v_cndmask_b32_e32 v3, v5, v3, vcc
	v_cmp_eq_u32_e32 vcc, 1, v4
	s_andn2_b64 s[0:1], s[0:1], exec
	s_and_b64 s[28:29], vcc, exec
	v_and_b32_e32 v1, 0xff, v6
	s_or_b64 s[0:1], s[0:1], s[28:29]
; %bb.34:
	s_or_b64 exec, exec, s[2:3]
	v_mov_b32_dpp v6, v1 row_bcast:15 row_mask:0xf bank_mask:0xf bound_ctrl:1
	v_and_b32_e32 v7, 1, v6
	v_mov_b32_dpp v4, v2 row_bcast:15 row_mask:0xf bank_mask:0xf bound_ctrl:1
	v_mov_b32_dpp v5, v3 row_bcast:15 row_mask:0xf bank_mask:0xf bound_ctrl:1
	v_cmp_eq_u32_e32 vcc, 1, v7
	s_and_saveexec_b64 s[2:3], vcc
; %bb.35:
	v_cmp_lt_i64_e32 vcc, v[2:3], v[4:5]
	v_cndmask_b32_e64 v6, v6, 1, s[0:1]
	s_and_b64 vcc, s[0:1], vcc
	v_cndmask_b32_e32 v2, v4, v2, vcc
	v_and_b32_e32 v4, 1, v6
	v_cndmask_b32_e32 v3, v5, v3, vcc
	v_cmp_eq_u32_e32 vcc, 1, v4
	s_andn2_b64 s[0:1], s[0:1], exec
	s_and_b64 s[28:29], vcc, exec
	v_and_b32_e32 v1, 0xff, v6
	s_or_b64 s[0:1], s[0:1], s[28:29]
; %bb.36:
	s_or_b64 exec, exec, s[2:3]
	v_mov_b32_dpp v6, v1 row_bcast:31 row_mask:0xf bank_mask:0xf bound_ctrl:1
	v_and_b32_e32 v7, 1, v6
	v_mov_b32_dpp v4, v2 row_bcast:31 row_mask:0xf bank_mask:0xf bound_ctrl:1
	v_mov_b32_dpp v5, v3 row_bcast:31 row_mask:0xf bank_mask:0xf bound_ctrl:1
	v_cmp_eq_u32_e32 vcc, 1, v7
	s_and_saveexec_b64 s[2:3], vcc
; %bb.37:
	v_cmp_lt_i64_e32 vcc, v[2:3], v[4:5]
	v_and_b32_e32 v1, 0xff, v6
	s_and_b64 vcc, s[0:1], vcc
	v_cndmask_b32_e32 v2, v4, v2, vcc
	v_cndmask_b32_e32 v3, v5, v3, vcc
	v_cndmask_b32_e64 v1, v1, 1, s[0:1]
; %bb.38:
	s_or_b64 exec, exec, s[2:3]
	v_mbcnt_lo_u32_b32 v4, -1, 0
	v_mbcnt_hi_u32_b32 v4, -1, v4
	v_bfrev_b32_e32 v5, 0.5
	v_lshl_or_b32 v5, v4, 2, v5
	ds_bpermute_b32 v6, v5, v1
	ds_bpermute_b32 v2, v5, v2
	;; [unrolled: 1-line block ×3, first 2 shown]
	v_cmp_eq_u32_e32 vcc, 0, v4
	s_and_saveexec_b64 s[0:1], vcc
	s_cbranch_execz .LBB236_40
; %bb.39:
	v_lshrrev_b32_e32 v1, 2, v0
	v_and_b32_e32 v1, 48, v1
	s_waitcnt lgkmcnt(2)
	ds_write_b8 v1, v6 offset:128
	s_waitcnt lgkmcnt(1)
	ds_write_b64 v1, v[2:3] offset:136
.LBB236_40:
	s_or_b64 exec, exec, s[0:1]
	v_cmp_gt_u32_e32 vcc, 64, v0
	s_waitcnt lgkmcnt(0)
	s_barrier
	s_and_saveexec_b64 s[2:3], vcc
	s_cbranch_execz .LBB236_42
; %bb.41:
	v_and_b32_e32 v1, 3, v4
	v_lshlrev_b32_e32 v2, 4, v1
	ds_read_u8 v5, v2 offset:128
	ds_read_b64 v[2:3], v2 offset:136
	v_cmp_ne_u32_e32 vcc, 3, v1
	v_addc_co_u32_e32 v6, vcc, 0, v4, vcc
	s_waitcnt lgkmcnt(1)
	v_and_b32_e32 v7, 0xff, v5
	v_lshlrev_b32_e32 v8, 2, v6
	ds_bpermute_b32 v9, v8, v7
	s_waitcnt lgkmcnt(1)
	ds_bpermute_b32 v6, v8, v2
	ds_bpermute_b32 v7, v8, v3
	v_and_b32_e32 v8, 1, v5
	s_waitcnt lgkmcnt(2)
	v_and_b32_e32 v10, 1, v9
	v_cmp_eq_u32_e64 s[0:1], 1, v10
	s_waitcnt lgkmcnt(0)
	v_cmp_lt_i64_e32 vcc, v[6:7], v[2:3]
	s_and_b64 vcc, s[0:1], vcc
	v_cndmask_b32_e64 v5, v5, 1, s[0:1]
	v_cndmask_b32_e32 v2, v2, v6, vcc
	v_cndmask_b32_e32 v3, v3, v7, vcc
	v_cmp_eq_u32_e32 vcc, 1, v8
	v_cndmask_b32_e32 v8, v9, v5, vcc
	v_cndmask_b32_e32 v3, v7, v3, vcc
	;; [unrolled: 1-line block ×3, first 2 shown]
	v_cmp_gt_u32_e32 vcc, 2, v1
	v_cndmask_b32_e64 v1, 0, 1, vcc
	v_lshlrev_b32_e32 v1, 1, v1
	v_and_b32_e32 v5, 0xff, v8
	v_add_lshl_u32 v1, v1, v4, 2
	ds_bpermute_b32 v6, v1, v5
	ds_bpermute_b32 v4, v1, v2
	;; [unrolled: 1-line block ×3, first 2 shown]
	v_and_b32_e32 v1, 1, v8
	s_waitcnt lgkmcnt(2)
	v_and_b32_e32 v7, 1, v6
	v_cmp_eq_u32_e64 s[0:1], 1, v7
	s_waitcnt lgkmcnt(0)
	v_cmp_lt_i64_e32 vcc, v[4:5], v[2:3]
	s_and_b64 vcc, s[0:1], vcc
	v_cndmask_b32_e64 v7, v8, 1, s[0:1]
	v_cndmask_b32_e32 v2, v2, v4, vcc
	v_cndmask_b32_e32 v3, v3, v5, vcc
	v_cmp_eq_u32_e32 vcc, 1, v1
	v_cndmask_b32_e32 v1, v6, v7, vcc
	v_cndmask_b32_e32 v3, v5, v3, vcc
	;; [unrolled: 1-line block ×3, first 2 shown]
	v_and_b32_e32 v6, 0xff, v1
.LBB236_42:
	s_or_b64 exec, exec, s[2:3]
	s_branch .LBB236_128
.LBB236_43:
                                        ; implicit-def: $vgpr4_vgpr5
                                        ; implicit-def: $vgpr1
	s_branch .LBB236_208
.LBB236_44:
                                        ; implicit-def: $vgpr2_vgpr3
                                        ; implicit-def: $vgpr7
	s_cbranch_execz .LBB236_89
; %bb.45:
	s_sub_i32 s39, s22, s14
	v_pk_mov_b32 v[4:5], 0, 0
	v_cmp_gt_u32_e32 vcc, s39, v0
	v_mov_b32_e32 v18, 0
	v_pk_mov_b32 v[2:3], v[4:5], v[4:5] op_sel:[0,1]
	v_mov_b32_e32 v1, 0
	s_and_saveexec_b64 s[0:1], vcc
	s_cbranch_execz .LBB236_47
; %bb.46:
	v_lshlrev_b32_e32 v1, 3, v0
	global_load_dwordx2 v[6:7], v1, s[16:17]
	global_load_dwordx2 v[8:9], v1, s[30:31]
	v_mov_b32_e32 v1, s38
	v_add_co_u32_e32 v2, vcc, s37, v0
	v_addc_co_u32_e32 v3, vcc, 0, v1, vcc
	s_waitcnt vmcnt(0)
	v_cmp_ne_u64_e32 vcc, v[6:7], v[8:9]
	v_cndmask_b32_e64 v1, 0, 1, vcc
.LBB236_47:
	s_or_b64 exec, exec, s[0:1]
	v_or_b32_e32 v6, 0x100, v0
	v_cmp_gt_u32_e64 s[8:9], s39, v6
	s_and_saveexec_b64 s[0:1], s[8:9]
	s_cbranch_execz .LBB236_49
; %bb.48:
	v_lshlrev_b32_e32 v4, 3, v0
	global_load_dwordx2 v[8:9], v4, s[16:17] offset:2048
	global_load_dwordx2 v[10:11], v4, s[30:31] offset:2048
	v_mov_b32_e32 v5, s38
	v_add_co_u32_e32 v4, vcc, s37, v6
	v_addc_co_u32_e32 v5, vcc, 0, v5, vcc
	s_waitcnt vmcnt(0)
	v_cmp_ne_u64_e32 vcc, v[8:9], v[10:11]
	v_cndmask_b32_e64 v18, 0, 1, vcc
.LBB236_49:
	s_or_b64 exec, exec, s[0:1]
	v_or_b32_e32 v8, 0x200, v0
	v_pk_mov_b32 v[6:7], 0, 0
	v_cmp_gt_u32_e32 vcc, s39, v8
	v_mov_b32_e32 v19, 0
	v_pk_mov_b32 v[12:13], v[6:7], v[6:7] op_sel:[0,1]
	v_mov_b32_e32 v23, 0
	s_and_saveexec_b64 s[2:3], vcc
	s_cbranch_execz .LBB236_51
; %bb.50:
	v_lshlrev_b32_e32 v9, 3, v8
	global_load_dwordx2 v[10:11], v9, s[16:17]
	global_load_dwordx2 v[14:15], v9, s[30:31]
	v_mov_b32_e32 v9, s38
	v_add_co_u32_e64 v12, s[0:1], s37, v8
	v_addc_co_u32_e64 v13, s[0:1], 0, v9, s[0:1]
	s_waitcnt vmcnt(0)
	v_cmp_ne_u64_e64 s[0:1], v[10:11], v[14:15]
	v_cndmask_b32_e64 v23, 0, 1, s[0:1]
.LBB236_51:
	s_or_b64 exec, exec, s[2:3]
	v_or_b32_e32 v8, 0x300, v0
	v_cmp_gt_u32_e64 s[10:11], s39, v8
	s_and_saveexec_b64 s[2:3], s[10:11]
	s_cbranch_execz .LBB236_53
; %bb.52:
	v_lshlrev_b32_e32 v6, 3, v8
	global_load_dwordx2 v[10:11], v6, s[16:17]
	global_load_dwordx2 v[14:15], v6, s[30:31]
	v_mov_b32_e32 v7, s38
	v_add_co_u32_e64 v6, s[0:1], s37, v8
	v_addc_co_u32_e64 v7, s[0:1], 0, v7, s[0:1]
	s_waitcnt vmcnt(0)
	v_cmp_ne_u64_e64 s[0:1], v[10:11], v[14:15]
	v_cndmask_b32_e64 v19, 0, 1, s[0:1]
.LBB236_53:
	s_or_b64 exec, exec, s[2:3]
	v_or_b32_e32 v10, 0x400, v0
	v_pk_mov_b32 v[8:9], 0, 0
	v_cmp_gt_u32_e64 s[0:1], s39, v10
	v_mov_b32_e32 v20, 0
	v_pk_mov_b32 v[14:15], v[8:9], v[8:9] op_sel:[0,1]
	v_mov_b32_e32 v24, 0
	s_and_saveexec_b64 s[12:13], s[0:1]
	s_cbranch_execz .LBB236_55
; %bb.54:
	v_lshlrev_b32_e32 v11, 3, v10
	global_load_dwordx2 v[16:17], v11, s[16:17]
	global_load_dwordx2 v[24:25], v11, s[30:31]
	v_mov_b32_e32 v11, s38
	v_add_co_u32_e64 v14, s[2:3], s37, v10
	v_addc_co_u32_e64 v15, s[2:3], 0, v11, s[2:3]
	s_waitcnt vmcnt(0)
	v_cmp_ne_u64_e64 s[2:3], v[16:17], v[24:25]
	v_cndmask_b32_e64 v24, 0, 1, s[2:3]
.LBB236_55:
	s_or_b64 exec, exec, s[12:13]
	v_or_b32_e32 v10, 0x500, v0
	v_cmp_gt_u32_e64 s[12:13], s39, v10
	s_and_saveexec_b64 s[14:15], s[12:13]
	s_cbranch_execz .LBB236_57
; %bb.56:
	v_lshlrev_b32_e32 v8, 3, v10
	global_load_dwordx2 v[16:17], v8, s[16:17]
	global_load_dwordx2 v[20:21], v8, s[30:31]
	v_mov_b32_e32 v9, s38
	v_add_co_u32_e64 v8, s[2:3], s37, v10
	v_addc_co_u32_e64 v9, s[2:3], 0, v9, s[2:3]
	s_waitcnt vmcnt(0)
	v_cmp_ne_u64_e64 s[2:3], v[16:17], v[20:21]
	v_cndmask_b32_e64 v20, 0, 1, s[2:3]
.LBB236_57:
	s_or_b64 exec, exec, s[14:15]
	v_or_b32_e32 v25, 0x600, v0
	v_pk_mov_b32 v[10:11], 0, 0
	v_cmp_gt_u32_e64 s[2:3], s39, v25
	v_mov_b32_e32 v21, 0
	v_mov_b32_e32 v22, 0
	v_pk_mov_b32 v[16:17], v[10:11], v[10:11] op_sel:[0,1]
	s_and_saveexec_b64 s[34:35], s[2:3]
	s_cbranch_execz .LBB236_59
; %bb.58:
	v_lshlrev_b32_e32 v16, 3, v25
	global_load_dwordx2 v[26:27], v16, s[16:17]
	global_load_dwordx2 v[28:29], v16, s[30:31]
	v_mov_b32_e32 v17, s38
	v_add_co_u32_e64 v16, s[14:15], s37, v25
	v_addc_co_u32_e64 v17, s[14:15], 0, v17, s[14:15]
	s_waitcnt vmcnt(0)
	v_cmp_ne_u64_e64 s[14:15], v[26:27], v[28:29]
	v_cndmask_b32_e64 v22, 0, 1, s[14:15]
.LBB236_59:
	s_or_b64 exec, exec, s[34:35]
	v_or_b32_e32 v25, 0x700, v0
	v_cmp_gt_u32_e64 s[14:15], s39, v25
	s_and_saveexec_b64 s[34:35], s[14:15]
	s_cbranch_execnz .LBB236_240
; %bb.60:
	s_or_b64 exec, exec, s[34:35]
	s_and_saveexec_b64 s[30:31], s[8:9]
	s_cbranch_execnz .LBB236_241
.LBB236_61:
	s_or_b64 exec, exec, s[30:31]
	s_and_saveexec_b64 s[16:17], vcc
	s_cbranch_execnz .LBB236_242
.LBB236_62:
	s_or_b64 exec, exec, s[16:17]
	s_and_saveexec_b64 s[16:17], s[10:11]
	s_cbranch_execnz .LBB236_243
.LBB236_63:
	s_or_b64 exec, exec, s[16:17]
	s_and_saveexec_b64 s[8:9], s[0:1]
	s_cbranch_execnz .LBB236_244
.LBB236_64:
	s_or_b64 exec, exec, s[8:9]
	s_and_saveexec_b64 s[8:9], s[12:13]
	s_cbranch_execnz .LBB236_245
.LBB236_65:
	s_or_b64 exec, exec, s[8:9]
	s_and_saveexec_b64 s[8:9], s[2:3]
	s_cbranch_execnz .LBB236_246
.LBB236_66:
	s_or_b64 exec, exec, s[8:9]
	s_and_saveexec_b64 s[2:3], s[14:15]
	s_cbranch_execz .LBB236_68
.LBB236_67:
	v_and_b32_e32 v5, 1, v21
	v_cmp_lt_i64_e32 vcc, v[10:11], v[2:3]
	v_cmp_eq_u32_e64 s[0:1], 1, v5
	v_and_b32_e32 v4, 1, v1
	s_and_b64 vcc, s[0:1], vcc
	v_cndmask_b32_e64 v1, v1, 1, s[0:1]
	v_cndmask_b32_e32 v2, v2, v10, vcc
	v_cndmask_b32_e32 v3, v3, v11, vcc
	v_cmp_eq_u32_e32 vcc, 1, v4
	v_cndmask_b32_e32 v1, v21, v1, vcc
	v_cndmask_b32_e32 v3, v11, v3, vcc
	v_cndmask_b32_e32 v2, v10, v2, vcc
.LBB236_68:
	s_or_b64 exec, exec, s[2:3]
	v_mbcnt_lo_u32_b32 v4, -1, 0
	v_mbcnt_hi_u32_b32 v6, -1, v4
	v_and_b32_e32 v8, 63, v6
	v_cmp_ne_u32_e32 vcc, 63, v8
	v_addc_co_u32_e32 v4, vcc, 0, v6, vcc
	v_and_b32_e32 v7, 0xffff, v1
	v_lshlrev_b32_e32 v5, 2, v4
	ds_bpermute_b32 v11, v5, v7
	ds_bpermute_b32 v4, v5, v2
	;; [unrolled: 1-line block ×3, first 2 shown]
	s_min_u32 s8, s39, 0x100
	v_and_b32_e32 v9, 0xc0, v0
	v_sub_u32_e64 v10, s8, v9 clamp
	v_add_u32_e32 v9, 1, v8
	v_cmp_lt_u32_e32 vcc, v9, v10
	v_mov_b32_e32 v9, v7
	s_and_saveexec_b64 s[0:1], vcc
	s_xor_b64 s[2:3], exec, s[0:1]
	s_cbranch_execz .LBB236_70
; %bb.69:
	s_waitcnt lgkmcnt(2)
	v_and_b32_e32 v9, 1, v11
	s_waitcnt lgkmcnt(0)
	v_cmp_lt_i64_e32 vcc, v[4:5], v[2:3]
	v_cmp_eq_u32_e64 s[0:1], 1, v9
	v_and_b32_e32 v1, 1, v1
	s_and_b64 vcc, s[0:1], vcc
	v_cndmask_b32_e64 v7, v7, 1, s[0:1]
	v_cndmask_b32_e32 v2, v2, v4, vcc
	v_cndmask_b32_e32 v3, v3, v5, vcc
	v_cmp_eq_u32_e32 vcc, 1, v1
	v_cndmask_b32_e32 v9, v11, v7, vcc
	v_cndmask_b32_e32 v3, v5, v3, vcc
	;; [unrolled: 1-line block ×3, first 2 shown]
	v_and_b32_e32 v7, 0xff, v9
.LBB236_70:
	s_or_b64 exec, exec, s[2:3]
	v_cmp_gt_u32_e32 vcc, 62, v8
	v_cndmask_b32_e64 v1, 0, 1, vcc
	v_lshlrev_b32_e32 v1, 1, v1
	s_waitcnt lgkmcnt(0)
	v_add_lshl_u32 v5, v1, v6, 2
	ds_bpermute_b32 v1, v5, v7
	ds_bpermute_b32 v4, v5, v2
	ds_bpermute_b32 v5, v5, v3
	v_add_u32_e32 v11, 2, v8
	v_cmp_lt_u32_e32 vcc, v11, v10
	s_and_saveexec_b64 s[2:3], vcc
	s_cbranch_execz .LBB236_72
; %bb.71:
	s_waitcnt lgkmcnt(2)
	v_and_b32_e32 v11, 1, v1
	s_waitcnt lgkmcnt(0)
	v_cmp_lt_i64_e32 vcc, v[4:5], v[2:3]
	v_cmp_eq_u32_e64 s[0:1], 1, v11
	v_and_b32_e32 v7, 1, v9
	s_and_b64 vcc, s[0:1], vcc
	v_cndmask_b32_e64 v9, v9, 1, s[0:1]
	v_cndmask_b32_e32 v2, v2, v4, vcc
	v_cndmask_b32_e32 v3, v3, v5, vcc
	v_cmp_eq_u32_e32 vcc, 1, v7
	v_cndmask_b32_e32 v9, v1, v9, vcc
	v_cndmask_b32_e32 v3, v5, v3, vcc
	v_cndmask_b32_e32 v2, v4, v2, vcc
	v_and_b32_e32 v7, 0xff, v9
.LBB236_72:
	s_or_b64 exec, exec, s[2:3]
	v_cmp_gt_u32_e32 vcc, 60, v8
	s_waitcnt lgkmcnt(2)
	v_cndmask_b32_e64 v1, 0, 1, vcc
	v_lshlrev_b32_e32 v1, 2, v1
	s_waitcnt lgkmcnt(0)
	v_add_lshl_u32 v5, v1, v6, 2
	ds_bpermute_b32 v1, v5, v7
	ds_bpermute_b32 v4, v5, v2
	ds_bpermute_b32 v5, v5, v3
	v_add_u32_e32 v11, 4, v8
	v_cmp_lt_u32_e32 vcc, v11, v10
	s_and_saveexec_b64 s[2:3], vcc
	s_cbranch_execz .LBB236_74
; %bb.73:
	s_waitcnt lgkmcnt(2)
	v_and_b32_e32 v11, 1, v1
	s_waitcnt lgkmcnt(0)
	v_cmp_lt_i64_e32 vcc, v[4:5], v[2:3]
	v_cmp_eq_u32_e64 s[0:1], 1, v11
	v_and_b32_e32 v7, 1, v9
	s_and_b64 vcc, s[0:1], vcc
	v_cndmask_b32_e64 v9, v9, 1, s[0:1]
	v_cndmask_b32_e32 v2, v2, v4, vcc
	v_cndmask_b32_e32 v3, v3, v5, vcc
	v_cmp_eq_u32_e32 vcc, 1, v7
	v_cndmask_b32_e32 v9, v1, v9, vcc
	v_cndmask_b32_e32 v3, v5, v3, vcc
	v_cndmask_b32_e32 v2, v4, v2, vcc
	v_and_b32_e32 v7, 0xff, v9
.LBB236_74:
	s_or_b64 exec, exec, s[2:3]
	v_cmp_gt_u32_e32 vcc, 56, v8
	s_waitcnt lgkmcnt(2)
	;; [unrolled: 31-line block ×4, first 2 shown]
	v_cndmask_b32_e64 v1, 0, 1, vcc
	v_lshlrev_b32_e32 v1, 5, v1
	s_waitcnt lgkmcnt(0)
	v_add_lshl_u32 v5, v1, v6, 2
	ds_bpermute_b32 v1, v5, v7
	ds_bpermute_b32 v4, v5, v2
	;; [unrolled: 1-line block ×3, first 2 shown]
	v_add_u32_e32 v8, 32, v8
	v_cmp_lt_u32_e32 vcc, v8, v10
	s_and_saveexec_b64 s[2:3], vcc
	s_cbranch_execz .LBB236_80
; %bb.79:
	s_waitcnt lgkmcnt(2)
	v_and_b32_e32 v8, 1, v1
	s_waitcnt lgkmcnt(0)
	v_cmp_lt_i64_e32 vcc, v[4:5], v[2:3]
	v_cmp_eq_u32_e64 s[0:1], 1, v8
	v_and_b32_e32 v7, 1, v9
	s_and_b64 vcc, s[0:1], vcc
	v_cndmask_b32_e64 v8, v9, 1, s[0:1]
	v_cndmask_b32_e32 v2, v2, v4, vcc
	v_cndmask_b32_e32 v3, v3, v5, vcc
	v_cmp_eq_u32_e32 vcc, 1, v7
	v_cndmask_b32_e32 v9, v1, v8, vcc
	v_cndmask_b32_e32 v3, v5, v3, vcc
	;; [unrolled: 1-line block ×3, first 2 shown]
	v_and_b32_e32 v7, 0xff, v9
.LBB236_80:
	s_or_b64 exec, exec, s[2:3]
	v_cmp_eq_u32_e32 vcc, 0, v6
	s_and_saveexec_b64 s[0:1], vcc
	s_cbranch_execz .LBB236_82
; %bb.81:
	s_waitcnt lgkmcnt(2)
	v_lshrrev_b32_e32 v1, 2, v0
	v_and_b32_e32 v1, 48, v1
	ds_write_b8 v1, v9 offset:256
	ds_write_b64 v1, v[2:3] offset:264
.LBB236_82:
	s_or_b64 exec, exec, s[0:1]
	v_cmp_gt_u32_e32 vcc, 4, v0
	s_waitcnt lgkmcnt(0)
	s_barrier
	s_and_saveexec_b64 s[2:3], vcc
	s_cbranch_execz .LBB236_88
; %bb.83:
	v_lshlrev_b32_e32 v2, 4, v6
	ds_read_u8 v1, v2 offset:256
	ds_read_b64 v[2:3], v2 offset:264
	v_and_b32_e32 v8, 3, v6
	v_cmp_ne_u32_e32 vcc, 3, v8
	v_addc_co_u32_e32 v4, vcc, 0, v6, vcc
	s_waitcnt lgkmcnt(1)
	v_and_b32_e32 v7, 0xff, v1
	v_lshlrev_b32_e32 v5, 2, v4
	ds_bpermute_b32 v9, v5, v7
	s_waitcnt lgkmcnt(1)
	ds_bpermute_b32 v4, v5, v2
	ds_bpermute_b32 v5, v5, v3
	s_add_i32 s8, s8, 63
	s_lshr_b32 s10, s8, 6
	v_add_u32_e32 v10, 1, v8
	v_cmp_gt_u32_e32 vcc, s10, v10
	s_and_saveexec_b64 s[8:9], vcc
	s_cbranch_execz .LBB236_85
; %bb.84:
	s_waitcnt lgkmcnt(2)
	v_and_b32_e32 v10, 1, v9
	s_waitcnt lgkmcnt(0)
	v_cmp_lt_i64_e32 vcc, v[4:5], v[2:3]
	v_cmp_eq_u32_e64 s[0:1], 1, v10
	v_and_b32_e32 v7, 1, v1
	s_and_b64 vcc, s[0:1], vcc
	v_cndmask_b32_e64 v1, v1, 1, s[0:1]
	v_cndmask_b32_e32 v2, v2, v4, vcc
	v_cndmask_b32_e32 v3, v3, v5, vcc
	v_cmp_eq_u32_e32 vcc, 1, v7
	v_cndmask_b32_e32 v1, v9, v1, vcc
	v_cndmask_b32_e32 v3, v5, v3, vcc
	;; [unrolled: 1-line block ×3, first 2 shown]
	v_and_b32_e32 v7, 0xff, v1
.LBB236_85:
	s_or_b64 exec, exec, s[8:9]
	v_cmp_gt_u32_e32 vcc, 2, v8
	s_waitcnt lgkmcnt(1)
	v_cndmask_b32_e64 v4, 0, 1, vcc
	v_lshlrev_b32_e32 v4, 1, v4
	s_waitcnt lgkmcnt(0)
	v_add_lshl_u32 v5, v4, v6, 2
	ds_bpermute_b32 v6, v5, v7
	ds_bpermute_b32 v4, v5, v2
	;; [unrolled: 1-line block ×3, first 2 shown]
	v_add_u32_e32 v8, 2, v8
	v_cmp_gt_u32_e32 vcc, s10, v8
	s_and_saveexec_b64 s[8:9], vcc
	s_cbranch_execz .LBB236_87
; %bb.86:
	s_waitcnt lgkmcnt(2)
	v_and_b32_e32 v8, 1, v6
	s_waitcnt lgkmcnt(0)
	v_cmp_lt_i64_e32 vcc, v[4:5], v[2:3]
	v_cmp_eq_u32_e64 s[0:1], 1, v8
	v_and_b32_e32 v7, 1, v1
	s_and_b64 vcc, s[0:1], vcc
	v_cndmask_b32_e64 v1, v1, 1, s[0:1]
	v_cndmask_b32_e32 v2, v2, v4, vcc
	v_cndmask_b32_e32 v3, v3, v5, vcc
	v_cmp_eq_u32_e32 vcc, 1, v7
	v_cndmask_b32_e32 v1, v6, v1, vcc
	v_cndmask_b32_e32 v3, v5, v3, vcc
	;; [unrolled: 1-line block ×3, first 2 shown]
	v_and_b32_e32 v7, 0xff, v1
.LBB236_87:
	s_or_b64 exec, exec, s[8:9]
.LBB236_88:
	s_or_b64 exec, exec, s[2:3]
.LBB236_89:
	v_cmp_eq_u32_e32 vcc, 0, v0
	s_mov_b64 s[10:11], 0
                                        ; implicit-def: $vgpr4_vgpr5
                                        ; implicit-def: $vgpr1
	s_and_saveexec_b64 s[0:1], vcc
	s_xor_b64 s[8:9], exec, s[0:1]
	s_cbranch_execz .LBB236_93
; %bb.90:
	s_cmp_eq_u64 s[22:23], 0
	s_waitcnt lgkmcnt(0)
	v_pk_mov_b32 v[4:5], s[18:19], s[18:19] op_sel:[0,1]
	v_mov_b32_e32 v1, s33
	s_cbranch_scc1 .LBB236_92
; %bb.91:
	v_and_b32_e32 v1, 1, v7
	s_bitcmp1_b32 s33, 0
	v_mov_b32_e32 v4, s33
	v_cmp_eq_u32_e32 vcc, 1, v1
	v_cmp_gt_i64_e64 s[2:3], s[18:19], v[2:3]
	v_cndmask_b32_e64 v1, v4, 1, vcc
	s_cselect_b64 s[0:1], -1, 0
	v_mov_b32_e32 v4, s18
	s_and_b64 vcc, vcc, s[2:3]
	v_mov_b32_e32 v5, s19
	v_cndmask_b32_e32 v4, v4, v2, vcc
	v_cndmask_b32_e32 v5, v5, v3, vcc
	v_cndmask_b32_e64 v1, v7, v1, s[0:1]
	v_cndmask_b32_e64 v5, v3, v5, s[0:1]
	;; [unrolled: 1-line block ×3, first 2 shown]
.LBB236_92:
	s_mov_b64 s[10:11], exec
.LBB236_93:
	s_or_b64 exec, exec, s[8:9]
	s_and_b64 vcc, exec, s[28:29]
	s_cbranch_vccnz .LBB236_24
.LBB236_94:
	s_branch .LBB236_208
.LBB236_95:
                                        ; implicit-def: $vgpr2_vgpr3
                                        ; implicit-def: $vgpr6
	s_cbranch_execz .LBB236_128
; %bb.96:
	s_sub_i32 s28, s22, s14
	s_waitcnt lgkmcnt(0)
	v_pk_mov_b32 v[4:5], 0, 0
	v_cmp_gt_u32_e32 vcc, s28, v0
	v_mov_b32_e32 v1, 0
	v_pk_mov_b32 v[2:3], v[4:5], v[4:5] op_sel:[0,1]
	v_mov_b32_e32 v10, 0
	s_and_saveexec_b64 s[0:1], vcc
	s_cbranch_execz .LBB236_98
; %bb.97:
	v_lshlrev_b32_e32 v2, 3, v0
	global_load_dwordx2 v[6:7], v2, s[8:9]
	global_load_dwordx2 v[8:9], v2, s[12:13]
	v_mov_b32_e32 v3, s17
	v_add_co_u32_e32 v2, vcc, s16, v0
	v_addc_co_u32_e32 v3, vcc, 0, v3, vcc
	s_waitcnt vmcnt(0)
	v_cmp_ne_u64_e32 vcc, v[6:7], v[8:9]
	v_cndmask_b32_e64 v10, 0, 1, vcc
.LBB236_98:
	s_or_b64 exec, exec, s[0:1]
	v_or_b32_e32 v6, 0x100, v0
	v_cmp_gt_u32_e64 s[0:1], s28, v6
	s_and_saveexec_b64 s[2:3], s[0:1]
	s_cbranch_execz .LBB236_100
; %bb.99:
	v_lshlrev_b32_e32 v1, 3, v0
	global_load_dwordx2 v[8:9], v1, s[8:9] offset:2048
	global_load_dwordx2 v[12:13], v1, s[12:13] offset:2048
	v_mov_b32_e32 v1, s17
	v_add_co_u32_e32 v4, vcc, s16, v6
	v_addc_co_u32_e32 v5, vcc, 0, v1, vcc
	s_waitcnt vmcnt(0)
	v_cmp_ne_u64_e32 vcc, v[8:9], v[12:13]
	v_cndmask_b32_e64 v1, 0, 1, vcc
.LBB236_100:
	s_or_b64 exec, exec, s[2:3]
	v_or_b32_e32 v13, 0x200, v0
	v_pk_mov_b32 v[6:7], 0, 0
	v_cmp_gt_u32_e32 vcc, s28, v13
	v_mov_b32_e32 v11, 0
	v_pk_mov_b32 v[8:9], v[6:7], v[6:7] op_sel:[0,1]
	v_mov_b32_e32 v12, 0
	s_and_saveexec_b64 s[14:15], vcc
	s_cbranch_execz .LBB236_102
; %bb.101:
	v_lshlrev_b32_e32 v8, 3, v13
	global_load_dwordx2 v[14:15], v8, s[8:9]
	global_load_dwordx2 v[16:17], v8, s[12:13]
	v_mov_b32_e32 v9, s17
	v_add_co_u32_e64 v8, s[2:3], s16, v13
	v_addc_co_u32_e64 v9, s[2:3], 0, v9, s[2:3]
	s_waitcnt vmcnt(0)
	v_cmp_ne_u64_e64 s[2:3], v[14:15], v[16:17]
	v_cndmask_b32_e64 v12, 0, 1, s[2:3]
.LBB236_102:
	s_or_b64 exec, exec, s[14:15]
	v_or_b32_e32 v13, 0x300, v0
	v_cmp_gt_u32_e64 s[2:3], s28, v13
	s_and_saveexec_b64 s[14:15], s[2:3]
	s_cbranch_execnz .LBB236_247
; %bb.103:
	s_or_b64 exec, exec, s[14:15]
	s_and_saveexec_b64 s[12:13], s[0:1]
	s_cbranch_execnz .LBB236_248
.LBB236_104:
	s_or_b64 exec, exec, s[12:13]
	s_and_saveexec_b64 s[8:9], vcc
	s_cbranch_execnz .LBB236_249
.LBB236_105:
	s_or_b64 exec, exec, s[8:9]
	s_and_saveexec_b64 s[8:9], s[2:3]
	s_cbranch_execz .LBB236_107
.LBB236_106:
	v_and_b32_e32 v4, 1, v11
	v_cmp_lt_i64_e32 vcc, v[6:7], v[2:3]
	v_cmp_eq_u32_e64 s[0:1], 1, v4
	v_and_b32_e32 v1, 1, v10
	s_and_b64 vcc, s[0:1], vcc
	v_cndmask_b32_e64 v4, v10, 1, s[0:1]
	v_cndmask_b32_e32 v2, v2, v6, vcc
	v_cndmask_b32_e32 v3, v3, v7, vcc
	v_cmp_eq_u32_e32 vcc, 1, v1
	v_cndmask_b32_e32 v10, v11, v4, vcc
	v_cndmask_b32_e32 v3, v7, v3, vcc
	;; [unrolled: 1-line block ×3, first 2 shown]
.LBB236_107:
	s_or_b64 exec, exec, s[8:9]
	v_mbcnt_lo_u32_b32 v1, -1, 0
	v_mbcnt_hi_u32_b32 v1, -1, v1
	v_and_b32_e32 v7, 63, v1
	v_cmp_ne_u32_e32 vcc, 63, v7
	v_addc_co_u32_e32 v4, vcc, 0, v1, vcc
	v_and_b32_e32 v6, 0xffff, v10
	v_lshlrev_b32_e32 v5, 2, v4
	ds_bpermute_b32 v11, v5, v6
	ds_bpermute_b32 v4, v5, v2
	;; [unrolled: 1-line block ×3, first 2 shown]
	s_min_u32 s8, s28, 0x100
	v_and_b32_e32 v8, 0xc0, v0
	v_sub_u32_e64 v9, s8, v8 clamp
	v_add_u32_e32 v8, 1, v7
	v_cmp_lt_u32_e32 vcc, v8, v9
	v_mov_b32_e32 v8, v6
	s_and_saveexec_b64 s[0:1], vcc
	s_xor_b64 s[2:3], exec, s[0:1]
	s_cbranch_execz .LBB236_109
; %bb.108:
	v_and_b32_e32 v8, 1, v10
	s_waitcnt lgkmcnt(2)
	v_and_b32_e32 v10, 1, v11
	s_waitcnt lgkmcnt(0)
	v_cmp_lt_i64_e32 vcc, v[4:5], v[2:3]
	v_cmp_eq_u32_e64 s[0:1], 1, v10
	s_and_b64 vcc, s[0:1], vcc
	v_cndmask_b32_e64 v6, v6, 1, s[0:1]
	v_cndmask_b32_e32 v2, v2, v4, vcc
	v_cndmask_b32_e32 v3, v3, v5, vcc
	v_cmp_eq_u32_e32 vcc, 1, v8
	v_cndmask_b32_e32 v8, v11, v6, vcc
	v_cndmask_b32_e32 v3, v5, v3, vcc
	;; [unrolled: 1-line block ×3, first 2 shown]
	v_and_b32_e32 v6, 0xff, v8
.LBB236_109:
	s_or_b64 exec, exec, s[2:3]
	v_cmp_gt_u32_e32 vcc, 62, v7
	s_waitcnt lgkmcnt(1)
	v_cndmask_b32_e64 v4, 0, 1, vcc
	v_lshlrev_b32_e32 v4, 1, v4
	s_waitcnt lgkmcnt(0)
	v_add_lshl_u32 v5, v4, v1, 2
	ds_bpermute_b32 v10, v5, v6
	ds_bpermute_b32 v4, v5, v2
	ds_bpermute_b32 v5, v5, v3
	v_add_u32_e32 v11, 2, v7
	v_cmp_lt_u32_e32 vcc, v11, v9
	s_and_saveexec_b64 s[2:3], vcc
	s_cbranch_execz .LBB236_111
; %bb.110:
	s_waitcnt lgkmcnt(2)
	v_and_b32_e32 v11, 1, v10
	s_waitcnt lgkmcnt(0)
	v_cmp_lt_i64_e32 vcc, v[4:5], v[2:3]
	v_cmp_eq_u32_e64 s[0:1], 1, v11
	v_and_b32_e32 v6, 1, v8
	s_and_b64 vcc, s[0:1], vcc
	v_cndmask_b32_e64 v8, v8, 1, s[0:1]
	v_cndmask_b32_e32 v2, v2, v4, vcc
	v_cndmask_b32_e32 v3, v3, v5, vcc
	v_cmp_eq_u32_e32 vcc, 1, v6
	v_cndmask_b32_e32 v8, v10, v8, vcc
	v_cndmask_b32_e32 v3, v5, v3, vcc
	v_cndmask_b32_e32 v2, v4, v2, vcc
	v_and_b32_e32 v6, 0xff, v8
.LBB236_111:
	s_or_b64 exec, exec, s[2:3]
	v_cmp_gt_u32_e32 vcc, 60, v7
	s_waitcnt lgkmcnt(1)
	v_cndmask_b32_e64 v4, 0, 1, vcc
	v_lshlrev_b32_e32 v4, 2, v4
	s_waitcnt lgkmcnt(0)
	v_add_lshl_u32 v5, v4, v1, 2
	ds_bpermute_b32 v10, v5, v6
	ds_bpermute_b32 v4, v5, v2
	ds_bpermute_b32 v5, v5, v3
	v_add_u32_e32 v11, 4, v7
	v_cmp_lt_u32_e32 vcc, v11, v9
	s_and_saveexec_b64 s[2:3], vcc
	s_cbranch_execz .LBB236_113
; %bb.112:
	s_waitcnt lgkmcnt(2)
	v_and_b32_e32 v11, 1, v10
	s_waitcnt lgkmcnt(0)
	v_cmp_lt_i64_e32 vcc, v[4:5], v[2:3]
	v_cmp_eq_u32_e64 s[0:1], 1, v11
	v_and_b32_e32 v6, 1, v8
	s_and_b64 vcc, s[0:1], vcc
	v_cndmask_b32_e64 v8, v8, 1, s[0:1]
	v_cndmask_b32_e32 v2, v2, v4, vcc
	v_cndmask_b32_e32 v3, v3, v5, vcc
	v_cmp_eq_u32_e32 vcc, 1, v6
	v_cndmask_b32_e32 v8, v10, v8, vcc
	v_cndmask_b32_e32 v3, v5, v3, vcc
	v_cndmask_b32_e32 v2, v4, v2, vcc
	v_and_b32_e32 v6, 0xff, v8
.LBB236_113:
	;; [unrolled: 31-line block ×5, first 2 shown]
	s_or_b64 exec, exec, s[2:3]
	v_cmp_eq_u32_e32 vcc, 0, v1
	s_and_saveexec_b64 s[0:1], vcc
	s_cbranch_execz .LBB236_121
; %bb.120:
	s_waitcnt lgkmcnt(1)
	v_lshrrev_b32_e32 v4, 2, v0
	v_and_b32_e32 v4, 48, v4
	ds_write_b8 v4, v8 offset:256
	ds_write_b64 v4, v[2:3] offset:264
.LBB236_121:
	s_or_b64 exec, exec, s[0:1]
	v_cmp_gt_u32_e32 vcc, 4, v0
	s_waitcnt lgkmcnt(0)
	s_barrier
	s_and_saveexec_b64 s[2:3], vcc
	s_cbranch_execz .LBB236_127
; %bb.122:
	v_lshlrev_b32_e32 v2, 4, v1
	ds_read_u8 v7, v2 offset:256
	ds_read_b64 v[2:3], v2 offset:264
	v_and_b32_e32 v8, 3, v1
	v_cmp_ne_u32_e32 vcc, 3, v8
	v_addc_co_u32_e32 v4, vcc, 0, v1, vcc
	s_waitcnt lgkmcnt(1)
	v_and_b32_e32 v6, 0xff, v7
	v_lshlrev_b32_e32 v5, 2, v4
	ds_bpermute_b32 v9, v5, v6
	s_waitcnt lgkmcnt(1)
	ds_bpermute_b32 v4, v5, v2
	ds_bpermute_b32 v5, v5, v3
	s_add_i32 s8, s8, 63
	s_lshr_b32 s12, s8, 6
	v_add_u32_e32 v10, 1, v8
	v_cmp_gt_u32_e32 vcc, s12, v10
	s_and_saveexec_b64 s[8:9], vcc
	s_cbranch_execz .LBB236_124
; %bb.123:
	s_waitcnt lgkmcnt(2)
	v_and_b32_e32 v10, 1, v9
	s_waitcnt lgkmcnt(0)
	v_cmp_lt_i64_e32 vcc, v[4:5], v[2:3]
	v_cmp_eq_u32_e64 s[0:1], 1, v10
	v_and_b32_e32 v6, 1, v7
	s_and_b64 vcc, s[0:1], vcc
	v_cndmask_b32_e64 v7, v7, 1, s[0:1]
	v_cndmask_b32_e32 v2, v2, v4, vcc
	v_cndmask_b32_e32 v3, v3, v5, vcc
	v_cmp_eq_u32_e32 vcc, 1, v6
	v_cndmask_b32_e32 v7, v9, v7, vcc
	v_cndmask_b32_e32 v3, v5, v3, vcc
	;; [unrolled: 1-line block ×3, first 2 shown]
	v_and_b32_e32 v6, 0xff, v7
.LBB236_124:
	s_or_b64 exec, exec, s[8:9]
	v_cmp_gt_u32_e32 vcc, 2, v8
	s_waitcnt lgkmcnt(1)
	v_cndmask_b32_e64 v4, 0, 1, vcc
	v_lshlrev_b32_e32 v4, 1, v4
	s_waitcnt lgkmcnt(0)
	v_add_lshl_u32 v5, v4, v1, 2
	ds_bpermute_b32 v1, v5, v6
	ds_bpermute_b32 v4, v5, v2
	;; [unrolled: 1-line block ×3, first 2 shown]
	v_add_u32_e32 v8, 2, v8
	v_cmp_gt_u32_e32 vcc, s12, v8
	s_and_saveexec_b64 s[8:9], vcc
	s_cbranch_execz .LBB236_126
; %bb.125:
	s_waitcnt lgkmcnt(2)
	v_and_b32_e32 v8, 1, v1
	s_waitcnt lgkmcnt(0)
	v_cmp_lt_i64_e32 vcc, v[4:5], v[2:3]
	v_cmp_eq_u32_e64 s[0:1], 1, v8
	v_and_b32_e32 v6, 1, v7
	s_and_b64 vcc, s[0:1], vcc
	v_cndmask_b32_e64 v7, v7, 1, s[0:1]
	v_cndmask_b32_e32 v2, v2, v4, vcc
	v_cndmask_b32_e32 v3, v3, v5, vcc
	v_cmp_eq_u32_e32 vcc, 1, v6
	v_cndmask_b32_e32 v1, v1, v7, vcc
	v_cndmask_b32_e32 v3, v5, v3, vcc
	;; [unrolled: 1-line block ×3, first 2 shown]
	v_and_b32_e32 v6, 0xff, v1
.LBB236_126:
	s_or_b64 exec, exec, s[8:9]
.LBB236_127:
	s_or_b64 exec, exec, s[2:3]
.LBB236_128:
	v_cmp_eq_u32_e32 vcc, 0, v0
                                        ; implicit-def: $vgpr4_vgpr5
                                        ; implicit-def: $vgpr1
	s_and_saveexec_b64 s[0:1], vcc
	s_xor_b64 s[8:9], exec, s[0:1]
	s_cbranch_execz .LBB236_132
; %bb.129:
	s_cmp_eq_u64 s[22:23], 0
	s_waitcnt lgkmcnt(0)
	v_pk_mov_b32 v[4:5], s[18:19], s[18:19] op_sel:[0,1]
	v_mov_b32_e32 v1, s33
	s_cbranch_scc1 .LBB236_131
; %bb.130:
	v_and_b32_e32 v1, 1, v6
	s_bitcmp1_b32 s33, 0
	v_mov_b32_e32 v4, s33
	v_cmp_eq_u32_e32 vcc, 1, v1
	v_cmp_gt_i64_e64 s[2:3], s[18:19], v[2:3]
	v_cndmask_b32_e64 v1, v4, 1, vcc
	s_cselect_b64 s[0:1], -1, 0
	v_mov_b32_e32 v4, s18
	s_and_b64 vcc, vcc, s[2:3]
	v_mov_b32_e32 v5, s19
	v_cndmask_b32_e32 v4, v4, v2, vcc
	v_cndmask_b32_e32 v5, v5, v3, vcc
	v_cndmask_b32_e64 v1, v6, v1, s[0:1]
	v_cndmask_b32_e64 v5, v3, v5, s[0:1]
	;; [unrolled: 1-line block ×3, first 2 shown]
.LBB236_131:
	s_or_b64 s[10:11], s[10:11], exec
.LBB236_132:
	s_or_b64 exec, exec, s[8:9]
	s_branch .LBB236_208
.LBB236_133:
	s_cmp_gt_i32 s36, 1
	s_cbranch_scc0 .LBB236_153
; %bb.134:
	s_cmp_eq_u32 s36, 2
	s_cbranch_scc0 .LBB236_154
; %bb.135:
	s_mov_b32 s7, 0
	s_lshl_b32 s12, s6, 9
	s_mov_b32 s13, s7
	s_lshr_b64 s[0:1], s[22:23], 9
	s_lshl_b64 s[8:9], s[12:13], 3
	s_add_u32 s2, s24, s8
	s_addc_u32 s3, s25, s9
	s_add_u32 s8, s26, s8
	s_addc_u32 s9, s27, s9
	;; [unrolled: 2-line block ×3, first 2 shown]
	s_cmp_lg_u64 s[0:1], s[6:7]
	s_cbranch_scc0 .LBB236_155
; %bb.136:
	s_waitcnt lgkmcnt(2)
	v_lshlrev_b32_e32 v1, 3, v0
	global_load_dwordx2 v[2:3], v1, s[8:9] offset:2048
	s_waitcnt lgkmcnt(0)
	global_load_dwordx2 v[4:5], v1, s[8:9]
	global_load_dwordx2 v[6:7], v1, s[2:3] offset:2048
	global_load_dwordx2 v[8:9], v1, s[2:3]
	v_mov_b32_e32 v1, s17
	v_add_co_u32_e32 v10, vcc, s16, v0
	v_addc_co_u32_e32 v1, vcc, 0, v1, vcc
	v_add_co_u32_e32 v11, vcc, 0x100, v10
	v_addc_co_u32_e32 v12, vcc, 0, v1, vcc
	s_waitcnt vmcnt(1)
	v_cmp_ne_u64_e32 vcc, v[6:7], v[2:3]
	s_waitcnt vmcnt(0)
	v_cmp_ne_u64_e64 s[0:1], v[8:9], v[4:5]
	v_cndmask_b32_e64 v3, v12, v1, s[0:1]
	v_cndmask_b32_e64 v2, v11, v10, s[0:1]
	s_or_b64 s[0:1], s[0:1], vcc
	v_cndmask_b32_e64 v1, 0, 1, s[0:1]
	v_mov_b32_dpp v4, v2 quad_perm:[1,0,3,2] row_mask:0xf bank_mask:0xf bound_ctrl:1
	v_mov_b32_dpp v5, v3 quad_perm:[1,0,3,2] row_mask:0xf bank_mask:0xf bound_ctrl:1
	;; [unrolled: 1-line block ×3, first 2 shown]
	v_and_b32_e32 v7, 1, v6
	v_cmp_eq_u32_e32 vcc, 1, v7
	s_and_saveexec_b64 s[14:15], vcc
; %bb.137:
	v_cmp_lt_i64_e32 vcc, v[2:3], v[4:5]
	v_cndmask_b32_e64 v6, v6, 1, s[0:1]
	s_and_b64 vcc, s[0:1], vcc
	v_cndmask_b32_e32 v2, v4, v2, vcc
	v_and_b32_e32 v4, 1, v6
	v_cndmask_b32_e32 v3, v5, v3, vcc
	v_cmp_eq_u32_e32 vcc, 1, v4
	s_andn2_b64 s[0:1], s[0:1], exec
	s_and_b64 s[28:29], vcc, exec
	v_and_b32_e32 v1, 0xff, v6
	s_or_b64 s[0:1], s[0:1], s[28:29]
; %bb.138:
	s_or_b64 exec, exec, s[14:15]
	v_mov_b32_dpp v6, v1 quad_perm:[2,3,0,1] row_mask:0xf bank_mask:0xf bound_ctrl:1
	v_and_b32_e32 v7, 1, v6
	v_mov_b32_dpp v4, v2 quad_perm:[2,3,0,1] row_mask:0xf bank_mask:0xf bound_ctrl:1
	v_mov_b32_dpp v5, v3 quad_perm:[2,3,0,1] row_mask:0xf bank_mask:0xf bound_ctrl:1
	v_cmp_eq_u32_e32 vcc, 1, v7
	s_and_saveexec_b64 s[14:15], vcc
; %bb.139:
	v_cmp_lt_i64_e32 vcc, v[2:3], v[4:5]
	v_cndmask_b32_e64 v6, v6, 1, s[0:1]
	s_and_b64 vcc, s[0:1], vcc
	v_cndmask_b32_e32 v2, v4, v2, vcc
	v_and_b32_e32 v4, 1, v6
	v_cndmask_b32_e32 v3, v5, v3, vcc
	v_cmp_eq_u32_e32 vcc, 1, v4
	s_andn2_b64 s[0:1], s[0:1], exec
	s_and_b64 s[28:29], vcc, exec
	v_and_b32_e32 v1, 0xff, v6
	s_or_b64 s[0:1], s[0:1], s[28:29]
; %bb.140:
	s_or_b64 exec, exec, s[14:15]
	v_mov_b32_dpp v6, v1 row_ror:4 row_mask:0xf bank_mask:0xf bound_ctrl:1
	v_and_b32_e32 v7, 1, v6
	v_mov_b32_dpp v4, v2 row_ror:4 row_mask:0xf bank_mask:0xf bound_ctrl:1
	v_mov_b32_dpp v5, v3 row_ror:4 row_mask:0xf bank_mask:0xf bound_ctrl:1
	v_cmp_eq_u32_e32 vcc, 1, v7
	s_and_saveexec_b64 s[14:15], vcc
; %bb.141:
	v_cmp_lt_i64_e32 vcc, v[2:3], v[4:5]
	v_cndmask_b32_e64 v6, v6, 1, s[0:1]
	s_and_b64 vcc, s[0:1], vcc
	v_cndmask_b32_e32 v2, v4, v2, vcc
	v_and_b32_e32 v4, 1, v6
	v_cndmask_b32_e32 v3, v5, v3, vcc
	v_cmp_eq_u32_e32 vcc, 1, v4
	s_andn2_b64 s[0:1], s[0:1], exec
	s_and_b64 s[28:29], vcc, exec
	v_and_b32_e32 v1, 0xff, v6
	s_or_b64 s[0:1], s[0:1], s[28:29]
; %bb.142:
	s_or_b64 exec, exec, s[14:15]
	v_mov_b32_dpp v6, v1 row_ror:8 row_mask:0xf bank_mask:0xf bound_ctrl:1
	v_and_b32_e32 v7, 1, v6
	v_mov_b32_dpp v4, v2 row_ror:8 row_mask:0xf bank_mask:0xf bound_ctrl:1
	v_mov_b32_dpp v5, v3 row_ror:8 row_mask:0xf bank_mask:0xf bound_ctrl:1
	v_cmp_eq_u32_e32 vcc, 1, v7
	s_and_saveexec_b64 s[14:15], vcc
; %bb.143:
	v_cmp_lt_i64_e32 vcc, v[2:3], v[4:5]
	v_cndmask_b32_e64 v6, v6, 1, s[0:1]
	s_and_b64 vcc, s[0:1], vcc
	v_cndmask_b32_e32 v2, v4, v2, vcc
	v_and_b32_e32 v4, 1, v6
	v_cndmask_b32_e32 v3, v5, v3, vcc
	v_cmp_eq_u32_e32 vcc, 1, v4
	s_andn2_b64 s[0:1], s[0:1], exec
	s_and_b64 s[28:29], vcc, exec
	v_and_b32_e32 v1, 0xff, v6
	s_or_b64 s[0:1], s[0:1], s[28:29]
; %bb.144:
	s_or_b64 exec, exec, s[14:15]
	v_mov_b32_dpp v6, v1 row_bcast:15 row_mask:0xf bank_mask:0xf bound_ctrl:1
	v_and_b32_e32 v7, 1, v6
	v_mov_b32_dpp v4, v2 row_bcast:15 row_mask:0xf bank_mask:0xf bound_ctrl:1
	v_mov_b32_dpp v5, v3 row_bcast:15 row_mask:0xf bank_mask:0xf bound_ctrl:1
	v_cmp_eq_u32_e32 vcc, 1, v7
	s_and_saveexec_b64 s[14:15], vcc
; %bb.145:
	v_cmp_lt_i64_e32 vcc, v[2:3], v[4:5]
	v_cndmask_b32_e64 v6, v6, 1, s[0:1]
	s_and_b64 vcc, s[0:1], vcc
	v_cndmask_b32_e32 v2, v4, v2, vcc
	v_and_b32_e32 v4, 1, v6
	v_cndmask_b32_e32 v3, v5, v3, vcc
	v_cmp_eq_u32_e32 vcc, 1, v4
	s_andn2_b64 s[0:1], s[0:1], exec
	s_and_b64 s[28:29], vcc, exec
	v_and_b32_e32 v1, 0xff, v6
	s_or_b64 s[0:1], s[0:1], s[28:29]
; %bb.146:
	s_or_b64 exec, exec, s[14:15]
	v_mov_b32_dpp v6, v1 row_bcast:31 row_mask:0xf bank_mask:0xf bound_ctrl:1
	v_and_b32_e32 v7, 1, v6
	v_mov_b32_dpp v4, v2 row_bcast:31 row_mask:0xf bank_mask:0xf bound_ctrl:1
	v_mov_b32_dpp v5, v3 row_bcast:31 row_mask:0xf bank_mask:0xf bound_ctrl:1
	v_cmp_eq_u32_e32 vcc, 1, v7
	s_and_saveexec_b64 s[14:15], vcc
; %bb.147:
	v_cmp_lt_i64_e32 vcc, v[2:3], v[4:5]
	v_and_b32_e32 v1, 0xff, v6
	s_and_b64 vcc, s[0:1], vcc
	v_cndmask_b32_e32 v2, v4, v2, vcc
	v_cndmask_b32_e32 v3, v5, v3, vcc
	v_cndmask_b32_e64 v1, v1, 1, s[0:1]
; %bb.148:
	s_or_b64 exec, exec, s[14:15]
	v_mbcnt_lo_u32_b32 v4, -1, 0
	v_mbcnt_hi_u32_b32 v4, -1, v4
	v_bfrev_b32_e32 v5, 0.5
	v_lshl_or_b32 v5, v4, 2, v5
	ds_bpermute_b32 v6, v5, v1
	ds_bpermute_b32 v2, v5, v2
	;; [unrolled: 1-line block ×3, first 2 shown]
	v_cmp_eq_u32_e32 vcc, 0, v4
	s_and_saveexec_b64 s[0:1], vcc
	s_cbranch_execz .LBB236_150
; %bb.149:
	v_lshrrev_b32_e32 v1, 2, v0
	v_and_b32_e32 v1, 48, v1
	s_waitcnt lgkmcnt(2)
	ds_write_b8 v1, v6 offset:64
	s_waitcnt lgkmcnt(1)
	ds_write_b64 v1, v[2:3] offset:72
.LBB236_150:
	s_or_b64 exec, exec, s[0:1]
	v_cmp_gt_u32_e32 vcc, 64, v0
	s_waitcnt lgkmcnt(0)
	s_barrier
	s_and_saveexec_b64 s[14:15], vcc
	s_cbranch_execz .LBB236_152
; %bb.151:
	v_and_b32_e32 v1, 3, v4
	v_lshlrev_b32_e32 v2, 4, v1
	ds_read_u8 v5, v2 offset:64
	ds_read_b64 v[2:3], v2 offset:72
	v_cmp_ne_u32_e32 vcc, 3, v1
	v_addc_co_u32_e32 v6, vcc, 0, v4, vcc
	s_waitcnt lgkmcnt(1)
	v_and_b32_e32 v7, 0xff, v5
	v_lshlrev_b32_e32 v8, 2, v6
	ds_bpermute_b32 v9, v8, v7
	s_waitcnt lgkmcnt(1)
	ds_bpermute_b32 v6, v8, v2
	ds_bpermute_b32 v7, v8, v3
	v_and_b32_e32 v8, 1, v5
	s_waitcnt lgkmcnt(2)
	v_and_b32_e32 v10, 1, v9
	v_cmp_eq_u32_e64 s[0:1], 1, v10
	s_waitcnt lgkmcnt(0)
	v_cmp_lt_i64_e32 vcc, v[6:7], v[2:3]
	s_and_b64 vcc, s[0:1], vcc
	v_cndmask_b32_e64 v5, v5, 1, s[0:1]
	v_cndmask_b32_e32 v2, v2, v6, vcc
	v_cndmask_b32_e32 v3, v3, v7, vcc
	v_cmp_eq_u32_e32 vcc, 1, v8
	v_cndmask_b32_e32 v8, v9, v5, vcc
	v_cndmask_b32_e32 v3, v7, v3, vcc
	;; [unrolled: 1-line block ×3, first 2 shown]
	v_cmp_gt_u32_e32 vcc, 2, v1
	v_cndmask_b32_e64 v1, 0, 1, vcc
	v_lshlrev_b32_e32 v1, 1, v1
	v_and_b32_e32 v5, 0xff, v8
	v_add_lshl_u32 v1, v1, v4, 2
	ds_bpermute_b32 v6, v1, v5
	ds_bpermute_b32 v4, v1, v2
	;; [unrolled: 1-line block ×3, first 2 shown]
	v_and_b32_e32 v1, 1, v8
	s_waitcnt lgkmcnt(2)
	v_and_b32_e32 v7, 1, v6
	v_cmp_eq_u32_e64 s[0:1], 1, v7
	s_waitcnt lgkmcnt(0)
	v_cmp_lt_i64_e32 vcc, v[4:5], v[2:3]
	s_and_b64 vcc, s[0:1], vcc
	v_cndmask_b32_e64 v7, v8, 1, s[0:1]
	v_cndmask_b32_e32 v2, v2, v4, vcc
	v_cndmask_b32_e32 v3, v3, v5, vcc
	v_cmp_eq_u32_e32 vcc, 1, v1
	v_cndmask_b32_e32 v1, v6, v7, vcc
	v_cndmask_b32_e32 v3, v5, v3, vcc
	;; [unrolled: 1-line block ×3, first 2 shown]
	v_and_b32_e32 v6, 0xff, v1
.LBB236_152:
	s_or_b64 exec, exec, s[14:15]
	s_branch .LBB236_183
.LBB236_153:
                                        ; implicit-def: $vgpr4_vgpr5
                                        ; implicit-def: $vgpr1
	s_cbranch_execnz .LBB236_188
	s_branch .LBB236_208
.LBB236_154:
                                        ; implicit-def: $vgpr4_vgpr5
                                        ; implicit-def: $vgpr1
	s_branch .LBB236_208
.LBB236_155:
                                        ; implicit-def: $vgpr2_vgpr3
                                        ; implicit-def: $vgpr6
	s_cbranch_execz .LBB236_183
; %bb.156:
	s_sub_i32 s14, s22, s12
	s_waitcnt lgkmcnt(0)
	v_pk_mov_b32 v[4:5], 0, 0
	v_cmp_gt_u32_e32 vcc, s14, v0
	v_mov_b32_e32 v1, 0
	v_pk_mov_b32 v[2:3], v[4:5], v[4:5] op_sel:[0,1]
	v_mov_b32_e32 v7, 0
	s_and_saveexec_b64 s[0:1], vcc
	s_cbranch_execz .LBB236_158
; %bb.157:
	v_lshlrev_b32_e32 v2, 3, v0
	global_load_dwordx2 v[6:7], v2, s[2:3]
	global_load_dwordx2 v[8:9], v2, s[8:9]
	v_mov_b32_e32 v3, s17
	v_add_co_u32_e32 v2, vcc, s16, v0
	v_addc_co_u32_e32 v3, vcc, 0, v3, vcc
	s_waitcnt vmcnt(0)
	v_cmp_ne_u64_e32 vcc, v[6:7], v[8:9]
	v_cndmask_b32_e64 v7, 0, 1, vcc
.LBB236_158:
	s_or_b64 exec, exec, s[0:1]
	v_or_b32_e32 v6, 0x100, v0
	v_cmp_gt_u32_e32 vcc, s14, v6
	s_and_saveexec_b64 s[12:13], vcc
	s_cbranch_execz .LBB236_160
; %bb.159:
	v_lshlrev_b32_e32 v1, 3, v0
	global_load_dwordx2 v[8:9], v1, s[2:3] offset:2048
	global_load_dwordx2 v[10:11], v1, s[8:9] offset:2048
	v_mov_b32_e32 v1, s17
	v_add_co_u32_e64 v4, s[0:1], s16, v6
	v_addc_co_u32_e64 v5, s[0:1], 0, v1, s[0:1]
	s_waitcnt vmcnt(0)
	v_cmp_ne_u64_e64 s[0:1], v[8:9], v[10:11]
	v_cndmask_b32_e64 v1, 0, 1, s[0:1]
.LBB236_160:
	s_or_b64 exec, exec, s[12:13]
	s_and_saveexec_b64 s[2:3], vcc
	s_cbranch_execz .LBB236_162
; %bb.161:
	v_and_b32_e32 v8, 1, v1
	v_cmp_lt_i64_e32 vcc, v[4:5], v[2:3]
	v_cmp_eq_u32_e64 s[0:1], 1, v8
	v_and_b32_e32 v6, 1, v7
	s_and_b64 vcc, s[0:1], vcc
	v_cndmask_b32_e64 v7, v7, 1, s[0:1]
	v_cndmask_b32_e32 v2, v2, v4, vcc
	v_cndmask_b32_e32 v3, v3, v5, vcc
	v_cmp_eq_u32_e32 vcc, 1, v6
	v_cndmask_b32_e32 v7, v1, v7, vcc
	v_cndmask_b32_e32 v3, v5, v3, vcc
	;; [unrolled: 1-line block ×3, first 2 shown]
.LBB236_162:
	s_or_b64 exec, exec, s[2:3]
	v_mbcnt_lo_u32_b32 v1, -1, 0
	v_mbcnt_hi_u32_b32 v1, -1, v1
	v_and_b32_e32 v8, 63, v1
	v_cmp_ne_u32_e32 vcc, 63, v8
	v_addc_co_u32_e32 v4, vcc, 0, v1, vcc
	v_and_b32_e32 v6, 0xffff, v7
	v_lshlrev_b32_e32 v5, 2, v4
	ds_bpermute_b32 v10, v5, v6
	ds_bpermute_b32 v4, v5, v2
	;; [unrolled: 1-line block ×3, first 2 shown]
	s_min_u32 s8, s14, 0x100
	v_and_b32_e32 v9, 0xc0, v0
	v_sub_u32_e64 v9, s8, v9 clamp
	v_add_u32_e32 v11, 1, v8
	v_cmp_lt_u32_e32 vcc, v11, v9
	s_and_saveexec_b64 s[2:3], vcc
	s_cbranch_execz .LBB236_164
; %bb.163:
	s_waitcnt lgkmcnt(2)
	v_and_b32_e32 v11, 1, v10
	s_waitcnt lgkmcnt(0)
	v_cmp_lt_i64_e32 vcc, v[4:5], v[2:3]
	v_cmp_eq_u32_e64 s[0:1], 1, v11
	v_and_b32_e32 v6, 1, v7
	s_and_b64 vcc, s[0:1], vcc
	v_cndmask_b32_e64 v7, v7, 1, s[0:1]
	v_cndmask_b32_e32 v2, v2, v4, vcc
	v_cndmask_b32_e32 v3, v3, v5, vcc
	v_cmp_eq_u32_e32 vcc, 1, v6
	v_cndmask_b32_e32 v7, v10, v7, vcc
	v_cndmask_b32_e32 v3, v5, v3, vcc
	v_cndmask_b32_e32 v2, v4, v2, vcc
	v_and_b32_e32 v6, 0xff, v7
.LBB236_164:
	s_or_b64 exec, exec, s[2:3]
	v_cmp_gt_u32_e32 vcc, 62, v8
	s_waitcnt lgkmcnt(1)
	v_cndmask_b32_e64 v4, 0, 1, vcc
	v_lshlrev_b32_e32 v4, 1, v4
	s_waitcnt lgkmcnt(0)
	v_add_lshl_u32 v5, v4, v1, 2
	ds_bpermute_b32 v10, v5, v6
	ds_bpermute_b32 v4, v5, v2
	ds_bpermute_b32 v5, v5, v3
	v_add_u32_e32 v11, 2, v8
	v_cmp_lt_u32_e32 vcc, v11, v9
	s_and_saveexec_b64 s[2:3], vcc
	s_cbranch_execz .LBB236_166
; %bb.165:
	s_waitcnt lgkmcnt(2)
	v_and_b32_e32 v11, 1, v10
	s_waitcnt lgkmcnt(0)
	v_cmp_lt_i64_e32 vcc, v[4:5], v[2:3]
	v_cmp_eq_u32_e64 s[0:1], 1, v11
	v_and_b32_e32 v6, 1, v7
	s_and_b64 vcc, s[0:1], vcc
	v_cndmask_b32_e64 v7, v7, 1, s[0:1]
	v_cndmask_b32_e32 v2, v2, v4, vcc
	v_cndmask_b32_e32 v3, v3, v5, vcc
	v_cmp_eq_u32_e32 vcc, 1, v6
	v_cndmask_b32_e32 v7, v10, v7, vcc
	v_cndmask_b32_e32 v3, v5, v3, vcc
	v_cndmask_b32_e32 v2, v4, v2, vcc
	v_and_b32_e32 v6, 0xff, v7
.LBB236_166:
	s_or_b64 exec, exec, s[2:3]
	v_cmp_gt_u32_e32 vcc, 60, v8
	s_waitcnt lgkmcnt(1)
	v_cndmask_b32_e64 v4, 0, 1, vcc
	v_lshlrev_b32_e32 v4, 2, v4
	s_waitcnt lgkmcnt(0)
	v_add_lshl_u32 v5, v4, v1, 2
	ds_bpermute_b32 v10, v5, v6
	ds_bpermute_b32 v4, v5, v2
	ds_bpermute_b32 v5, v5, v3
	;; [unrolled: 31-line block ×5, first 2 shown]
	v_add_u32_e32 v8, 32, v8
	v_cmp_lt_u32_e32 vcc, v8, v9
	s_and_saveexec_b64 s[2:3], vcc
	s_cbranch_execz .LBB236_174
; %bb.173:
	s_waitcnt lgkmcnt(2)
	v_and_b32_e32 v8, 1, v10
	s_waitcnt lgkmcnt(0)
	v_cmp_lt_i64_e32 vcc, v[4:5], v[2:3]
	v_cmp_eq_u32_e64 s[0:1], 1, v8
	v_and_b32_e32 v6, 1, v7
	s_and_b64 vcc, s[0:1], vcc
	v_cndmask_b32_e64 v7, v7, 1, s[0:1]
	v_cndmask_b32_e32 v2, v2, v4, vcc
	v_cndmask_b32_e32 v3, v3, v5, vcc
	v_cmp_eq_u32_e32 vcc, 1, v6
	v_cndmask_b32_e32 v7, v10, v7, vcc
	v_cndmask_b32_e32 v3, v5, v3, vcc
	;; [unrolled: 1-line block ×3, first 2 shown]
	v_and_b32_e32 v6, 0xff, v7
.LBB236_174:
	s_or_b64 exec, exec, s[2:3]
	v_cmp_eq_u32_e32 vcc, 0, v1
	s_and_saveexec_b64 s[0:1], vcc
	s_cbranch_execz .LBB236_176
; %bb.175:
	s_waitcnt lgkmcnt(1)
	v_lshrrev_b32_e32 v4, 2, v0
	v_and_b32_e32 v4, 48, v4
	ds_write_b8 v4, v7 offset:256
	ds_write_b64 v4, v[2:3] offset:264
.LBB236_176:
	s_or_b64 exec, exec, s[0:1]
	v_cmp_gt_u32_e32 vcc, 4, v0
	s_waitcnt lgkmcnt(0)
	s_barrier
	s_and_saveexec_b64 s[2:3], vcc
	s_cbranch_execz .LBB236_182
; %bb.177:
	v_lshlrev_b32_e32 v2, 4, v1
	ds_read_u8 v7, v2 offset:256
	ds_read_b64 v[2:3], v2 offset:264
	v_and_b32_e32 v8, 3, v1
	v_cmp_ne_u32_e32 vcc, 3, v8
	v_addc_co_u32_e32 v4, vcc, 0, v1, vcc
	s_waitcnt lgkmcnt(1)
	v_and_b32_e32 v6, 0xff, v7
	v_lshlrev_b32_e32 v5, 2, v4
	ds_bpermute_b32 v9, v5, v6
	s_waitcnt lgkmcnt(1)
	ds_bpermute_b32 v4, v5, v2
	ds_bpermute_b32 v5, v5, v3
	s_add_i32 s8, s8, 63
	s_lshr_b32 s12, s8, 6
	v_add_u32_e32 v10, 1, v8
	v_cmp_gt_u32_e32 vcc, s12, v10
	s_and_saveexec_b64 s[8:9], vcc
	s_cbranch_execz .LBB236_179
; %bb.178:
	s_waitcnt lgkmcnt(2)
	v_and_b32_e32 v10, 1, v9
	s_waitcnt lgkmcnt(0)
	v_cmp_lt_i64_e32 vcc, v[4:5], v[2:3]
	v_cmp_eq_u32_e64 s[0:1], 1, v10
	v_and_b32_e32 v6, 1, v7
	s_and_b64 vcc, s[0:1], vcc
	v_cndmask_b32_e64 v7, v7, 1, s[0:1]
	v_cndmask_b32_e32 v2, v2, v4, vcc
	v_cndmask_b32_e32 v3, v3, v5, vcc
	v_cmp_eq_u32_e32 vcc, 1, v6
	v_cndmask_b32_e32 v7, v9, v7, vcc
	v_cndmask_b32_e32 v3, v5, v3, vcc
	;; [unrolled: 1-line block ×3, first 2 shown]
	v_and_b32_e32 v6, 0xff, v7
.LBB236_179:
	s_or_b64 exec, exec, s[8:9]
	v_cmp_gt_u32_e32 vcc, 2, v8
	s_waitcnt lgkmcnt(1)
	v_cndmask_b32_e64 v4, 0, 1, vcc
	v_lshlrev_b32_e32 v4, 1, v4
	s_waitcnt lgkmcnt(0)
	v_add_lshl_u32 v5, v4, v1, 2
	ds_bpermute_b32 v1, v5, v6
	ds_bpermute_b32 v4, v5, v2
	;; [unrolled: 1-line block ×3, first 2 shown]
	v_add_u32_e32 v8, 2, v8
	v_cmp_gt_u32_e32 vcc, s12, v8
	s_and_saveexec_b64 s[8:9], vcc
	s_cbranch_execz .LBB236_181
; %bb.180:
	s_waitcnt lgkmcnt(2)
	v_and_b32_e32 v8, 1, v1
	s_waitcnt lgkmcnt(0)
	v_cmp_lt_i64_e32 vcc, v[4:5], v[2:3]
	v_cmp_eq_u32_e64 s[0:1], 1, v8
	v_and_b32_e32 v6, 1, v7
	s_and_b64 vcc, s[0:1], vcc
	v_cndmask_b32_e64 v7, v7, 1, s[0:1]
	v_cndmask_b32_e32 v2, v2, v4, vcc
	v_cndmask_b32_e32 v3, v3, v5, vcc
	v_cmp_eq_u32_e32 vcc, 1, v6
	v_cndmask_b32_e32 v1, v1, v7, vcc
	v_cndmask_b32_e32 v3, v5, v3, vcc
	;; [unrolled: 1-line block ×3, first 2 shown]
	v_and_b32_e32 v6, 0xff, v1
.LBB236_181:
	s_or_b64 exec, exec, s[8:9]
.LBB236_182:
	s_or_b64 exec, exec, s[2:3]
.LBB236_183:
	v_cmp_eq_u32_e32 vcc, 0, v0
                                        ; implicit-def: $vgpr4_vgpr5
                                        ; implicit-def: $vgpr1
	s_and_saveexec_b64 s[0:1], vcc
	s_xor_b64 s[8:9], exec, s[0:1]
	s_cbranch_execz .LBB236_187
; %bb.184:
	s_cmp_eq_u64 s[22:23], 0
	s_waitcnt lgkmcnt(0)
	v_pk_mov_b32 v[4:5], s[18:19], s[18:19] op_sel:[0,1]
	v_mov_b32_e32 v1, s33
	s_cbranch_scc1 .LBB236_186
; %bb.185:
	v_and_b32_e32 v1, 1, v6
	s_bitcmp1_b32 s33, 0
	v_mov_b32_e32 v4, s33
	v_cmp_eq_u32_e32 vcc, 1, v1
	v_cmp_gt_i64_e64 s[2:3], s[18:19], v[2:3]
	v_cndmask_b32_e64 v1, v4, 1, vcc
	s_cselect_b64 s[0:1], -1, 0
	v_mov_b32_e32 v4, s18
	s_and_b64 vcc, vcc, s[2:3]
	v_mov_b32_e32 v5, s19
	v_cndmask_b32_e32 v4, v4, v2, vcc
	v_cndmask_b32_e32 v5, v5, v3, vcc
	v_cndmask_b32_e64 v1, v6, v1, s[0:1]
	v_cndmask_b32_e64 v5, v3, v5, s[0:1]
	;; [unrolled: 1-line block ×3, first 2 shown]
.LBB236_186:
	s_or_b64 s[10:11], s[10:11], exec
.LBB236_187:
	s_or_b64 exec, exec, s[8:9]
	s_branch .LBB236_208
.LBB236_188:
	s_cmp_eq_u32 s36, 1
	s_cbranch_scc0 .LBB236_207
; %bb.189:
	s_mov_b32 s3, 0
	s_lshl_b32 s2, s6, 8
	s_mov_b32 s7, s3
	s_lshr_b64 s[0:1], s[22:23], 8
	s_cmp_lg_u64 s[0:1], s[6:7]
	s_cbranch_scc0 .LBB236_211
; %bb.190:
	s_lshl_b64 s[0:1], s[2:3], 3
	s_add_u32 s8, s24, s0
	s_addc_u32 s9, s25, s1
	s_add_u32 s0, s26, s0
	s_waitcnt lgkmcnt(2)
	v_lshlrev_b32_e32 v1, 3, v0
	s_addc_u32 s1, s27, s1
	global_load_dwordx2 v[6:7], v1, s[8:9]
	global_load_dwordx2 v[8:9], v1, s[0:1]
	s_add_u32 s0, s20, s2
	s_addc_u32 s1, s21, 0
	v_mov_b32_e32 v1, s1
	v_add_co_u32_e32 v2, vcc, s0, v0
	v_addc_co_u32_e32 v3, vcc, 0, v1, vcc
	s_waitcnt lgkmcnt(1)
	v_mov_b32_dpp v4, v2 quad_perm:[1,0,3,2] row_mask:0xf bank_mask:0xf bound_ctrl:1
	s_waitcnt lgkmcnt(0)
	v_mov_b32_dpp v5, v3 quad_perm:[1,0,3,2] row_mask:0xf bank_mask:0xf bound_ctrl:1
	s_waitcnt vmcnt(0)
	v_cmp_ne_u64_e32 vcc, v[6:7], v[8:9]
	v_cndmask_b32_e64 v1, 0, 1, vcc
	v_cndmask_b32_e64 v6, 0, 1, vcc
	s_nop 0
	v_mov_b32_dpp v1, v1 quad_perm:[1,0,3,2] row_mask:0xf bank_mask:0xf bound_ctrl:1
	v_and_b32_e32 v7, 1, v1
	v_cmp_eq_u32_e64 s[0:1], 1, v7
	s_and_saveexec_b64 s[8:9], s[0:1]
; %bb.191:
	v_cmp_lt_i64_e64 s[0:1], v[2:3], v[4:5]
	v_cndmask_b32_e64 v6, v1, 1, vcc
	s_and_b64 vcc, vcc, s[0:1]
	v_cndmask_b32_e32 v3, v5, v3, vcc
	v_cndmask_b32_e32 v2, v4, v2, vcc
; %bb.192:
	s_or_b64 exec, exec, s[8:9]
	v_and_b32_e32 v1, 0xff, v6
	v_and_b32_e32 v6, 1, v6
	v_mov_b32_dpp v4, v2 quad_perm:[2,3,0,1] row_mask:0xf bank_mask:0xf bound_ctrl:1
	v_mov_b32_dpp v7, v1 quad_perm:[2,3,0,1] row_mask:0xf bank_mask:0xf bound_ctrl:1
	v_and_b32_e32 v8, 1, v7
	v_mov_b32_dpp v5, v3 quad_perm:[2,3,0,1] row_mask:0xf bank_mask:0xf bound_ctrl:1
	v_cmp_eq_u32_e32 vcc, 1, v8
	v_cmp_eq_u32_e64 s[0:1], 1, v6
	s_and_saveexec_b64 s[8:9], vcc
; %bb.193:
	v_cmp_lt_i64_e32 vcc, v[2:3], v[4:5]
	v_cndmask_b32_e64 v6, v7, 1, s[0:1]
	s_and_b64 vcc, s[0:1], vcc
	v_cndmask_b32_e32 v2, v4, v2, vcc
	v_and_b32_e32 v4, 1, v6
	v_cndmask_b32_e32 v3, v5, v3, vcc
	v_cmp_eq_u32_e32 vcc, 1, v4
	s_andn2_b64 s[0:1], s[0:1], exec
	s_and_b64 s[12:13], vcc, exec
	v_and_b32_e32 v1, 0xff, v6
	s_or_b64 s[0:1], s[0:1], s[12:13]
; %bb.194:
	s_or_b64 exec, exec, s[8:9]
	v_mov_b32_dpp v6, v1 row_ror:4 row_mask:0xf bank_mask:0xf bound_ctrl:1
	v_and_b32_e32 v7, 1, v6
	v_mov_b32_dpp v4, v2 row_ror:4 row_mask:0xf bank_mask:0xf bound_ctrl:1
	v_mov_b32_dpp v5, v3 row_ror:4 row_mask:0xf bank_mask:0xf bound_ctrl:1
	v_cmp_eq_u32_e32 vcc, 1, v7
	s_and_saveexec_b64 s[8:9], vcc
; %bb.195:
	v_cmp_lt_i64_e32 vcc, v[2:3], v[4:5]
	v_cndmask_b32_e64 v6, v6, 1, s[0:1]
	s_and_b64 vcc, s[0:1], vcc
	v_cndmask_b32_e32 v2, v4, v2, vcc
	v_and_b32_e32 v4, 1, v6
	v_cndmask_b32_e32 v3, v5, v3, vcc
	v_cmp_eq_u32_e32 vcc, 1, v4
	s_andn2_b64 s[0:1], s[0:1], exec
	s_and_b64 s[12:13], vcc, exec
	v_and_b32_e32 v1, 0xff, v6
	s_or_b64 s[0:1], s[0:1], s[12:13]
; %bb.196:
	s_or_b64 exec, exec, s[8:9]
	v_mov_b32_dpp v6, v1 row_ror:8 row_mask:0xf bank_mask:0xf bound_ctrl:1
	v_and_b32_e32 v7, 1, v6
	v_mov_b32_dpp v4, v2 row_ror:8 row_mask:0xf bank_mask:0xf bound_ctrl:1
	v_mov_b32_dpp v5, v3 row_ror:8 row_mask:0xf bank_mask:0xf bound_ctrl:1
	v_cmp_eq_u32_e32 vcc, 1, v7
	s_and_saveexec_b64 s[8:9], vcc
; %bb.197:
	v_cmp_lt_i64_e32 vcc, v[2:3], v[4:5]
	v_cndmask_b32_e64 v6, v6, 1, s[0:1]
	s_and_b64 vcc, s[0:1], vcc
	v_cndmask_b32_e32 v2, v4, v2, vcc
	v_and_b32_e32 v4, 1, v6
	v_cndmask_b32_e32 v3, v5, v3, vcc
	v_cmp_eq_u32_e32 vcc, 1, v4
	s_andn2_b64 s[0:1], s[0:1], exec
	s_and_b64 s[12:13], vcc, exec
	v_and_b32_e32 v1, 0xff, v6
	s_or_b64 s[0:1], s[0:1], s[12:13]
; %bb.198:
	s_or_b64 exec, exec, s[8:9]
	v_mov_b32_dpp v6, v1 row_bcast:15 row_mask:0xf bank_mask:0xf bound_ctrl:1
	v_and_b32_e32 v7, 1, v6
	v_mov_b32_dpp v4, v2 row_bcast:15 row_mask:0xf bank_mask:0xf bound_ctrl:1
	v_mov_b32_dpp v5, v3 row_bcast:15 row_mask:0xf bank_mask:0xf bound_ctrl:1
	v_cmp_eq_u32_e32 vcc, 1, v7
	s_and_saveexec_b64 s[8:9], vcc
; %bb.199:
	v_cmp_lt_i64_e32 vcc, v[2:3], v[4:5]
	v_cndmask_b32_e64 v6, v6, 1, s[0:1]
	s_and_b64 vcc, s[0:1], vcc
	v_cndmask_b32_e32 v2, v4, v2, vcc
	v_and_b32_e32 v4, 1, v6
	v_cndmask_b32_e32 v3, v5, v3, vcc
	v_cmp_eq_u32_e32 vcc, 1, v4
	s_andn2_b64 s[0:1], s[0:1], exec
	s_and_b64 s[12:13], vcc, exec
	v_and_b32_e32 v1, 0xff, v6
	s_or_b64 s[0:1], s[0:1], s[12:13]
; %bb.200:
	s_or_b64 exec, exec, s[8:9]
	v_mov_b32_dpp v6, v1 row_bcast:31 row_mask:0xf bank_mask:0xf bound_ctrl:1
	v_and_b32_e32 v7, 1, v6
	v_mov_b32_dpp v4, v2 row_bcast:31 row_mask:0xf bank_mask:0xf bound_ctrl:1
	v_mov_b32_dpp v5, v3 row_bcast:31 row_mask:0xf bank_mask:0xf bound_ctrl:1
	v_cmp_eq_u32_e32 vcc, 1, v7
	s_and_saveexec_b64 s[8:9], vcc
; %bb.201:
	v_cmp_lt_i64_e32 vcc, v[2:3], v[4:5]
	v_and_b32_e32 v1, 0xff, v6
	s_and_b64 vcc, s[0:1], vcc
	v_cndmask_b32_e32 v2, v4, v2, vcc
	v_cndmask_b32_e32 v3, v5, v3, vcc
	v_cndmask_b32_e64 v1, v1, 1, s[0:1]
; %bb.202:
	s_or_b64 exec, exec, s[8:9]
	v_mbcnt_lo_u32_b32 v4, -1, 0
	v_mbcnt_hi_u32_b32 v4, -1, v4
	v_bfrev_b32_e32 v5, 0.5
	v_lshl_or_b32 v5, v4, 2, v5
	ds_bpermute_b32 v6, v5, v1
	ds_bpermute_b32 v2, v5, v2
	;; [unrolled: 1-line block ×3, first 2 shown]
	v_cmp_eq_u32_e32 vcc, 0, v4
	s_and_saveexec_b64 s[0:1], vcc
	s_cbranch_execz .LBB236_204
; %bb.203:
	v_lshrrev_b32_e32 v1, 2, v0
	v_and_b32_e32 v1, 48, v1
	s_waitcnt lgkmcnt(2)
	ds_write_b8 v1, v6
	s_waitcnt lgkmcnt(1)
	ds_write_b64 v1, v[2:3] offset:8
.LBB236_204:
	s_or_b64 exec, exec, s[0:1]
	v_cmp_gt_u32_e32 vcc, 64, v0
	s_waitcnt lgkmcnt(0)
	s_barrier
	s_and_saveexec_b64 s[8:9], vcc
	s_cbranch_execz .LBB236_206
; %bb.205:
	v_and_b32_e32 v1, 3, v4
	v_lshlrev_b32_e32 v2, 4, v1
	ds_read_u8 v5, v2
	ds_read_b64 v[2:3], v2 offset:8
	v_cmp_ne_u32_e32 vcc, 3, v1
	v_addc_co_u32_e32 v6, vcc, 0, v4, vcc
	s_waitcnt lgkmcnt(1)
	v_and_b32_e32 v7, 0xff, v5
	v_lshlrev_b32_e32 v8, 2, v6
	ds_bpermute_b32 v9, v8, v7
	s_waitcnt lgkmcnt(1)
	ds_bpermute_b32 v6, v8, v2
	ds_bpermute_b32 v7, v8, v3
	v_and_b32_e32 v8, 1, v5
	s_waitcnt lgkmcnt(2)
	v_and_b32_e32 v10, 1, v9
	v_cmp_eq_u32_e64 s[0:1], 1, v10
	s_waitcnt lgkmcnt(0)
	v_cmp_lt_i64_e32 vcc, v[6:7], v[2:3]
	s_and_b64 vcc, s[0:1], vcc
	v_cndmask_b32_e64 v5, v5, 1, s[0:1]
	v_cndmask_b32_e32 v2, v2, v6, vcc
	v_cndmask_b32_e32 v3, v3, v7, vcc
	v_cmp_eq_u32_e32 vcc, 1, v8
	v_cndmask_b32_e32 v8, v9, v5, vcc
	v_cndmask_b32_e32 v3, v7, v3, vcc
	;; [unrolled: 1-line block ×3, first 2 shown]
	v_cmp_gt_u32_e32 vcc, 2, v1
	v_cndmask_b32_e64 v1, 0, 1, vcc
	v_lshlrev_b32_e32 v1, 1, v1
	v_and_b32_e32 v5, 0xff, v8
	v_add_lshl_u32 v1, v1, v4, 2
	ds_bpermute_b32 v6, v1, v5
	ds_bpermute_b32 v4, v1, v2
	;; [unrolled: 1-line block ×3, first 2 shown]
	v_and_b32_e32 v1, 1, v8
	s_waitcnt lgkmcnt(2)
	v_and_b32_e32 v7, 1, v6
	v_cmp_eq_u32_e64 s[0:1], 1, v7
	s_waitcnt lgkmcnt(0)
	v_cmp_lt_i64_e32 vcc, v[4:5], v[2:3]
	s_and_b64 vcc, s[0:1], vcc
	v_cndmask_b32_e64 v7, v8, 1, s[0:1]
	v_cndmask_b32_e32 v2, v2, v4, vcc
	v_cndmask_b32_e32 v3, v3, v5, vcc
	v_cmp_eq_u32_e32 vcc, 1, v1
	v_cndmask_b32_e32 v1, v6, v7, vcc
	v_cndmask_b32_e32 v3, v5, v3, vcc
	;; [unrolled: 1-line block ×3, first 2 shown]
	v_and_b32_e32 v6, 0xff, v1
.LBB236_206:
	s_or_b64 exec, exec, s[8:9]
	s_branch .LBB236_235
.LBB236_207:
                                        ; implicit-def: $vgpr4_vgpr5
                                        ; implicit-def: $vgpr1
                                        ; implicit-def: $sgpr6_sgpr7
.LBB236_208:
	s_and_saveexec_b64 s[0:1], s[10:11]
	s_cbranch_execz .LBB236_210
.LBB236_209:
	s_load_dwordx2 s[0:1], s[4:5], 0x38
	s_lshl_b64 s[2:3], s[6:7], 4
	v_mov_b32_e32 v0, 0
	s_waitcnt lgkmcnt(0)
	s_add_u32 s0, s0, s2
	s_addc_u32 s1, s1, s3
	global_store_byte v0, v1, s[0:1]
	global_store_dwordx2 v0, v[4:5], s[0:1] offset:8
.LBB236_210:
	s_endpgm
.LBB236_211:
                                        ; implicit-def: $vgpr2_vgpr3
                                        ; implicit-def: $vgpr6
	s_cbranch_execz .LBB236_235
; %bb.212:
	s_sub_i32 s8, s22, s2
	v_cmp_gt_u32_e32 vcc, s8, v0
	v_pk_mov_b32 v[2:3], 0, 0
	v_mov_b32_e32 v7, 0
	s_and_saveexec_b64 s[0:1], vcc
	s_cbranch_execz .LBB236_214
; %bb.213:
	s_lshl_b64 s[12:13], s[2:3], 3
	s_add_u32 s14, s26, s12
	s_addc_u32 s15, s27, s13
	s_add_u32 s12, s24, s12
	s_addc_u32 s13, s25, s13
	s_waitcnt lgkmcnt(2)
	v_lshlrev_b32_e32 v1, 3, v0
	s_waitcnt lgkmcnt(0)
	global_load_dwordx2 v[4:5], v1, s[12:13]
	global_load_dwordx2 v[6:7], v1, s[14:15]
	s_add_u32 s2, s20, s2
	s_addc_u32 s3, s21, 0
	v_mov_b32_e32 v1, s3
	v_add_co_u32_e32 v2, vcc, s2, v0
	v_addc_co_u32_e32 v3, vcc, 0, v1, vcc
	s_waitcnt vmcnt(0)
	v_cmp_ne_u64_e32 vcc, v[4:5], v[6:7]
	v_cndmask_b32_e64 v7, 0, 1, vcc
.LBB236_214:
	s_or_b64 exec, exec, s[0:1]
	s_waitcnt lgkmcnt(2)
	v_mbcnt_lo_u32_b32 v1, -1, 0
	v_mbcnt_hi_u32_b32 v1, -1, v1
	v_and_b32_e32 v8, 63, v1
	v_cmp_ne_u32_e32 vcc, 63, v8
	s_waitcnt lgkmcnt(1)
	v_addc_co_u32_e32 v4, vcc, 0, v1, vcc
	v_and_b32_e32 v6, 0xffff, v7
	s_waitcnt lgkmcnt(0)
	v_lshlrev_b32_e32 v5, 2, v4
	ds_bpermute_b32 v10, v5, v6
	ds_bpermute_b32 v4, v5, v2
	ds_bpermute_b32 v5, v5, v3
	s_min_u32 s8, s8, 0x100
	v_and_b32_e32 v9, 0xc0, v0
	v_sub_u32_e64 v9, s8, v9 clamp
	v_add_u32_e32 v11, 1, v8
	v_cmp_lt_u32_e32 vcc, v11, v9
	s_and_saveexec_b64 s[2:3], vcc
	s_cbranch_execz .LBB236_216
; %bb.215:
	s_waitcnt lgkmcnt(2)
	v_and_b32_e32 v11, 1, v10
	s_waitcnt lgkmcnt(0)
	v_cmp_lt_i64_e32 vcc, v[4:5], v[2:3]
	v_cmp_eq_u32_e64 s[0:1], 1, v11
	v_and_b32_e32 v6, 1, v7
	s_and_b64 vcc, s[0:1], vcc
	v_cndmask_b32_e64 v7, v7, 1, s[0:1]
	v_cndmask_b32_e32 v2, v2, v4, vcc
	v_cndmask_b32_e32 v3, v3, v5, vcc
	v_cmp_eq_u32_e32 vcc, 1, v6
	v_cndmask_b32_e32 v7, v10, v7, vcc
	v_cndmask_b32_e32 v3, v5, v3, vcc
	v_cndmask_b32_e32 v2, v4, v2, vcc
	v_and_b32_e32 v6, 0xff, v7
.LBB236_216:
	s_or_b64 exec, exec, s[2:3]
	v_cmp_gt_u32_e32 vcc, 62, v8
	s_waitcnt lgkmcnt(1)
	v_cndmask_b32_e64 v4, 0, 1, vcc
	v_lshlrev_b32_e32 v4, 1, v4
	s_waitcnt lgkmcnt(0)
	v_add_lshl_u32 v5, v4, v1, 2
	ds_bpermute_b32 v10, v5, v6
	ds_bpermute_b32 v4, v5, v2
	ds_bpermute_b32 v5, v5, v3
	v_add_u32_e32 v11, 2, v8
	v_cmp_lt_u32_e32 vcc, v11, v9
	s_and_saveexec_b64 s[2:3], vcc
	s_cbranch_execz .LBB236_218
; %bb.217:
	s_waitcnt lgkmcnt(2)
	v_and_b32_e32 v11, 1, v10
	s_waitcnt lgkmcnt(0)
	v_cmp_lt_i64_e32 vcc, v[4:5], v[2:3]
	v_cmp_eq_u32_e64 s[0:1], 1, v11
	v_and_b32_e32 v6, 1, v7
	s_and_b64 vcc, s[0:1], vcc
	v_cndmask_b32_e64 v7, v7, 1, s[0:1]
	v_cndmask_b32_e32 v2, v2, v4, vcc
	v_cndmask_b32_e32 v3, v3, v5, vcc
	v_cmp_eq_u32_e32 vcc, 1, v6
	v_cndmask_b32_e32 v7, v10, v7, vcc
	v_cndmask_b32_e32 v3, v5, v3, vcc
	v_cndmask_b32_e32 v2, v4, v2, vcc
	v_and_b32_e32 v6, 0xff, v7
.LBB236_218:
	s_or_b64 exec, exec, s[2:3]
	v_cmp_gt_u32_e32 vcc, 60, v8
	s_waitcnt lgkmcnt(1)
	v_cndmask_b32_e64 v4, 0, 1, vcc
	v_lshlrev_b32_e32 v4, 2, v4
	s_waitcnt lgkmcnt(0)
	v_add_lshl_u32 v5, v4, v1, 2
	ds_bpermute_b32 v10, v5, v6
	ds_bpermute_b32 v4, v5, v2
	ds_bpermute_b32 v5, v5, v3
	;; [unrolled: 31-line block ×5, first 2 shown]
	v_add_u32_e32 v8, 32, v8
	v_cmp_lt_u32_e32 vcc, v8, v9
	s_and_saveexec_b64 s[2:3], vcc
	s_cbranch_execz .LBB236_226
; %bb.225:
	s_waitcnt lgkmcnt(2)
	v_and_b32_e32 v8, 1, v10
	s_waitcnt lgkmcnt(0)
	v_cmp_lt_i64_e32 vcc, v[4:5], v[2:3]
	v_cmp_eq_u32_e64 s[0:1], 1, v8
	v_and_b32_e32 v6, 1, v7
	s_and_b64 vcc, s[0:1], vcc
	v_cndmask_b32_e64 v7, v7, 1, s[0:1]
	v_cndmask_b32_e32 v2, v2, v4, vcc
	v_cndmask_b32_e32 v3, v3, v5, vcc
	v_cmp_eq_u32_e32 vcc, 1, v6
	v_cndmask_b32_e32 v7, v10, v7, vcc
	v_cndmask_b32_e32 v3, v5, v3, vcc
	v_cndmask_b32_e32 v2, v4, v2, vcc
	v_and_b32_e32 v6, 0xff, v7
.LBB236_226:
	s_or_b64 exec, exec, s[2:3]
	v_cmp_eq_u32_e32 vcc, 0, v1
	s_and_saveexec_b64 s[0:1], vcc
	s_cbranch_execz .LBB236_228
; %bb.227:
	s_waitcnt lgkmcnt(1)
	v_lshrrev_b32_e32 v4, 2, v0
	v_and_b32_e32 v4, 48, v4
	ds_write_b8 v4, v7 offset:256
	ds_write_b64 v4, v[2:3] offset:264
.LBB236_228:
	s_or_b64 exec, exec, s[0:1]
	v_cmp_gt_u32_e32 vcc, 4, v0
	s_waitcnt lgkmcnt(0)
	s_barrier
	s_and_saveexec_b64 s[2:3], vcc
	s_cbranch_execz .LBB236_234
; %bb.229:
	v_lshlrev_b32_e32 v2, 4, v1
	ds_read_u8 v7, v2 offset:256
	ds_read_b64 v[2:3], v2 offset:264
	v_and_b32_e32 v8, 3, v1
	v_cmp_ne_u32_e32 vcc, 3, v8
	v_addc_co_u32_e32 v4, vcc, 0, v1, vcc
	s_waitcnt lgkmcnt(1)
	v_and_b32_e32 v6, 0xff, v7
	v_lshlrev_b32_e32 v5, 2, v4
	ds_bpermute_b32 v9, v5, v6
	s_waitcnt lgkmcnt(1)
	ds_bpermute_b32 v4, v5, v2
	ds_bpermute_b32 v5, v5, v3
	s_add_i32 s8, s8, 63
	s_lshr_b32 s12, s8, 6
	v_add_u32_e32 v10, 1, v8
	v_cmp_gt_u32_e32 vcc, s12, v10
	s_and_saveexec_b64 s[8:9], vcc
	s_cbranch_execz .LBB236_231
; %bb.230:
	s_waitcnt lgkmcnt(2)
	v_and_b32_e32 v10, 1, v9
	s_waitcnt lgkmcnt(0)
	v_cmp_lt_i64_e32 vcc, v[4:5], v[2:3]
	v_cmp_eq_u32_e64 s[0:1], 1, v10
	v_and_b32_e32 v6, 1, v7
	s_and_b64 vcc, s[0:1], vcc
	v_cndmask_b32_e64 v7, v7, 1, s[0:1]
	v_cndmask_b32_e32 v2, v2, v4, vcc
	v_cndmask_b32_e32 v3, v3, v5, vcc
	v_cmp_eq_u32_e32 vcc, 1, v6
	v_cndmask_b32_e32 v7, v9, v7, vcc
	v_cndmask_b32_e32 v3, v5, v3, vcc
	;; [unrolled: 1-line block ×3, first 2 shown]
	v_and_b32_e32 v6, 0xff, v7
.LBB236_231:
	s_or_b64 exec, exec, s[8:9]
	v_cmp_gt_u32_e32 vcc, 2, v8
	s_waitcnt lgkmcnt(1)
	v_cndmask_b32_e64 v4, 0, 1, vcc
	v_lshlrev_b32_e32 v4, 1, v4
	s_waitcnt lgkmcnt(0)
	v_add_lshl_u32 v5, v4, v1, 2
	ds_bpermute_b32 v1, v5, v6
	ds_bpermute_b32 v4, v5, v2
	ds_bpermute_b32 v5, v5, v3
	v_add_u32_e32 v8, 2, v8
	v_cmp_gt_u32_e32 vcc, s12, v8
	s_and_saveexec_b64 s[8:9], vcc
	s_cbranch_execz .LBB236_233
; %bb.232:
	s_waitcnt lgkmcnt(2)
	v_and_b32_e32 v8, 1, v1
	s_waitcnt lgkmcnt(0)
	v_cmp_lt_i64_e32 vcc, v[4:5], v[2:3]
	v_cmp_eq_u32_e64 s[0:1], 1, v8
	v_and_b32_e32 v6, 1, v7
	s_and_b64 vcc, s[0:1], vcc
	v_cndmask_b32_e64 v7, v7, 1, s[0:1]
	v_cndmask_b32_e32 v2, v2, v4, vcc
	v_cndmask_b32_e32 v3, v3, v5, vcc
	v_cmp_eq_u32_e32 vcc, 1, v6
	v_cndmask_b32_e32 v1, v1, v7, vcc
	v_cndmask_b32_e32 v3, v5, v3, vcc
	;; [unrolled: 1-line block ×3, first 2 shown]
	v_and_b32_e32 v6, 0xff, v1
.LBB236_233:
	s_or_b64 exec, exec, s[8:9]
.LBB236_234:
	s_or_b64 exec, exec, s[2:3]
.LBB236_235:
	v_cmp_eq_u32_e32 vcc, 0, v0
                                        ; implicit-def: $vgpr4_vgpr5
                                        ; implicit-def: $vgpr1
	s_and_saveexec_b64 s[8:9], vcc
	s_cbranch_execz .LBB236_239
; %bb.236:
	s_cmp_eq_u64 s[22:23], 0
	s_waitcnt lgkmcnt(0)
	v_pk_mov_b32 v[4:5], s[18:19], s[18:19] op_sel:[0,1]
	v_mov_b32_e32 v1, s33
	s_cbranch_scc1 .LBB236_238
; %bb.237:
	v_and_b32_e32 v0, 1, v6
	s_bitcmp1_b32 s33, 0
	v_mov_b32_e32 v1, s33
	v_cmp_eq_u32_e32 vcc, 1, v0
	v_cmp_gt_i64_e64 s[2:3], s[18:19], v[2:3]
	v_cndmask_b32_e64 v0, v1, 1, vcc
	s_cselect_b64 s[0:1], -1, 0
	v_mov_b32_e32 v1, s18
	s_and_b64 vcc, vcc, s[2:3]
	v_cndmask_b32_e32 v4, v1, v2, vcc
	v_mov_b32_e32 v1, s19
	v_cndmask_b32_e32 v5, v1, v3, vcc
	v_cndmask_b32_e64 v1, v6, v0, s[0:1]
	v_cndmask_b32_e64 v5, v3, v5, s[0:1]
	;; [unrolled: 1-line block ×3, first 2 shown]
.LBB236_238:
	s_or_b64 s[10:11], s[10:11], exec
.LBB236_239:
	s_or_b64 exec, exec, s[8:9]
	s_and_saveexec_b64 s[0:1], s[10:11]
	s_cbranch_execnz .LBB236_209
	s_branch .LBB236_210
.LBB236_240:
	v_lshlrev_b32_e32 v10, 3, v25
	global_load_dwordx2 v[26:27], v10, s[16:17]
	global_load_dwordx2 v[28:29], v10, s[30:31]
	v_mov_b32_e32 v11, s38
	v_add_co_u32_e64 v10, s[16:17], s37, v25
	v_addc_co_u32_e64 v11, s[16:17], 0, v11, s[16:17]
	s_waitcnt vmcnt(0)
	v_cmp_ne_u64_e64 s[16:17], v[26:27], v[28:29]
	v_cndmask_b32_e64 v21, 0, 1, s[16:17]
	s_or_b64 exec, exec, s[34:35]
	s_and_saveexec_b64 s[30:31], s[8:9]
	s_cbranch_execz .LBB236_61
.LBB236_241:
	v_and_b32_e32 v26, 1, v18
	v_cmp_lt_i64_e64 s[8:9], v[4:5], v[2:3]
	v_cmp_eq_u32_e64 s[16:17], 1, v26
	v_and_b32_e32 v25, 1, v1
	s_and_b64 s[8:9], s[16:17], s[8:9]
	v_cndmask_b32_e64 v1, v1, 1, s[16:17]
	v_cndmask_b32_e64 v2, v2, v4, s[8:9]
	;; [unrolled: 1-line block ×3, first 2 shown]
	v_cmp_eq_u32_e64 s[8:9], 1, v25
	v_cndmask_b32_e64 v1, v18, v1, s[8:9]
	v_cndmask_b32_e64 v3, v5, v3, s[8:9]
	v_cndmask_b32_e64 v2, v4, v2, s[8:9]
	s_or_b64 exec, exec, s[30:31]
	s_and_saveexec_b64 s[16:17], vcc
	s_cbranch_execz .LBB236_62
.LBB236_242:
	v_and_b32_e32 v5, 1, v23
	v_cmp_lt_i64_e32 vcc, v[12:13], v[2:3]
	v_cmp_eq_u32_e64 s[8:9], 1, v5
	v_and_b32_e32 v4, 1, v1
	s_and_b64 vcc, s[8:9], vcc
	v_cndmask_b32_e64 v1, v1, 1, s[8:9]
	v_cndmask_b32_e32 v2, v2, v12, vcc
	v_cndmask_b32_e32 v3, v3, v13, vcc
	v_cmp_eq_u32_e32 vcc, 1, v4
	v_cndmask_b32_e32 v1, v23, v1, vcc
	v_cndmask_b32_e32 v3, v13, v3, vcc
	;; [unrolled: 1-line block ×3, first 2 shown]
	s_or_b64 exec, exec, s[16:17]
	s_and_saveexec_b64 s[16:17], s[10:11]
	s_cbranch_execz .LBB236_63
.LBB236_243:
	v_and_b32_e32 v5, 1, v19
	v_cmp_lt_i64_e32 vcc, v[6:7], v[2:3]
	v_cmp_eq_u32_e64 s[8:9], 1, v5
	v_and_b32_e32 v4, 1, v1
	s_and_b64 vcc, s[8:9], vcc
	v_cndmask_b32_e64 v1, v1, 1, s[8:9]
	v_cndmask_b32_e32 v2, v2, v6, vcc
	v_cndmask_b32_e32 v3, v3, v7, vcc
	v_cmp_eq_u32_e32 vcc, 1, v4
	v_cndmask_b32_e32 v1, v19, v1, vcc
	v_cndmask_b32_e32 v3, v7, v3, vcc
	;; [unrolled: 1-line block ×3, first 2 shown]
	s_or_b64 exec, exec, s[16:17]
	s_and_saveexec_b64 s[8:9], s[0:1]
	s_cbranch_execz .LBB236_64
.LBB236_244:
	v_and_b32_e32 v5, 1, v24
	v_cmp_lt_i64_e32 vcc, v[14:15], v[2:3]
	v_cmp_eq_u32_e64 s[0:1], 1, v5
	v_and_b32_e32 v4, 1, v1
	s_and_b64 vcc, s[0:1], vcc
	v_cndmask_b32_e64 v1, v1, 1, s[0:1]
	v_cndmask_b32_e32 v2, v2, v14, vcc
	v_cndmask_b32_e32 v3, v3, v15, vcc
	v_cmp_eq_u32_e32 vcc, 1, v4
	v_cndmask_b32_e32 v1, v24, v1, vcc
	v_cndmask_b32_e32 v3, v15, v3, vcc
	;; [unrolled: 1-line block ×3, first 2 shown]
	s_or_b64 exec, exec, s[8:9]
	s_and_saveexec_b64 s[8:9], s[12:13]
	s_cbranch_execz .LBB236_65
.LBB236_245:
	v_and_b32_e32 v5, 1, v20
	v_cmp_lt_i64_e32 vcc, v[8:9], v[2:3]
	v_cmp_eq_u32_e64 s[0:1], 1, v5
	v_and_b32_e32 v4, 1, v1
	s_and_b64 vcc, s[0:1], vcc
	v_cndmask_b32_e64 v1, v1, 1, s[0:1]
	v_cndmask_b32_e32 v2, v2, v8, vcc
	v_cndmask_b32_e32 v3, v3, v9, vcc
	v_cmp_eq_u32_e32 vcc, 1, v4
	v_cndmask_b32_e32 v1, v20, v1, vcc
	v_cndmask_b32_e32 v3, v9, v3, vcc
	;; [unrolled: 1-line block ×3, first 2 shown]
	s_or_b64 exec, exec, s[8:9]
	s_and_saveexec_b64 s[8:9], s[2:3]
	s_cbranch_execz .LBB236_66
.LBB236_246:
	v_and_b32_e32 v5, 1, v22
	v_cmp_lt_i64_e32 vcc, v[16:17], v[2:3]
	v_cmp_eq_u32_e64 s[0:1], 1, v5
	v_and_b32_e32 v4, 1, v1
	s_and_b64 vcc, s[0:1], vcc
	v_cndmask_b32_e64 v1, v1, 1, s[0:1]
	v_cndmask_b32_e32 v2, v2, v16, vcc
	v_cndmask_b32_e32 v3, v3, v17, vcc
	v_cmp_eq_u32_e32 vcc, 1, v4
	v_cndmask_b32_e32 v1, v22, v1, vcc
	v_cndmask_b32_e32 v3, v17, v3, vcc
	;; [unrolled: 1-line block ×3, first 2 shown]
	s_or_b64 exec, exec, s[8:9]
	s_and_saveexec_b64 s[2:3], s[14:15]
	s_cbranch_execnz .LBB236_67
	s_branch .LBB236_68
.LBB236_247:
	v_lshlrev_b32_e32 v6, 3, v13
	global_load_dwordx2 v[14:15], v6, s[8:9]
	global_load_dwordx2 v[16:17], v6, s[12:13]
	v_mov_b32_e32 v7, s17
	v_add_co_u32_e64 v6, s[8:9], s16, v13
	v_addc_co_u32_e64 v7, s[8:9], 0, v7, s[8:9]
	s_waitcnt vmcnt(0)
	v_cmp_ne_u64_e64 s[8:9], v[14:15], v[16:17]
	v_cndmask_b32_e64 v11, 0, 1, s[8:9]
	s_or_b64 exec, exec, s[14:15]
	s_and_saveexec_b64 s[12:13], s[0:1]
	s_cbranch_execz .LBB236_104
.LBB236_248:
	v_and_b32_e32 v14, 1, v1
	v_cmp_lt_i64_e64 s[0:1], v[4:5], v[2:3]
	v_cmp_eq_u32_e64 s[8:9], 1, v14
	v_and_b32_e32 v13, 1, v10
	s_and_b64 s[0:1], s[8:9], s[0:1]
	v_cndmask_b32_e64 v10, v10, 1, s[8:9]
	v_cndmask_b32_e64 v2, v2, v4, s[0:1]
	;; [unrolled: 1-line block ×3, first 2 shown]
	v_cmp_eq_u32_e64 s[0:1], 1, v13
	v_cndmask_b32_e64 v10, v1, v10, s[0:1]
	v_cndmask_b32_e64 v3, v5, v3, s[0:1]
	;; [unrolled: 1-line block ×3, first 2 shown]
	s_or_b64 exec, exec, s[12:13]
	s_and_saveexec_b64 s[8:9], vcc
	s_cbranch_execz .LBB236_105
.LBB236_249:
	v_and_b32_e32 v4, 1, v12
	v_cmp_lt_i64_e32 vcc, v[8:9], v[2:3]
	v_cmp_eq_u32_e64 s[0:1], 1, v4
	v_and_b32_e32 v1, 1, v10
	s_and_b64 vcc, s[0:1], vcc
	v_cndmask_b32_e64 v4, v10, 1, s[0:1]
	v_cndmask_b32_e32 v2, v2, v8, vcc
	v_cndmask_b32_e32 v3, v3, v9, vcc
	v_cmp_eq_u32_e32 vcc, 1, v1
	v_cndmask_b32_e32 v10, v12, v4, vcc
	v_cndmask_b32_e32 v3, v9, v3, vcc
	;; [unrolled: 1-line block ×3, first 2 shown]
	s_or_b64 exec, exec, s[8:9]
	s_and_saveexec_b64 s[8:9], s[2:3]
	s_cbranch_execnz .LBB236_106
	s_branch .LBB236_107
	.section	.rodata,"a",@progbits
	.p2align	6, 0x0
	.amdhsa_kernel _ZN7rocprim17ROCPRIM_400000_NS6detail17trampoline_kernelINS0_14default_configENS1_22reduce_config_selectorIN6thrust23THRUST_200600_302600_NS5tupleIblNS6_9null_typeES8_S8_S8_S8_S8_S8_S8_EEEEZNS1_11reduce_implILb1ES3_NS6_12zip_iteratorINS7_INS6_11hip_rocprim26transform_input_iterator_tIbNSD_35transform_pair_of_input_iterators_tIbNS6_6detail15normal_iteratorINS6_10device_ptrIKxEEEESL_NS6_8equal_toIxEEEENSG_9not_fun_tINSD_8identityEEEEENSD_19counting_iterator_tIlEES8_S8_S8_S8_S8_S8_S8_S8_EEEEPS9_S9_NSD_9__find_if7functorIS9_EEEE10hipError_tPvRmT1_T2_T3_mT4_P12ihipStream_tbEUlT_E1_NS1_11comp_targetILNS1_3genE4ELNS1_11target_archE910ELNS1_3gpuE8ELNS1_3repE0EEENS1_30default_config_static_selectorELNS0_4arch9wavefront6targetE1EEEvS14_
		.amdhsa_group_segment_fixed_size 320
		.amdhsa_private_segment_fixed_size 0
		.amdhsa_kernarg_size 88
		.amdhsa_user_sgpr_count 6
		.amdhsa_user_sgpr_private_segment_buffer 1
		.amdhsa_user_sgpr_dispatch_ptr 0
		.amdhsa_user_sgpr_queue_ptr 0
		.amdhsa_user_sgpr_kernarg_segment_ptr 1
		.amdhsa_user_sgpr_dispatch_id 0
		.amdhsa_user_sgpr_flat_scratch_init 0
		.amdhsa_user_sgpr_kernarg_preload_length 0
		.amdhsa_user_sgpr_kernarg_preload_offset 0
		.amdhsa_user_sgpr_private_segment_size 0
		.amdhsa_uses_dynamic_stack 0
		.amdhsa_system_sgpr_private_segment_wavefront_offset 0
		.amdhsa_system_sgpr_workgroup_id_x 1
		.amdhsa_system_sgpr_workgroup_id_y 0
		.amdhsa_system_sgpr_workgroup_id_z 0
		.amdhsa_system_sgpr_workgroup_info 0
		.amdhsa_system_vgpr_workitem_id 0
		.amdhsa_next_free_vgpr 44
		.amdhsa_next_free_sgpr 40
		.amdhsa_accum_offset 44
		.amdhsa_reserve_vcc 1
		.amdhsa_reserve_flat_scratch 0
		.amdhsa_float_round_mode_32 0
		.amdhsa_float_round_mode_16_64 0
		.amdhsa_float_denorm_mode_32 3
		.amdhsa_float_denorm_mode_16_64 3
		.amdhsa_dx10_clamp 1
		.amdhsa_ieee_mode 1
		.amdhsa_fp16_overflow 0
		.amdhsa_tg_split 0
		.amdhsa_exception_fp_ieee_invalid_op 0
		.amdhsa_exception_fp_denorm_src 0
		.amdhsa_exception_fp_ieee_div_zero 0
		.amdhsa_exception_fp_ieee_overflow 0
		.amdhsa_exception_fp_ieee_underflow 0
		.amdhsa_exception_fp_ieee_inexact 0
		.amdhsa_exception_int_div_zero 0
	.end_amdhsa_kernel
	.section	.text._ZN7rocprim17ROCPRIM_400000_NS6detail17trampoline_kernelINS0_14default_configENS1_22reduce_config_selectorIN6thrust23THRUST_200600_302600_NS5tupleIblNS6_9null_typeES8_S8_S8_S8_S8_S8_S8_EEEEZNS1_11reduce_implILb1ES3_NS6_12zip_iteratorINS7_INS6_11hip_rocprim26transform_input_iterator_tIbNSD_35transform_pair_of_input_iterators_tIbNS6_6detail15normal_iteratorINS6_10device_ptrIKxEEEESL_NS6_8equal_toIxEEEENSG_9not_fun_tINSD_8identityEEEEENSD_19counting_iterator_tIlEES8_S8_S8_S8_S8_S8_S8_S8_EEEEPS9_S9_NSD_9__find_if7functorIS9_EEEE10hipError_tPvRmT1_T2_T3_mT4_P12ihipStream_tbEUlT_E1_NS1_11comp_targetILNS1_3genE4ELNS1_11target_archE910ELNS1_3gpuE8ELNS1_3repE0EEENS1_30default_config_static_selectorELNS0_4arch9wavefront6targetE1EEEvS14_,"axG",@progbits,_ZN7rocprim17ROCPRIM_400000_NS6detail17trampoline_kernelINS0_14default_configENS1_22reduce_config_selectorIN6thrust23THRUST_200600_302600_NS5tupleIblNS6_9null_typeES8_S8_S8_S8_S8_S8_S8_EEEEZNS1_11reduce_implILb1ES3_NS6_12zip_iteratorINS7_INS6_11hip_rocprim26transform_input_iterator_tIbNSD_35transform_pair_of_input_iterators_tIbNS6_6detail15normal_iteratorINS6_10device_ptrIKxEEEESL_NS6_8equal_toIxEEEENSG_9not_fun_tINSD_8identityEEEEENSD_19counting_iterator_tIlEES8_S8_S8_S8_S8_S8_S8_S8_EEEEPS9_S9_NSD_9__find_if7functorIS9_EEEE10hipError_tPvRmT1_T2_T3_mT4_P12ihipStream_tbEUlT_E1_NS1_11comp_targetILNS1_3genE4ELNS1_11target_archE910ELNS1_3gpuE8ELNS1_3repE0EEENS1_30default_config_static_selectorELNS0_4arch9wavefront6targetE1EEEvS14_,comdat
.Lfunc_end236:
	.size	_ZN7rocprim17ROCPRIM_400000_NS6detail17trampoline_kernelINS0_14default_configENS1_22reduce_config_selectorIN6thrust23THRUST_200600_302600_NS5tupleIblNS6_9null_typeES8_S8_S8_S8_S8_S8_S8_EEEEZNS1_11reduce_implILb1ES3_NS6_12zip_iteratorINS7_INS6_11hip_rocprim26transform_input_iterator_tIbNSD_35transform_pair_of_input_iterators_tIbNS6_6detail15normal_iteratorINS6_10device_ptrIKxEEEESL_NS6_8equal_toIxEEEENSG_9not_fun_tINSD_8identityEEEEENSD_19counting_iterator_tIlEES8_S8_S8_S8_S8_S8_S8_S8_EEEEPS9_S9_NSD_9__find_if7functorIS9_EEEE10hipError_tPvRmT1_T2_T3_mT4_P12ihipStream_tbEUlT_E1_NS1_11comp_targetILNS1_3genE4ELNS1_11target_archE910ELNS1_3gpuE8ELNS1_3repE0EEENS1_30default_config_static_selectorELNS0_4arch9wavefront6targetE1EEEvS14_, .Lfunc_end236-_ZN7rocprim17ROCPRIM_400000_NS6detail17trampoline_kernelINS0_14default_configENS1_22reduce_config_selectorIN6thrust23THRUST_200600_302600_NS5tupleIblNS6_9null_typeES8_S8_S8_S8_S8_S8_S8_EEEEZNS1_11reduce_implILb1ES3_NS6_12zip_iteratorINS7_INS6_11hip_rocprim26transform_input_iterator_tIbNSD_35transform_pair_of_input_iterators_tIbNS6_6detail15normal_iteratorINS6_10device_ptrIKxEEEESL_NS6_8equal_toIxEEEENSG_9not_fun_tINSD_8identityEEEEENSD_19counting_iterator_tIlEES8_S8_S8_S8_S8_S8_S8_S8_EEEEPS9_S9_NSD_9__find_if7functorIS9_EEEE10hipError_tPvRmT1_T2_T3_mT4_P12ihipStream_tbEUlT_E1_NS1_11comp_targetILNS1_3genE4ELNS1_11target_archE910ELNS1_3gpuE8ELNS1_3repE0EEENS1_30default_config_static_selectorELNS0_4arch9wavefront6targetE1EEEvS14_
                                        ; -- End function
	.section	.AMDGPU.csdata,"",@progbits
; Kernel info:
; codeLenInByte = 13212
; NumSgprs: 44
; NumVgprs: 44
; NumAgprs: 0
; TotalNumVgprs: 44
; ScratchSize: 0
; MemoryBound: 0
; FloatMode: 240
; IeeeMode: 1
; LDSByteSize: 320 bytes/workgroup (compile time only)
; SGPRBlocks: 5
; VGPRBlocks: 5
; NumSGPRsForWavesPerEU: 44
; NumVGPRsForWavesPerEU: 44
; AccumOffset: 44
; Occupancy: 8
; WaveLimiterHint : 0
; COMPUTE_PGM_RSRC2:SCRATCH_EN: 0
; COMPUTE_PGM_RSRC2:USER_SGPR: 6
; COMPUTE_PGM_RSRC2:TRAP_HANDLER: 0
; COMPUTE_PGM_RSRC2:TGID_X_EN: 1
; COMPUTE_PGM_RSRC2:TGID_Y_EN: 0
; COMPUTE_PGM_RSRC2:TGID_Z_EN: 0
; COMPUTE_PGM_RSRC2:TIDIG_COMP_CNT: 0
; COMPUTE_PGM_RSRC3_GFX90A:ACCUM_OFFSET: 10
; COMPUTE_PGM_RSRC3_GFX90A:TG_SPLIT: 0
	.section	.text._ZN7rocprim17ROCPRIM_400000_NS6detail17trampoline_kernelINS0_14default_configENS1_22reduce_config_selectorIN6thrust23THRUST_200600_302600_NS5tupleIblNS6_9null_typeES8_S8_S8_S8_S8_S8_S8_EEEEZNS1_11reduce_implILb1ES3_NS6_12zip_iteratorINS7_INS6_11hip_rocprim26transform_input_iterator_tIbNSD_35transform_pair_of_input_iterators_tIbNS6_6detail15normal_iteratorINS6_10device_ptrIKxEEEESL_NS6_8equal_toIxEEEENSG_9not_fun_tINSD_8identityEEEEENSD_19counting_iterator_tIlEES8_S8_S8_S8_S8_S8_S8_S8_EEEEPS9_S9_NSD_9__find_if7functorIS9_EEEE10hipError_tPvRmT1_T2_T3_mT4_P12ihipStream_tbEUlT_E1_NS1_11comp_targetILNS1_3genE3ELNS1_11target_archE908ELNS1_3gpuE7ELNS1_3repE0EEENS1_30default_config_static_selectorELNS0_4arch9wavefront6targetE1EEEvS14_,"axG",@progbits,_ZN7rocprim17ROCPRIM_400000_NS6detail17trampoline_kernelINS0_14default_configENS1_22reduce_config_selectorIN6thrust23THRUST_200600_302600_NS5tupleIblNS6_9null_typeES8_S8_S8_S8_S8_S8_S8_EEEEZNS1_11reduce_implILb1ES3_NS6_12zip_iteratorINS7_INS6_11hip_rocprim26transform_input_iterator_tIbNSD_35transform_pair_of_input_iterators_tIbNS6_6detail15normal_iteratorINS6_10device_ptrIKxEEEESL_NS6_8equal_toIxEEEENSG_9not_fun_tINSD_8identityEEEEENSD_19counting_iterator_tIlEES8_S8_S8_S8_S8_S8_S8_S8_EEEEPS9_S9_NSD_9__find_if7functorIS9_EEEE10hipError_tPvRmT1_T2_T3_mT4_P12ihipStream_tbEUlT_E1_NS1_11comp_targetILNS1_3genE3ELNS1_11target_archE908ELNS1_3gpuE7ELNS1_3repE0EEENS1_30default_config_static_selectorELNS0_4arch9wavefront6targetE1EEEvS14_,comdat
	.protected	_ZN7rocprim17ROCPRIM_400000_NS6detail17trampoline_kernelINS0_14default_configENS1_22reduce_config_selectorIN6thrust23THRUST_200600_302600_NS5tupleIblNS6_9null_typeES8_S8_S8_S8_S8_S8_S8_EEEEZNS1_11reduce_implILb1ES3_NS6_12zip_iteratorINS7_INS6_11hip_rocprim26transform_input_iterator_tIbNSD_35transform_pair_of_input_iterators_tIbNS6_6detail15normal_iteratorINS6_10device_ptrIKxEEEESL_NS6_8equal_toIxEEEENSG_9not_fun_tINSD_8identityEEEEENSD_19counting_iterator_tIlEES8_S8_S8_S8_S8_S8_S8_S8_EEEEPS9_S9_NSD_9__find_if7functorIS9_EEEE10hipError_tPvRmT1_T2_T3_mT4_P12ihipStream_tbEUlT_E1_NS1_11comp_targetILNS1_3genE3ELNS1_11target_archE908ELNS1_3gpuE7ELNS1_3repE0EEENS1_30default_config_static_selectorELNS0_4arch9wavefront6targetE1EEEvS14_ ; -- Begin function _ZN7rocprim17ROCPRIM_400000_NS6detail17trampoline_kernelINS0_14default_configENS1_22reduce_config_selectorIN6thrust23THRUST_200600_302600_NS5tupleIblNS6_9null_typeES8_S8_S8_S8_S8_S8_S8_EEEEZNS1_11reduce_implILb1ES3_NS6_12zip_iteratorINS7_INS6_11hip_rocprim26transform_input_iterator_tIbNSD_35transform_pair_of_input_iterators_tIbNS6_6detail15normal_iteratorINS6_10device_ptrIKxEEEESL_NS6_8equal_toIxEEEENSG_9not_fun_tINSD_8identityEEEEENSD_19counting_iterator_tIlEES8_S8_S8_S8_S8_S8_S8_S8_EEEEPS9_S9_NSD_9__find_if7functorIS9_EEEE10hipError_tPvRmT1_T2_T3_mT4_P12ihipStream_tbEUlT_E1_NS1_11comp_targetILNS1_3genE3ELNS1_11target_archE908ELNS1_3gpuE7ELNS1_3repE0EEENS1_30default_config_static_selectorELNS0_4arch9wavefront6targetE1EEEvS14_
	.globl	_ZN7rocprim17ROCPRIM_400000_NS6detail17trampoline_kernelINS0_14default_configENS1_22reduce_config_selectorIN6thrust23THRUST_200600_302600_NS5tupleIblNS6_9null_typeES8_S8_S8_S8_S8_S8_S8_EEEEZNS1_11reduce_implILb1ES3_NS6_12zip_iteratorINS7_INS6_11hip_rocprim26transform_input_iterator_tIbNSD_35transform_pair_of_input_iterators_tIbNS6_6detail15normal_iteratorINS6_10device_ptrIKxEEEESL_NS6_8equal_toIxEEEENSG_9not_fun_tINSD_8identityEEEEENSD_19counting_iterator_tIlEES8_S8_S8_S8_S8_S8_S8_S8_EEEEPS9_S9_NSD_9__find_if7functorIS9_EEEE10hipError_tPvRmT1_T2_T3_mT4_P12ihipStream_tbEUlT_E1_NS1_11comp_targetILNS1_3genE3ELNS1_11target_archE908ELNS1_3gpuE7ELNS1_3repE0EEENS1_30default_config_static_selectorELNS0_4arch9wavefront6targetE1EEEvS14_
	.p2align	8
	.type	_ZN7rocprim17ROCPRIM_400000_NS6detail17trampoline_kernelINS0_14default_configENS1_22reduce_config_selectorIN6thrust23THRUST_200600_302600_NS5tupleIblNS6_9null_typeES8_S8_S8_S8_S8_S8_S8_EEEEZNS1_11reduce_implILb1ES3_NS6_12zip_iteratorINS7_INS6_11hip_rocprim26transform_input_iterator_tIbNSD_35transform_pair_of_input_iterators_tIbNS6_6detail15normal_iteratorINS6_10device_ptrIKxEEEESL_NS6_8equal_toIxEEEENSG_9not_fun_tINSD_8identityEEEEENSD_19counting_iterator_tIlEES8_S8_S8_S8_S8_S8_S8_S8_EEEEPS9_S9_NSD_9__find_if7functorIS9_EEEE10hipError_tPvRmT1_T2_T3_mT4_P12ihipStream_tbEUlT_E1_NS1_11comp_targetILNS1_3genE3ELNS1_11target_archE908ELNS1_3gpuE7ELNS1_3repE0EEENS1_30default_config_static_selectorELNS0_4arch9wavefront6targetE1EEEvS14_,@function
_ZN7rocprim17ROCPRIM_400000_NS6detail17trampoline_kernelINS0_14default_configENS1_22reduce_config_selectorIN6thrust23THRUST_200600_302600_NS5tupleIblNS6_9null_typeES8_S8_S8_S8_S8_S8_S8_EEEEZNS1_11reduce_implILb1ES3_NS6_12zip_iteratorINS7_INS6_11hip_rocprim26transform_input_iterator_tIbNSD_35transform_pair_of_input_iterators_tIbNS6_6detail15normal_iteratorINS6_10device_ptrIKxEEEESL_NS6_8equal_toIxEEEENSG_9not_fun_tINSD_8identityEEEEENSD_19counting_iterator_tIlEES8_S8_S8_S8_S8_S8_S8_S8_EEEEPS9_S9_NSD_9__find_if7functorIS9_EEEE10hipError_tPvRmT1_T2_T3_mT4_P12ihipStream_tbEUlT_E1_NS1_11comp_targetILNS1_3genE3ELNS1_11target_archE908ELNS1_3gpuE7ELNS1_3repE0EEENS1_30default_config_static_selectorELNS0_4arch9wavefront6targetE1EEEvS14_: ; @_ZN7rocprim17ROCPRIM_400000_NS6detail17trampoline_kernelINS0_14default_configENS1_22reduce_config_selectorIN6thrust23THRUST_200600_302600_NS5tupleIblNS6_9null_typeES8_S8_S8_S8_S8_S8_S8_EEEEZNS1_11reduce_implILb1ES3_NS6_12zip_iteratorINS7_INS6_11hip_rocprim26transform_input_iterator_tIbNSD_35transform_pair_of_input_iterators_tIbNS6_6detail15normal_iteratorINS6_10device_ptrIKxEEEESL_NS6_8equal_toIxEEEENSG_9not_fun_tINSD_8identityEEEEENSD_19counting_iterator_tIlEES8_S8_S8_S8_S8_S8_S8_S8_EEEEPS9_S9_NSD_9__find_if7functorIS9_EEEE10hipError_tPvRmT1_T2_T3_mT4_P12ihipStream_tbEUlT_E1_NS1_11comp_targetILNS1_3genE3ELNS1_11target_archE908ELNS1_3gpuE7ELNS1_3repE0EEENS1_30default_config_static_selectorELNS0_4arch9wavefront6targetE1EEEvS14_
; %bb.0:
	.section	.rodata,"a",@progbits
	.p2align	6, 0x0
	.amdhsa_kernel _ZN7rocprim17ROCPRIM_400000_NS6detail17trampoline_kernelINS0_14default_configENS1_22reduce_config_selectorIN6thrust23THRUST_200600_302600_NS5tupleIblNS6_9null_typeES8_S8_S8_S8_S8_S8_S8_EEEEZNS1_11reduce_implILb1ES3_NS6_12zip_iteratorINS7_INS6_11hip_rocprim26transform_input_iterator_tIbNSD_35transform_pair_of_input_iterators_tIbNS6_6detail15normal_iteratorINS6_10device_ptrIKxEEEESL_NS6_8equal_toIxEEEENSG_9not_fun_tINSD_8identityEEEEENSD_19counting_iterator_tIlEES8_S8_S8_S8_S8_S8_S8_S8_EEEEPS9_S9_NSD_9__find_if7functorIS9_EEEE10hipError_tPvRmT1_T2_T3_mT4_P12ihipStream_tbEUlT_E1_NS1_11comp_targetILNS1_3genE3ELNS1_11target_archE908ELNS1_3gpuE7ELNS1_3repE0EEENS1_30default_config_static_selectorELNS0_4arch9wavefront6targetE1EEEvS14_
		.amdhsa_group_segment_fixed_size 0
		.amdhsa_private_segment_fixed_size 0
		.amdhsa_kernarg_size 88
		.amdhsa_user_sgpr_count 6
		.amdhsa_user_sgpr_private_segment_buffer 1
		.amdhsa_user_sgpr_dispatch_ptr 0
		.amdhsa_user_sgpr_queue_ptr 0
		.amdhsa_user_sgpr_kernarg_segment_ptr 1
		.amdhsa_user_sgpr_dispatch_id 0
		.amdhsa_user_sgpr_flat_scratch_init 0
		.amdhsa_user_sgpr_kernarg_preload_length 0
		.amdhsa_user_sgpr_kernarg_preload_offset 0
		.amdhsa_user_sgpr_private_segment_size 0
		.amdhsa_uses_dynamic_stack 0
		.amdhsa_system_sgpr_private_segment_wavefront_offset 0
		.amdhsa_system_sgpr_workgroup_id_x 1
		.amdhsa_system_sgpr_workgroup_id_y 0
		.amdhsa_system_sgpr_workgroup_id_z 0
		.amdhsa_system_sgpr_workgroup_info 0
		.amdhsa_system_vgpr_workitem_id 0
		.amdhsa_next_free_vgpr 1
		.amdhsa_next_free_sgpr 0
		.amdhsa_accum_offset 4
		.amdhsa_reserve_vcc 0
		.amdhsa_reserve_flat_scratch 0
		.amdhsa_float_round_mode_32 0
		.amdhsa_float_round_mode_16_64 0
		.amdhsa_float_denorm_mode_32 3
		.amdhsa_float_denorm_mode_16_64 3
		.amdhsa_dx10_clamp 1
		.amdhsa_ieee_mode 1
		.amdhsa_fp16_overflow 0
		.amdhsa_tg_split 0
		.amdhsa_exception_fp_ieee_invalid_op 0
		.amdhsa_exception_fp_denorm_src 0
		.amdhsa_exception_fp_ieee_div_zero 0
		.amdhsa_exception_fp_ieee_overflow 0
		.amdhsa_exception_fp_ieee_underflow 0
		.amdhsa_exception_fp_ieee_inexact 0
		.amdhsa_exception_int_div_zero 0
	.end_amdhsa_kernel
	.section	.text._ZN7rocprim17ROCPRIM_400000_NS6detail17trampoline_kernelINS0_14default_configENS1_22reduce_config_selectorIN6thrust23THRUST_200600_302600_NS5tupleIblNS6_9null_typeES8_S8_S8_S8_S8_S8_S8_EEEEZNS1_11reduce_implILb1ES3_NS6_12zip_iteratorINS7_INS6_11hip_rocprim26transform_input_iterator_tIbNSD_35transform_pair_of_input_iterators_tIbNS6_6detail15normal_iteratorINS6_10device_ptrIKxEEEESL_NS6_8equal_toIxEEEENSG_9not_fun_tINSD_8identityEEEEENSD_19counting_iterator_tIlEES8_S8_S8_S8_S8_S8_S8_S8_EEEEPS9_S9_NSD_9__find_if7functorIS9_EEEE10hipError_tPvRmT1_T2_T3_mT4_P12ihipStream_tbEUlT_E1_NS1_11comp_targetILNS1_3genE3ELNS1_11target_archE908ELNS1_3gpuE7ELNS1_3repE0EEENS1_30default_config_static_selectorELNS0_4arch9wavefront6targetE1EEEvS14_,"axG",@progbits,_ZN7rocprim17ROCPRIM_400000_NS6detail17trampoline_kernelINS0_14default_configENS1_22reduce_config_selectorIN6thrust23THRUST_200600_302600_NS5tupleIblNS6_9null_typeES8_S8_S8_S8_S8_S8_S8_EEEEZNS1_11reduce_implILb1ES3_NS6_12zip_iteratorINS7_INS6_11hip_rocprim26transform_input_iterator_tIbNSD_35transform_pair_of_input_iterators_tIbNS6_6detail15normal_iteratorINS6_10device_ptrIKxEEEESL_NS6_8equal_toIxEEEENSG_9not_fun_tINSD_8identityEEEEENSD_19counting_iterator_tIlEES8_S8_S8_S8_S8_S8_S8_S8_EEEEPS9_S9_NSD_9__find_if7functorIS9_EEEE10hipError_tPvRmT1_T2_T3_mT4_P12ihipStream_tbEUlT_E1_NS1_11comp_targetILNS1_3genE3ELNS1_11target_archE908ELNS1_3gpuE7ELNS1_3repE0EEENS1_30default_config_static_selectorELNS0_4arch9wavefront6targetE1EEEvS14_,comdat
.Lfunc_end237:
	.size	_ZN7rocprim17ROCPRIM_400000_NS6detail17trampoline_kernelINS0_14default_configENS1_22reduce_config_selectorIN6thrust23THRUST_200600_302600_NS5tupleIblNS6_9null_typeES8_S8_S8_S8_S8_S8_S8_EEEEZNS1_11reduce_implILb1ES3_NS6_12zip_iteratorINS7_INS6_11hip_rocprim26transform_input_iterator_tIbNSD_35transform_pair_of_input_iterators_tIbNS6_6detail15normal_iteratorINS6_10device_ptrIKxEEEESL_NS6_8equal_toIxEEEENSG_9not_fun_tINSD_8identityEEEEENSD_19counting_iterator_tIlEES8_S8_S8_S8_S8_S8_S8_S8_EEEEPS9_S9_NSD_9__find_if7functorIS9_EEEE10hipError_tPvRmT1_T2_T3_mT4_P12ihipStream_tbEUlT_E1_NS1_11comp_targetILNS1_3genE3ELNS1_11target_archE908ELNS1_3gpuE7ELNS1_3repE0EEENS1_30default_config_static_selectorELNS0_4arch9wavefront6targetE1EEEvS14_, .Lfunc_end237-_ZN7rocprim17ROCPRIM_400000_NS6detail17trampoline_kernelINS0_14default_configENS1_22reduce_config_selectorIN6thrust23THRUST_200600_302600_NS5tupleIblNS6_9null_typeES8_S8_S8_S8_S8_S8_S8_EEEEZNS1_11reduce_implILb1ES3_NS6_12zip_iteratorINS7_INS6_11hip_rocprim26transform_input_iterator_tIbNSD_35transform_pair_of_input_iterators_tIbNS6_6detail15normal_iteratorINS6_10device_ptrIKxEEEESL_NS6_8equal_toIxEEEENSG_9not_fun_tINSD_8identityEEEEENSD_19counting_iterator_tIlEES8_S8_S8_S8_S8_S8_S8_S8_EEEEPS9_S9_NSD_9__find_if7functorIS9_EEEE10hipError_tPvRmT1_T2_T3_mT4_P12ihipStream_tbEUlT_E1_NS1_11comp_targetILNS1_3genE3ELNS1_11target_archE908ELNS1_3gpuE7ELNS1_3repE0EEENS1_30default_config_static_selectorELNS0_4arch9wavefront6targetE1EEEvS14_
                                        ; -- End function
	.section	.AMDGPU.csdata,"",@progbits
; Kernel info:
; codeLenInByte = 0
; NumSgprs: 4
; NumVgprs: 0
; NumAgprs: 0
; TotalNumVgprs: 0
; ScratchSize: 0
; MemoryBound: 0
; FloatMode: 240
; IeeeMode: 1
; LDSByteSize: 0 bytes/workgroup (compile time only)
; SGPRBlocks: 0
; VGPRBlocks: 0
; NumSGPRsForWavesPerEU: 4
; NumVGPRsForWavesPerEU: 1
; AccumOffset: 4
; Occupancy: 8
; WaveLimiterHint : 0
; COMPUTE_PGM_RSRC2:SCRATCH_EN: 0
; COMPUTE_PGM_RSRC2:USER_SGPR: 6
; COMPUTE_PGM_RSRC2:TRAP_HANDLER: 0
; COMPUTE_PGM_RSRC2:TGID_X_EN: 1
; COMPUTE_PGM_RSRC2:TGID_Y_EN: 0
; COMPUTE_PGM_RSRC2:TGID_Z_EN: 0
; COMPUTE_PGM_RSRC2:TIDIG_COMP_CNT: 0
; COMPUTE_PGM_RSRC3_GFX90A:ACCUM_OFFSET: 0
; COMPUTE_PGM_RSRC3_GFX90A:TG_SPLIT: 0
	.section	.text._ZN7rocprim17ROCPRIM_400000_NS6detail17trampoline_kernelINS0_14default_configENS1_22reduce_config_selectorIN6thrust23THRUST_200600_302600_NS5tupleIblNS6_9null_typeES8_S8_S8_S8_S8_S8_S8_EEEEZNS1_11reduce_implILb1ES3_NS6_12zip_iteratorINS7_INS6_11hip_rocprim26transform_input_iterator_tIbNSD_35transform_pair_of_input_iterators_tIbNS6_6detail15normal_iteratorINS6_10device_ptrIKxEEEESL_NS6_8equal_toIxEEEENSG_9not_fun_tINSD_8identityEEEEENSD_19counting_iterator_tIlEES8_S8_S8_S8_S8_S8_S8_S8_EEEEPS9_S9_NSD_9__find_if7functorIS9_EEEE10hipError_tPvRmT1_T2_T3_mT4_P12ihipStream_tbEUlT_E1_NS1_11comp_targetILNS1_3genE2ELNS1_11target_archE906ELNS1_3gpuE6ELNS1_3repE0EEENS1_30default_config_static_selectorELNS0_4arch9wavefront6targetE1EEEvS14_,"axG",@progbits,_ZN7rocprim17ROCPRIM_400000_NS6detail17trampoline_kernelINS0_14default_configENS1_22reduce_config_selectorIN6thrust23THRUST_200600_302600_NS5tupleIblNS6_9null_typeES8_S8_S8_S8_S8_S8_S8_EEEEZNS1_11reduce_implILb1ES3_NS6_12zip_iteratorINS7_INS6_11hip_rocprim26transform_input_iterator_tIbNSD_35transform_pair_of_input_iterators_tIbNS6_6detail15normal_iteratorINS6_10device_ptrIKxEEEESL_NS6_8equal_toIxEEEENSG_9not_fun_tINSD_8identityEEEEENSD_19counting_iterator_tIlEES8_S8_S8_S8_S8_S8_S8_S8_EEEEPS9_S9_NSD_9__find_if7functorIS9_EEEE10hipError_tPvRmT1_T2_T3_mT4_P12ihipStream_tbEUlT_E1_NS1_11comp_targetILNS1_3genE2ELNS1_11target_archE906ELNS1_3gpuE6ELNS1_3repE0EEENS1_30default_config_static_selectorELNS0_4arch9wavefront6targetE1EEEvS14_,comdat
	.protected	_ZN7rocprim17ROCPRIM_400000_NS6detail17trampoline_kernelINS0_14default_configENS1_22reduce_config_selectorIN6thrust23THRUST_200600_302600_NS5tupleIblNS6_9null_typeES8_S8_S8_S8_S8_S8_S8_EEEEZNS1_11reduce_implILb1ES3_NS6_12zip_iteratorINS7_INS6_11hip_rocprim26transform_input_iterator_tIbNSD_35transform_pair_of_input_iterators_tIbNS6_6detail15normal_iteratorINS6_10device_ptrIKxEEEESL_NS6_8equal_toIxEEEENSG_9not_fun_tINSD_8identityEEEEENSD_19counting_iterator_tIlEES8_S8_S8_S8_S8_S8_S8_S8_EEEEPS9_S9_NSD_9__find_if7functorIS9_EEEE10hipError_tPvRmT1_T2_T3_mT4_P12ihipStream_tbEUlT_E1_NS1_11comp_targetILNS1_3genE2ELNS1_11target_archE906ELNS1_3gpuE6ELNS1_3repE0EEENS1_30default_config_static_selectorELNS0_4arch9wavefront6targetE1EEEvS14_ ; -- Begin function _ZN7rocprim17ROCPRIM_400000_NS6detail17trampoline_kernelINS0_14default_configENS1_22reduce_config_selectorIN6thrust23THRUST_200600_302600_NS5tupleIblNS6_9null_typeES8_S8_S8_S8_S8_S8_S8_EEEEZNS1_11reduce_implILb1ES3_NS6_12zip_iteratorINS7_INS6_11hip_rocprim26transform_input_iterator_tIbNSD_35transform_pair_of_input_iterators_tIbNS6_6detail15normal_iteratorINS6_10device_ptrIKxEEEESL_NS6_8equal_toIxEEEENSG_9not_fun_tINSD_8identityEEEEENSD_19counting_iterator_tIlEES8_S8_S8_S8_S8_S8_S8_S8_EEEEPS9_S9_NSD_9__find_if7functorIS9_EEEE10hipError_tPvRmT1_T2_T3_mT4_P12ihipStream_tbEUlT_E1_NS1_11comp_targetILNS1_3genE2ELNS1_11target_archE906ELNS1_3gpuE6ELNS1_3repE0EEENS1_30default_config_static_selectorELNS0_4arch9wavefront6targetE1EEEvS14_
	.globl	_ZN7rocprim17ROCPRIM_400000_NS6detail17trampoline_kernelINS0_14default_configENS1_22reduce_config_selectorIN6thrust23THRUST_200600_302600_NS5tupleIblNS6_9null_typeES8_S8_S8_S8_S8_S8_S8_EEEEZNS1_11reduce_implILb1ES3_NS6_12zip_iteratorINS7_INS6_11hip_rocprim26transform_input_iterator_tIbNSD_35transform_pair_of_input_iterators_tIbNS6_6detail15normal_iteratorINS6_10device_ptrIKxEEEESL_NS6_8equal_toIxEEEENSG_9not_fun_tINSD_8identityEEEEENSD_19counting_iterator_tIlEES8_S8_S8_S8_S8_S8_S8_S8_EEEEPS9_S9_NSD_9__find_if7functorIS9_EEEE10hipError_tPvRmT1_T2_T3_mT4_P12ihipStream_tbEUlT_E1_NS1_11comp_targetILNS1_3genE2ELNS1_11target_archE906ELNS1_3gpuE6ELNS1_3repE0EEENS1_30default_config_static_selectorELNS0_4arch9wavefront6targetE1EEEvS14_
	.p2align	8
	.type	_ZN7rocprim17ROCPRIM_400000_NS6detail17trampoline_kernelINS0_14default_configENS1_22reduce_config_selectorIN6thrust23THRUST_200600_302600_NS5tupleIblNS6_9null_typeES8_S8_S8_S8_S8_S8_S8_EEEEZNS1_11reduce_implILb1ES3_NS6_12zip_iteratorINS7_INS6_11hip_rocprim26transform_input_iterator_tIbNSD_35transform_pair_of_input_iterators_tIbNS6_6detail15normal_iteratorINS6_10device_ptrIKxEEEESL_NS6_8equal_toIxEEEENSG_9not_fun_tINSD_8identityEEEEENSD_19counting_iterator_tIlEES8_S8_S8_S8_S8_S8_S8_S8_EEEEPS9_S9_NSD_9__find_if7functorIS9_EEEE10hipError_tPvRmT1_T2_T3_mT4_P12ihipStream_tbEUlT_E1_NS1_11comp_targetILNS1_3genE2ELNS1_11target_archE906ELNS1_3gpuE6ELNS1_3repE0EEENS1_30default_config_static_selectorELNS0_4arch9wavefront6targetE1EEEvS14_,@function
_ZN7rocprim17ROCPRIM_400000_NS6detail17trampoline_kernelINS0_14default_configENS1_22reduce_config_selectorIN6thrust23THRUST_200600_302600_NS5tupleIblNS6_9null_typeES8_S8_S8_S8_S8_S8_S8_EEEEZNS1_11reduce_implILb1ES3_NS6_12zip_iteratorINS7_INS6_11hip_rocprim26transform_input_iterator_tIbNSD_35transform_pair_of_input_iterators_tIbNS6_6detail15normal_iteratorINS6_10device_ptrIKxEEEESL_NS6_8equal_toIxEEEENSG_9not_fun_tINSD_8identityEEEEENSD_19counting_iterator_tIlEES8_S8_S8_S8_S8_S8_S8_S8_EEEEPS9_S9_NSD_9__find_if7functorIS9_EEEE10hipError_tPvRmT1_T2_T3_mT4_P12ihipStream_tbEUlT_E1_NS1_11comp_targetILNS1_3genE2ELNS1_11target_archE906ELNS1_3gpuE6ELNS1_3repE0EEENS1_30default_config_static_selectorELNS0_4arch9wavefront6targetE1EEEvS14_: ; @_ZN7rocprim17ROCPRIM_400000_NS6detail17trampoline_kernelINS0_14default_configENS1_22reduce_config_selectorIN6thrust23THRUST_200600_302600_NS5tupleIblNS6_9null_typeES8_S8_S8_S8_S8_S8_S8_EEEEZNS1_11reduce_implILb1ES3_NS6_12zip_iteratorINS7_INS6_11hip_rocprim26transform_input_iterator_tIbNSD_35transform_pair_of_input_iterators_tIbNS6_6detail15normal_iteratorINS6_10device_ptrIKxEEEESL_NS6_8equal_toIxEEEENSG_9not_fun_tINSD_8identityEEEEENSD_19counting_iterator_tIlEES8_S8_S8_S8_S8_S8_S8_S8_EEEEPS9_S9_NSD_9__find_if7functorIS9_EEEE10hipError_tPvRmT1_T2_T3_mT4_P12ihipStream_tbEUlT_E1_NS1_11comp_targetILNS1_3genE2ELNS1_11target_archE906ELNS1_3gpuE6ELNS1_3repE0EEENS1_30default_config_static_selectorELNS0_4arch9wavefront6targetE1EEEvS14_
; %bb.0:
	.section	.rodata,"a",@progbits
	.p2align	6, 0x0
	.amdhsa_kernel _ZN7rocprim17ROCPRIM_400000_NS6detail17trampoline_kernelINS0_14default_configENS1_22reduce_config_selectorIN6thrust23THRUST_200600_302600_NS5tupleIblNS6_9null_typeES8_S8_S8_S8_S8_S8_S8_EEEEZNS1_11reduce_implILb1ES3_NS6_12zip_iteratorINS7_INS6_11hip_rocprim26transform_input_iterator_tIbNSD_35transform_pair_of_input_iterators_tIbNS6_6detail15normal_iteratorINS6_10device_ptrIKxEEEESL_NS6_8equal_toIxEEEENSG_9not_fun_tINSD_8identityEEEEENSD_19counting_iterator_tIlEES8_S8_S8_S8_S8_S8_S8_S8_EEEEPS9_S9_NSD_9__find_if7functorIS9_EEEE10hipError_tPvRmT1_T2_T3_mT4_P12ihipStream_tbEUlT_E1_NS1_11comp_targetILNS1_3genE2ELNS1_11target_archE906ELNS1_3gpuE6ELNS1_3repE0EEENS1_30default_config_static_selectorELNS0_4arch9wavefront6targetE1EEEvS14_
		.amdhsa_group_segment_fixed_size 0
		.amdhsa_private_segment_fixed_size 0
		.amdhsa_kernarg_size 88
		.amdhsa_user_sgpr_count 6
		.amdhsa_user_sgpr_private_segment_buffer 1
		.amdhsa_user_sgpr_dispatch_ptr 0
		.amdhsa_user_sgpr_queue_ptr 0
		.amdhsa_user_sgpr_kernarg_segment_ptr 1
		.amdhsa_user_sgpr_dispatch_id 0
		.amdhsa_user_sgpr_flat_scratch_init 0
		.amdhsa_user_sgpr_kernarg_preload_length 0
		.amdhsa_user_sgpr_kernarg_preload_offset 0
		.amdhsa_user_sgpr_private_segment_size 0
		.amdhsa_uses_dynamic_stack 0
		.amdhsa_system_sgpr_private_segment_wavefront_offset 0
		.amdhsa_system_sgpr_workgroup_id_x 1
		.amdhsa_system_sgpr_workgroup_id_y 0
		.amdhsa_system_sgpr_workgroup_id_z 0
		.amdhsa_system_sgpr_workgroup_info 0
		.amdhsa_system_vgpr_workitem_id 0
		.amdhsa_next_free_vgpr 1
		.amdhsa_next_free_sgpr 0
		.amdhsa_accum_offset 4
		.amdhsa_reserve_vcc 0
		.amdhsa_reserve_flat_scratch 0
		.amdhsa_float_round_mode_32 0
		.amdhsa_float_round_mode_16_64 0
		.amdhsa_float_denorm_mode_32 3
		.amdhsa_float_denorm_mode_16_64 3
		.amdhsa_dx10_clamp 1
		.amdhsa_ieee_mode 1
		.amdhsa_fp16_overflow 0
		.amdhsa_tg_split 0
		.amdhsa_exception_fp_ieee_invalid_op 0
		.amdhsa_exception_fp_denorm_src 0
		.amdhsa_exception_fp_ieee_div_zero 0
		.amdhsa_exception_fp_ieee_overflow 0
		.amdhsa_exception_fp_ieee_underflow 0
		.amdhsa_exception_fp_ieee_inexact 0
		.amdhsa_exception_int_div_zero 0
	.end_amdhsa_kernel
	.section	.text._ZN7rocprim17ROCPRIM_400000_NS6detail17trampoline_kernelINS0_14default_configENS1_22reduce_config_selectorIN6thrust23THRUST_200600_302600_NS5tupleIblNS6_9null_typeES8_S8_S8_S8_S8_S8_S8_EEEEZNS1_11reduce_implILb1ES3_NS6_12zip_iteratorINS7_INS6_11hip_rocprim26transform_input_iterator_tIbNSD_35transform_pair_of_input_iterators_tIbNS6_6detail15normal_iteratorINS6_10device_ptrIKxEEEESL_NS6_8equal_toIxEEEENSG_9not_fun_tINSD_8identityEEEEENSD_19counting_iterator_tIlEES8_S8_S8_S8_S8_S8_S8_S8_EEEEPS9_S9_NSD_9__find_if7functorIS9_EEEE10hipError_tPvRmT1_T2_T3_mT4_P12ihipStream_tbEUlT_E1_NS1_11comp_targetILNS1_3genE2ELNS1_11target_archE906ELNS1_3gpuE6ELNS1_3repE0EEENS1_30default_config_static_selectorELNS0_4arch9wavefront6targetE1EEEvS14_,"axG",@progbits,_ZN7rocprim17ROCPRIM_400000_NS6detail17trampoline_kernelINS0_14default_configENS1_22reduce_config_selectorIN6thrust23THRUST_200600_302600_NS5tupleIblNS6_9null_typeES8_S8_S8_S8_S8_S8_S8_EEEEZNS1_11reduce_implILb1ES3_NS6_12zip_iteratorINS7_INS6_11hip_rocprim26transform_input_iterator_tIbNSD_35transform_pair_of_input_iterators_tIbNS6_6detail15normal_iteratorINS6_10device_ptrIKxEEEESL_NS6_8equal_toIxEEEENSG_9not_fun_tINSD_8identityEEEEENSD_19counting_iterator_tIlEES8_S8_S8_S8_S8_S8_S8_S8_EEEEPS9_S9_NSD_9__find_if7functorIS9_EEEE10hipError_tPvRmT1_T2_T3_mT4_P12ihipStream_tbEUlT_E1_NS1_11comp_targetILNS1_3genE2ELNS1_11target_archE906ELNS1_3gpuE6ELNS1_3repE0EEENS1_30default_config_static_selectorELNS0_4arch9wavefront6targetE1EEEvS14_,comdat
.Lfunc_end238:
	.size	_ZN7rocprim17ROCPRIM_400000_NS6detail17trampoline_kernelINS0_14default_configENS1_22reduce_config_selectorIN6thrust23THRUST_200600_302600_NS5tupleIblNS6_9null_typeES8_S8_S8_S8_S8_S8_S8_EEEEZNS1_11reduce_implILb1ES3_NS6_12zip_iteratorINS7_INS6_11hip_rocprim26transform_input_iterator_tIbNSD_35transform_pair_of_input_iterators_tIbNS6_6detail15normal_iteratorINS6_10device_ptrIKxEEEESL_NS6_8equal_toIxEEEENSG_9not_fun_tINSD_8identityEEEEENSD_19counting_iterator_tIlEES8_S8_S8_S8_S8_S8_S8_S8_EEEEPS9_S9_NSD_9__find_if7functorIS9_EEEE10hipError_tPvRmT1_T2_T3_mT4_P12ihipStream_tbEUlT_E1_NS1_11comp_targetILNS1_3genE2ELNS1_11target_archE906ELNS1_3gpuE6ELNS1_3repE0EEENS1_30default_config_static_selectorELNS0_4arch9wavefront6targetE1EEEvS14_, .Lfunc_end238-_ZN7rocprim17ROCPRIM_400000_NS6detail17trampoline_kernelINS0_14default_configENS1_22reduce_config_selectorIN6thrust23THRUST_200600_302600_NS5tupleIblNS6_9null_typeES8_S8_S8_S8_S8_S8_S8_EEEEZNS1_11reduce_implILb1ES3_NS6_12zip_iteratorINS7_INS6_11hip_rocprim26transform_input_iterator_tIbNSD_35transform_pair_of_input_iterators_tIbNS6_6detail15normal_iteratorINS6_10device_ptrIKxEEEESL_NS6_8equal_toIxEEEENSG_9not_fun_tINSD_8identityEEEEENSD_19counting_iterator_tIlEES8_S8_S8_S8_S8_S8_S8_S8_EEEEPS9_S9_NSD_9__find_if7functorIS9_EEEE10hipError_tPvRmT1_T2_T3_mT4_P12ihipStream_tbEUlT_E1_NS1_11comp_targetILNS1_3genE2ELNS1_11target_archE906ELNS1_3gpuE6ELNS1_3repE0EEENS1_30default_config_static_selectorELNS0_4arch9wavefront6targetE1EEEvS14_
                                        ; -- End function
	.section	.AMDGPU.csdata,"",@progbits
; Kernel info:
; codeLenInByte = 0
; NumSgprs: 4
; NumVgprs: 0
; NumAgprs: 0
; TotalNumVgprs: 0
; ScratchSize: 0
; MemoryBound: 0
; FloatMode: 240
; IeeeMode: 1
; LDSByteSize: 0 bytes/workgroup (compile time only)
; SGPRBlocks: 0
; VGPRBlocks: 0
; NumSGPRsForWavesPerEU: 4
; NumVGPRsForWavesPerEU: 1
; AccumOffset: 4
; Occupancy: 8
; WaveLimiterHint : 0
; COMPUTE_PGM_RSRC2:SCRATCH_EN: 0
; COMPUTE_PGM_RSRC2:USER_SGPR: 6
; COMPUTE_PGM_RSRC2:TRAP_HANDLER: 0
; COMPUTE_PGM_RSRC2:TGID_X_EN: 1
; COMPUTE_PGM_RSRC2:TGID_Y_EN: 0
; COMPUTE_PGM_RSRC2:TGID_Z_EN: 0
; COMPUTE_PGM_RSRC2:TIDIG_COMP_CNT: 0
; COMPUTE_PGM_RSRC3_GFX90A:ACCUM_OFFSET: 0
; COMPUTE_PGM_RSRC3_GFX90A:TG_SPLIT: 0
	.section	.text._ZN7rocprim17ROCPRIM_400000_NS6detail17trampoline_kernelINS0_14default_configENS1_22reduce_config_selectorIN6thrust23THRUST_200600_302600_NS5tupleIblNS6_9null_typeES8_S8_S8_S8_S8_S8_S8_EEEEZNS1_11reduce_implILb1ES3_NS6_12zip_iteratorINS7_INS6_11hip_rocprim26transform_input_iterator_tIbNSD_35transform_pair_of_input_iterators_tIbNS6_6detail15normal_iteratorINS6_10device_ptrIKxEEEESL_NS6_8equal_toIxEEEENSG_9not_fun_tINSD_8identityEEEEENSD_19counting_iterator_tIlEES8_S8_S8_S8_S8_S8_S8_S8_EEEEPS9_S9_NSD_9__find_if7functorIS9_EEEE10hipError_tPvRmT1_T2_T3_mT4_P12ihipStream_tbEUlT_E1_NS1_11comp_targetILNS1_3genE10ELNS1_11target_archE1201ELNS1_3gpuE5ELNS1_3repE0EEENS1_30default_config_static_selectorELNS0_4arch9wavefront6targetE1EEEvS14_,"axG",@progbits,_ZN7rocprim17ROCPRIM_400000_NS6detail17trampoline_kernelINS0_14default_configENS1_22reduce_config_selectorIN6thrust23THRUST_200600_302600_NS5tupleIblNS6_9null_typeES8_S8_S8_S8_S8_S8_S8_EEEEZNS1_11reduce_implILb1ES3_NS6_12zip_iteratorINS7_INS6_11hip_rocprim26transform_input_iterator_tIbNSD_35transform_pair_of_input_iterators_tIbNS6_6detail15normal_iteratorINS6_10device_ptrIKxEEEESL_NS6_8equal_toIxEEEENSG_9not_fun_tINSD_8identityEEEEENSD_19counting_iterator_tIlEES8_S8_S8_S8_S8_S8_S8_S8_EEEEPS9_S9_NSD_9__find_if7functorIS9_EEEE10hipError_tPvRmT1_T2_T3_mT4_P12ihipStream_tbEUlT_E1_NS1_11comp_targetILNS1_3genE10ELNS1_11target_archE1201ELNS1_3gpuE5ELNS1_3repE0EEENS1_30default_config_static_selectorELNS0_4arch9wavefront6targetE1EEEvS14_,comdat
	.protected	_ZN7rocprim17ROCPRIM_400000_NS6detail17trampoline_kernelINS0_14default_configENS1_22reduce_config_selectorIN6thrust23THRUST_200600_302600_NS5tupleIblNS6_9null_typeES8_S8_S8_S8_S8_S8_S8_EEEEZNS1_11reduce_implILb1ES3_NS6_12zip_iteratorINS7_INS6_11hip_rocprim26transform_input_iterator_tIbNSD_35transform_pair_of_input_iterators_tIbNS6_6detail15normal_iteratorINS6_10device_ptrIKxEEEESL_NS6_8equal_toIxEEEENSG_9not_fun_tINSD_8identityEEEEENSD_19counting_iterator_tIlEES8_S8_S8_S8_S8_S8_S8_S8_EEEEPS9_S9_NSD_9__find_if7functorIS9_EEEE10hipError_tPvRmT1_T2_T3_mT4_P12ihipStream_tbEUlT_E1_NS1_11comp_targetILNS1_3genE10ELNS1_11target_archE1201ELNS1_3gpuE5ELNS1_3repE0EEENS1_30default_config_static_selectorELNS0_4arch9wavefront6targetE1EEEvS14_ ; -- Begin function _ZN7rocprim17ROCPRIM_400000_NS6detail17trampoline_kernelINS0_14default_configENS1_22reduce_config_selectorIN6thrust23THRUST_200600_302600_NS5tupleIblNS6_9null_typeES8_S8_S8_S8_S8_S8_S8_EEEEZNS1_11reduce_implILb1ES3_NS6_12zip_iteratorINS7_INS6_11hip_rocprim26transform_input_iterator_tIbNSD_35transform_pair_of_input_iterators_tIbNS6_6detail15normal_iteratorINS6_10device_ptrIKxEEEESL_NS6_8equal_toIxEEEENSG_9not_fun_tINSD_8identityEEEEENSD_19counting_iterator_tIlEES8_S8_S8_S8_S8_S8_S8_S8_EEEEPS9_S9_NSD_9__find_if7functorIS9_EEEE10hipError_tPvRmT1_T2_T3_mT4_P12ihipStream_tbEUlT_E1_NS1_11comp_targetILNS1_3genE10ELNS1_11target_archE1201ELNS1_3gpuE5ELNS1_3repE0EEENS1_30default_config_static_selectorELNS0_4arch9wavefront6targetE1EEEvS14_
	.globl	_ZN7rocprim17ROCPRIM_400000_NS6detail17trampoline_kernelINS0_14default_configENS1_22reduce_config_selectorIN6thrust23THRUST_200600_302600_NS5tupleIblNS6_9null_typeES8_S8_S8_S8_S8_S8_S8_EEEEZNS1_11reduce_implILb1ES3_NS6_12zip_iteratorINS7_INS6_11hip_rocprim26transform_input_iterator_tIbNSD_35transform_pair_of_input_iterators_tIbNS6_6detail15normal_iteratorINS6_10device_ptrIKxEEEESL_NS6_8equal_toIxEEEENSG_9not_fun_tINSD_8identityEEEEENSD_19counting_iterator_tIlEES8_S8_S8_S8_S8_S8_S8_S8_EEEEPS9_S9_NSD_9__find_if7functorIS9_EEEE10hipError_tPvRmT1_T2_T3_mT4_P12ihipStream_tbEUlT_E1_NS1_11comp_targetILNS1_3genE10ELNS1_11target_archE1201ELNS1_3gpuE5ELNS1_3repE0EEENS1_30default_config_static_selectorELNS0_4arch9wavefront6targetE1EEEvS14_
	.p2align	8
	.type	_ZN7rocprim17ROCPRIM_400000_NS6detail17trampoline_kernelINS0_14default_configENS1_22reduce_config_selectorIN6thrust23THRUST_200600_302600_NS5tupleIblNS6_9null_typeES8_S8_S8_S8_S8_S8_S8_EEEEZNS1_11reduce_implILb1ES3_NS6_12zip_iteratorINS7_INS6_11hip_rocprim26transform_input_iterator_tIbNSD_35transform_pair_of_input_iterators_tIbNS6_6detail15normal_iteratorINS6_10device_ptrIKxEEEESL_NS6_8equal_toIxEEEENSG_9not_fun_tINSD_8identityEEEEENSD_19counting_iterator_tIlEES8_S8_S8_S8_S8_S8_S8_S8_EEEEPS9_S9_NSD_9__find_if7functorIS9_EEEE10hipError_tPvRmT1_T2_T3_mT4_P12ihipStream_tbEUlT_E1_NS1_11comp_targetILNS1_3genE10ELNS1_11target_archE1201ELNS1_3gpuE5ELNS1_3repE0EEENS1_30default_config_static_selectorELNS0_4arch9wavefront6targetE1EEEvS14_,@function
_ZN7rocprim17ROCPRIM_400000_NS6detail17trampoline_kernelINS0_14default_configENS1_22reduce_config_selectorIN6thrust23THRUST_200600_302600_NS5tupleIblNS6_9null_typeES8_S8_S8_S8_S8_S8_S8_EEEEZNS1_11reduce_implILb1ES3_NS6_12zip_iteratorINS7_INS6_11hip_rocprim26transform_input_iterator_tIbNSD_35transform_pair_of_input_iterators_tIbNS6_6detail15normal_iteratorINS6_10device_ptrIKxEEEESL_NS6_8equal_toIxEEEENSG_9not_fun_tINSD_8identityEEEEENSD_19counting_iterator_tIlEES8_S8_S8_S8_S8_S8_S8_S8_EEEEPS9_S9_NSD_9__find_if7functorIS9_EEEE10hipError_tPvRmT1_T2_T3_mT4_P12ihipStream_tbEUlT_E1_NS1_11comp_targetILNS1_3genE10ELNS1_11target_archE1201ELNS1_3gpuE5ELNS1_3repE0EEENS1_30default_config_static_selectorELNS0_4arch9wavefront6targetE1EEEvS14_: ; @_ZN7rocprim17ROCPRIM_400000_NS6detail17trampoline_kernelINS0_14default_configENS1_22reduce_config_selectorIN6thrust23THRUST_200600_302600_NS5tupleIblNS6_9null_typeES8_S8_S8_S8_S8_S8_S8_EEEEZNS1_11reduce_implILb1ES3_NS6_12zip_iteratorINS7_INS6_11hip_rocprim26transform_input_iterator_tIbNSD_35transform_pair_of_input_iterators_tIbNS6_6detail15normal_iteratorINS6_10device_ptrIKxEEEESL_NS6_8equal_toIxEEEENSG_9not_fun_tINSD_8identityEEEEENSD_19counting_iterator_tIlEES8_S8_S8_S8_S8_S8_S8_S8_EEEEPS9_S9_NSD_9__find_if7functorIS9_EEEE10hipError_tPvRmT1_T2_T3_mT4_P12ihipStream_tbEUlT_E1_NS1_11comp_targetILNS1_3genE10ELNS1_11target_archE1201ELNS1_3gpuE5ELNS1_3repE0EEENS1_30default_config_static_selectorELNS0_4arch9wavefront6targetE1EEEvS14_
; %bb.0:
	.section	.rodata,"a",@progbits
	.p2align	6, 0x0
	.amdhsa_kernel _ZN7rocprim17ROCPRIM_400000_NS6detail17trampoline_kernelINS0_14default_configENS1_22reduce_config_selectorIN6thrust23THRUST_200600_302600_NS5tupleIblNS6_9null_typeES8_S8_S8_S8_S8_S8_S8_EEEEZNS1_11reduce_implILb1ES3_NS6_12zip_iteratorINS7_INS6_11hip_rocprim26transform_input_iterator_tIbNSD_35transform_pair_of_input_iterators_tIbNS6_6detail15normal_iteratorINS6_10device_ptrIKxEEEESL_NS6_8equal_toIxEEEENSG_9not_fun_tINSD_8identityEEEEENSD_19counting_iterator_tIlEES8_S8_S8_S8_S8_S8_S8_S8_EEEEPS9_S9_NSD_9__find_if7functorIS9_EEEE10hipError_tPvRmT1_T2_T3_mT4_P12ihipStream_tbEUlT_E1_NS1_11comp_targetILNS1_3genE10ELNS1_11target_archE1201ELNS1_3gpuE5ELNS1_3repE0EEENS1_30default_config_static_selectorELNS0_4arch9wavefront6targetE1EEEvS14_
		.amdhsa_group_segment_fixed_size 0
		.amdhsa_private_segment_fixed_size 0
		.amdhsa_kernarg_size 88
		.amdhsa_user_sgpr_count 6
		.amdhsa_user_sgpr_private_segment_buffer 1
		.amdhsa_user_sgpr_dispatch_ptr 0
		.amdhsa_user_sgpr_queue_ptr 0
		.amdhsa_user_sgpr_kernarg_segment_ptr 1
		.amdhsa_user_sgpr_dispatch_id 0
		.amdhsa_user_sgpr_flat_scratch_init 0
		.amdhsa_user_sgpr_kernarg_preload_length 0
		.amdhsa_user_sgpr_kernarg_preload_offset 0
		.amdhsa_user_sgpr_private_segment_size 0
		.amdhsa_uses_dynamic_stack 0
		.amdhsa_system_sgpr_private_segment_wavefront_offset 0
		.amdhsa_system_sgpr_workgroup_id_x 1
		.amdhsa_system_sgpr_workgroup_id_y 0
		.amdhsa_system_sgpr_workgroup_id_z 0
		.amdhsa_system_sgpr_workgroup_info 0
		.amdhsa_system_vgpr_workitem_id 0
		.amdhsa_next_free_vgpr 1
		.amdhsa_next_free_sgpr 0
		.amdhsa_accum_offset 4
		.amdhsa_reserve_vcc 0
		.amdhsa_reserve_flat_scratch 0
		.amdhsa_float_round_mode_32 0
		.amdhsa_float_round_mode_16_64 0
		.amdhsa_float_denorm_mode_32 3
		.amdhsa_float_denorm_mode_16_64 3
		.amdhsa_dx10_clamp 1
		.amdhsa_ieee_mode 1
		.amdhsa_fp16_overflow 0
		.amdhsa_tg_split 0
		.amdhsa_exception_fp_ieee_invalid_op 0
		.amdhsa_exception_fp_denorm_src 0
		.amdhsa_exception_fp_ieee_div_zero 0
		.amdhsa_exception_fp_ieee_overflow 0
		.amdhsa_exception_fp_ieee_underflow 0
		.amdhsa_exception_fp_ieee_inexact 0
		.amdhsa_exception_int_div_zero 0
	.end_amdhsa_kernel
	.section	.text._ZN7rocprim17ROCPRIM_400000_NS6detail17trampoline_kernelINS0_14default_configENS1_22reduce_config_selectorIN6thrust23THRUST_200600_302600_NS5tupleIblNS6_9null_typeES8_S8_S8_S8_S8_S8_S8_EEEEZNS1_11reduce_implILb1ES3_NS6_12zip_iteratorINS7_INS6_11hip_rocprim26transform_input_iterator_tIbNSD_35transform_pair_of_input_iterators_tIbNS6_6detail15normal_iteratorINS6_10device_ptrIKxEEEESL_NS6_8equal_toIxEEEENSG_9not_fun_tINSD_8identityEEEEENSD_19counting_iterator_tIlEES8_S8_S8_S8_S8_S8_S8_S8_EEEEPS9_S9_NSD_9__find_if7functorIS9_EEEE10hipError_tPvRmT1_T2_T3_mT4_P12ihipStream_tbEUlT_E1_NS1_11comp_targetILNS1_3genE10ELNS1_11target_archE1201ELNS1_3gpuE5ELNS1_3repE0EEENS1_30default_config_static_selectorELNS0_4arch9wavefront6targetE1EEEvS14_,"axG",@progbits,_ZN7rocprim17ROCPRIM_400000_NS6detail17trampoline_kernelINS0_14default_configENS1_22reduce_config_selectorIN6thrust23THRUST_200600_302600_NS5tupleIblNS6_9null_typeES8_S8_S8_S8_S8_S8_S8_EEEEZNS1_11reduce_implILb1ES3_NS6_12zip_iteratorINS7_INS6_11hip_rocprim26transform_input_iterator_tIbNSD_35transform_pair_of_input_iterators_tIbNS6_6detail15normal_iteratorINS6_10device_ptrIKxEEEESL_NS6_8equal_toIxEEEENSG_9not_fun_tINSD_8identityEEEEENSD_19counting_iterator_tIlEES8_S8_S8_S8_S8_S8_S8_S8_EEEEPS9_S9_NSD_9__find_if7functorIS9_EEEE10hipError_tPvRmT1_T2_T3_mT4_P12ihipStream_tbEUlT_E1_NS1_11comp_targetILNS1_3genE10ELNS1_11target_archE1201ELNS1_3gpuE5ELNS1_3repE0EEENS1_30default_config_static_selectorELNS0_4arch9wavefront6targetE1EEEvS14_,comdat
.Lfunc_end239:
	.size	_ZN7rocprim17ROCPRIM_400000_NS6detail17trampoline_kernelINS0_14default_configENS1_22reduce_config_selectorIN6thrust23THRUST_200600_302600_NS5tupleIblNS6_9null_typeES8_S8_S8_S8_S8_S8_S8_EEEEZNS1_11reduce_implILb1ES3_NS6_12zip_iteratorINS7_INS6_11hip_rocprim26transform_input_iterator_tIbNSD_35transform_pair_of_input_iterators_tIbNS6_6detail15normal_iteratorINS6_10device_ptrIKxEEEESL_NS6_8equal_toIxEEEENSG_9not_fun_tINSD_8identityEEEEENSD_19counting_iterator_tIlEES8_S8_S8_S8_S8_S8_S8_S8_EEEEPS9_S9_NSD_9__find_if7functorIS9_EEEE10hipError_tPvRmT1_T2_T3_mT4_P12ihipStream_tbEUlT_E1_NS1_11comp_targetILNS1_3genE10ELNS1_11target_archE1201ELNS1_3gpuE5ELNS1_3repE0EEENS1_30default_config_static_selectorELNS0_4arch9wavefront6targetE1EEEvS14_, .Lfunc_end239-_ZN7rocprim17ROCPRIM_400000_NS6detail17trampoline_kernelINS0_14default_configENS1_22reduce_config_selectorIN6thrust23THRUST_200600_302600_NS5tupleIblNS6_9null_typeES8_S8_S8_S8_S8_S8_S8_EEEEZNS1_11reduce_implILb1ES3_NS6_12zip_iteratorINS7_INS6_11hip_rocprim26transform_input_iterator_tIbNSD_35transform_pair_of_input_iterators_tIbNS6_6detail15normal_iteratorINS6_10device_ptrIKxEEEESL_NS6_8equal_toIxEEEENSG_9not_fun_tINSD_8identityEEEEENSD_19counting_iterator_tIlEES8_S8_S8_S8_S8_S8_S8_S8_EEEEPS9_S9_NSD_9__find_if7functorIS9_EEEE10hipError_tPvRmT1_T2_T3_mT4_P12ihipStream_tbEUlT_E1_NS1_11comp_targetILNS1_3genE10ELNS1_11target_archE1201ELNS1_3gpuE5ELNS1_3repE0EEENS1_30default_config_static_selectorELNS0_4arch9wavefront6targetE1EEEvS14_
                                        ; -- End function
	.section	.AMDGPU.csdata,"",@progbits
; Kernel info:
; codeLenInByte = 0
; NumSgprs: 4
; NumVgprs: 0
; NumAgprs: 0
; TotalNumVgprs: 0
; ScratchSize: 0
; MemoryBound: 0
; FloatMode: 240
; IeeeMode: 1
; LDSByteSize: 0 bytes/workgroup (compile time only)
; SGPRBlocks: 0
; VGPRBlocks: 0
; NumSGPRsForWavesPerEU: 4
; NumVGPRsForWavesPerEU: 1
; AccumOffset: 4
; Occupancy: 8
; WaveLimiterHint : 0
; COMPUTE_PGM_RSRC2:SCRATCH_EN: 0
; COMPUTE_PGM_RSRC2:USER_SGPR: 6
; COMPUTE_PGM_RSRC2:TRAP_HANDLER: 0
; COMPUTE_PGM_RSRC2:TGID_X_EN: 1
; COMPUTE_PGM_RSRC2:TGID_Y_EN: 0
; COMPUTE_PGM_RSRC2:TGID_Z_EN: 0
; COMPUTE_PGM_RSRC2:TIDIG_COMP_CNT: 0
; COMPUTE_PGM_RSRC3_GFX90A:ACCUM_OFFSET: 0
; COMPUTE_PGM_RSRC3_GFX90A:TG_SPLIT: 0
	.section	.text._ZN7rocprim17ROCPRIM_400000_NS6detail17trampoline_kernelINS0_14default_configENS1_22reduce_config_selectorIN6thrust23THRUST_200600_302600_NS5tupleIblNS6_9null_typeES8_S8_S8_S8_S8_S8_S8_EEEEZNS1_11reduce_implILb1ES3_NS6_12zip_iteratorINS7_INS6_11hip_rocprim26transform_input_iterator_tIbNSD_35transform_pair_of_input_iterators_tIbNS6_6detail15normal_iteratorINS6_10device_ptrIKxEEEESL_NS6_8equal_toIxEEEENSG_9not_fun_tINSD_8identityEEEEENSD_19counting_iterator_tIlEES8_S8_S8_S8_S8_S8_S8_S8_EEEEPS9_S9_NSD_9__find_if7functorIS9_EEEE10hipError_tPvRmT1_T2_T3_mT4_P12ihipStream_tbEUlT_E1_NS1_11comp_targetILNS1_3genE10ELNS1_11target_archE1200ELNS1_3gpuE4ELNS1_3repE0EEENS1_30default_config_static_selectorELNS0_4arch9wavefront6targetE1EEEvS14_,"axG",@progbits,_ZN7rocprim17ROCPRIM_400000_NS6detail17trampoline_kernelINS0_14default_configENS1_22reduce_config_selectorIN6thrust23THRUST_200600_302600_NS5tupleIblNS6_9null_typeES8_S8_S8_S8_S8_S8_S8_EEEEZNS1_11reduce_implILb1ES3_NS6_12zip_iteratorINS7_INS6_11hip_rocprim26transform_input_iterator_tIbNSD_35transform_pair_of_input_iterators_tIbNS6_6detail15normal_iteratorINS6_10device_ptrIKxEEEESL_NS6_8equal_toIxEEEENSG_9not_fun_tINSD_8identityEEEEENSD_19counting_iterator_tIlEES8_S8_S8_S8_S8_S8_S8_S8_EEEEPS9_S9_NSD_9__find_if7functorIS9_EEEE10hipError_tPvRmT1_T2_T3_mT4_P12ihipStream_tbEUlT_E1_NS1_11comp_targetILNS1_3genE10ELNS1_11target_archE1200ELNS1_3gpuE4ELNS1_3repE0EEENS1_30default_config_static_selectorELNS0_4arch9wavefront6targetE1EEEvS14_,comdat
	.protected	_ZN7rocprim17ROCPRIM_400000_NS6detail17trampoline_kernelINS0_14default_configENS1_22reduce_config_selectorIN6thrust23THRUST_200600_302600_NS5tupleIblNS6_9null_typeES8_S8_S8_S8_S8_S8_S8_EEEEZNS1_11reduce_implILb1ES3_NS6_12zip_iteratorINS7_INS6_11hip_rocprim26transform_input_iterator_tIbNSD_35transform_pair_of_input_iterators_tIbNS6_6detail15normal_iteratorINS6_10device_ptrIKxEEEESL_NS6_8equal_toIxEEEENSG_9not_fun_tINSD_8identityEEEEENSD_19counting_iterator_tIlEES8_S8_S8_S8_S8_S8_S8_S8_EEEEPS9_S9_NSD_9__find_if7functorIS9_EEEE10hipError_tPvRmT1_T2_T3_mT4_P12ihipStream_tbEUlT_E1_NS1_11comp_targetILNS1_3genE10ELNS1_11target_archE1200ELNS1_3gpuE4ELNS1_3repE0EEENS1_30default_config_static_selectorELNS0_4arch9wavefront6targetE1EEEvS14_ ; -- Begin function _ZN7rocprim17ROCPRIM_400000_NS6detail17trampoline_kernelINS0_14default_configENS1_22reduce_config_selectorIN6thrust23THRUST_200600_302600_NS5tupleIblNS6_9null_typeES8_S8_S8_S8_S8_S8_S8_EEEEZNS1_11reduce_implILb1ES3_NS6_12zip_iteratorINS7_INS6_11hip_rocprim26transform_input_iterator_tIbNSD_35transform_pair_of_input_iterators_tIbNS6_6detail15normal_iteratorINS6_10device_ptrIKxEEEESL_NS6_8equal_toIxEEEENSG_9not_fun_tINSD_8identityEEEEENSD_19counting_iterator_tIlEES8_S8_S8_S8_S8_S8_S8_S8_EEEEPS9_S9_NSD_9__find_if7functorIS9_EEEE10hipError_tPvRmT1_T2_T3_mT4_P12ihipStream_tbEUlT_E1_NS1_11comp_targetILNS1_3genE10ELNS1_11target_archE1200ELNS1_3gpuE4ELNS1_3repE0EEENS1_30default_config_static_selectorELNS0_4arch9wavefront6targetE1EEEvS14_
	.globl	_ZN7rocprim17ROCPRIM_400000_NS6detail17trampoline_kernelINS0_14default_configENS1_22reduce_config_selectorIN6thrust23THRUST_200600_302600_NS5tupleIblNS6_9null_typeES8_S8_S8_S8_S8_S8_S8_EEEEZNS1_11reduce_implILb1ES3_NS6_12zip_iteratorINS7_INS6_11hip_rocprim26transform_input_iterator_tIbNSD_35transform_pair_of_input_iterators_tIbNS6_6detail15normal_iteratorINS6_10device_ptrIKxEEEESL_NS6_8equal_toIxEEEENSG_9not_fun_tINSD_8identityEEEEENSD_19counting_iterator_tIlEES8_S8_S8_S8_S8_S8_S8_S8_EEEEPS9_S9_NSD_9__find_if7functorIS9_EEEE10hipError_tPvRmT1_T2_T3_mT4_P12ihipStream_tbEUlT_E1_NS1_11comp_targetILNS1_3genE10ELNS1_11target_archE1200ELNS1_3gpuE4ELNS1_3repE0EEENS1_30default_config_static_selectorELNS0_4arch9wavefront6targetE1EEEvS14_
	.p2align	8
	.type	_ZN7rocprim17ROCPRIM_400000_NS6detail17trampoline_kernelINS0_14default_configENS1_22reduce_config_selectorIN6thrust23THRUST_200600_302600_NS5tupleIblNS6_9null_typeES8_S8_S8_S8_S8_S8_S8_EEEEZNS1_11reduce_implILb1ES3_NS6_12zip_iteratorINS7_INS6_11hip_rocprim26transform_input_iterator_tIbNSD_35transform_pair_of_input_iterators_tIbNS6_6detail15normal_iteratorINS6_10device_ptrIKxEEEESL_NS6_8equal_toIxEEEENSG_9not_fun_tINSD_8identityEEEEENSD_19counting_iterator_tIlEES8_S8_S8_S8_S8_S8_S8_S8_EEEEPS9_S9_NSD_9__find_if7functorIS9_EEEE10hipError_tPvRmT1_T2_T3_mT4_P12ihipStream_tbEUlT_E1_NS1_11comp_targetILNS1_3genE10ELNS1_11target_archE1200ELNS1_3gpuE4ELNS1_3repE0EEENS1_30default_config_static_selectorELNS0_4arch9wavefront6targetE1EEEvS14_,@function
_ZN7rocprim17ROCPRIM_400000_NS6detail17trampoline_kernelINS0_14default_configENS1_22reduce_config_selectorIN6thrust23THRUST_200600_302600_NS5tupleIblNS6_9null_typeES8_S8_S8_S8_S8_S8_S8_EEEEZNS1_11reduce_implILb1ES3_NS6_12zip_iteratorINS7_INS6_11hip_rocprim26transform_input_iterator_tIbNSD_35transform_pair_of_input_iterators_tIbNS6_6detail15normal_iteratorINS6_10device_ptrIKxEEEESL_NS6_8equal_toIxEEEENSG_9not_fun_tINSD_8identityEEEEENSD_19counting_iterator_tIlEES8_S8_S8_S8_S8_S8_S8_S8_EEEEPS9_S9_NSD_9__find_if7functorIS9_EEEE10hipError_tPvRmT1_T2_T3_mT4_P12ihipStream_tbEUlT_E1_NS1_11comp_targetILNS1_3genE10ELNS1_11target_archE1200ELNS1_3gpuE4ELNS1_3repE0EEENS1_30default_config_static_selectorELNS0_4arch9wavefront6targetE1EEEvS14_: ; @_ZN7rocprim17ROCPRIM_400000_NS6detail17trampoline_kernelINS0_14default_configENS1_22reduce_config_selectorIN6thrust23THRUST_200600_302600_NS5tupleIblNS6_9null_typeES8_S8_S8_S8_S8_S8_S8_EEEEZNS1_11reduce_implILb1ES3_NS6_12zip_iteratorINS7_INS6_11hip_rocprim26transform_input_iterator_tIbNSD_35transform_pair_of_input_iterators_tIbNS6_6detail15normal_iteratorINS6_10device_ptrIKxEEEESL_NS6_8equal_toIxEEEENSG_9not_fun_tINSD_8identityEEEEENSD_19counting_iterator_tIlEES8_S8_S8_S8_S8_S8_S8_S8_EEEEPS9_S9_NSD_9__find_if7functorIS9_EEEE10hipError_tPvRmT1_T2_T3_mT4_P12ihipStream_tbEUlT_E1_NS1_11comp_targetILNS1_3genE10ELNS1_11target_archE1200ELNS1_3gpuE4ELNS1_3repE0EEENS1_30default_config_static_selectorELNS0_4arch9wavefront6targetE1EEEvS14_
; %bb.0:
	.section	.rodata,"a",@progbits
	.p2align	6, 0x0
	.amdhsa_kernel _ZN7rocprim17ROCPRIM_400000_NS6detail17trampoline_kernelINS0_14default_configENS1_22reduce_config_selectorIN6thrust23THRUST_200600_302600_NS5tupleIblNS6_9null_typeES8_S8_S8_S8_S8_S8_S8_EEEEZNS1_11reduce_implILb1ES3_NS6_12zip_iteratorINS7_INS6_11hip_rocprim26transform_input_iterator_tIbNSD_35transform_pair_of_input_iterators_tIbNS6_6detail15normal_iteratorINS6_10device_ptrIKxEEEESL_NS6_8equal_toIxEEEENSG_9not_fun_tINSD_8identityEEEEENSD_19counting_iterator_tIlEES8_S8_S8_S8_S8_S8_S8_S8_EEEEPS9_S9_NSD_9__find_if7functorIS9_EEEE10hipError_tPvRmT1_T2_T3_mT4_P12ihipStream_tbEUlT_E1_NS1_11comp_targetILNS1_3genE10ELNS1_11target_archE1200ELNS1_3gpuE4ELNS1_3repE0EEENS1_30default_config_static_selectorELNS0_4arch9wavefront6targetE1EEEvS14_
		.amdhsa_group_segment_fixed_size 0
		.amdhsa_private_segment_fixed_size 0
		.amdhsa_kernarg_size 88
		.amdhsa_user_sgpr_count 6
		.amdhsa_user_sgpr_private_segment_buffer 1
		.amdhsa_user_sgpr_dispatch_ptr 0
		.amdhsa_user_sgpr_queue_ptr 0
		.amdhsa_user_sgpr_kernarg_segment_ptr 1
		.amdhsa_user_sgpr_dispatch_id 0
		.amdhsa_user_sgpr_flat_scratch_init 0
		.amdhsa_user_sgpr_kernarg_preload_length 0
		.amdhsa_user_sgpr_kernarg_preload_offset 0
		.amdhsa_user_sgpr_private_segment_size 0
		.amdhsa_uses_dynamic_stack 0
		.amdhsa_system_sgpr_private_segment_wavefront_offset 0
		.amdhsa_system_sgpr_workgroup_id_x 1
		.amdhsa_system_sgpr_workgroup_id_y 0
		.amdhsa_system_sgpr_workgroup_id_z 0
		.amdhsa_system_sgpr_workgroup_info 0
		.amdhsa_system_vgpr_workitem_id 0
		.amdhsa_next_free_vgpr 1
		.amdhsa_next_free_sgpr 0
		.amdhsa_accum_offset 4
		.amdhsa_reserve_vcc 0
		.amdhsa_reserve_flat_scratch 0
		.amdhsa_float_round_mode_32 0
		.amdhsa_float_round_mode_16_64 0
		.amdhsa_float_denorm_mode_32 3
		.amdhsa_float_denorm_mode_16_64 3
		.amdhsa_dx10_clamp 1
		.amdhsa_ieee_mode 1
		.amdhsa_fp16_overflow 0
		.amdhsa_tg_split 0
		.amdhsa_exception_fp_ieee_invalid_op 0
		.amdhsa_exception_fp_denorm_src 0
		.amdhsa_exception_fp_ieee_div_zero 0
		.amdhsa_exception_fp_ieee_overflow 0
		.amdhsa_exception_fp_ieee_underflow 0
		.amdhsa_exception_fp_ieee_inexact 0
		.amdhsa_exception_int_div_zero 0
	.end_amdhsa_kernel
	.section	.text._ZN7rocprim17ROCPRIM_400000_NS6detail17trampoline_kernelINS0_14default_configENS1_22reduce_config_selectorIN6thrust23THRUST_200600_302600_NS5tupleIblNS6_9null_typeES8_S8_S8_S8_S8_S8_S8_EEEEZNS1_11reduce_implILb1ES3_NS6_12zip_iteratorINS7_INS6_11hip_rocprim26transform_input_iterator_tIbNSD_35transform_pair_of_input_iterators_tIbNS6_6detail15normal_iteratorINS6_10device_ptrIKxEEEESL_NS6_8equal_toIxEEEENSG_9not_fun_tINSD_8identityEEEEENSD_19counting_iterator_tIlEES8_S8_S8_S8_S8_S8_S8_S8_EEEEPS9_S9_NSD_9__find_if7functorIS9_EEEE10hipError_tPvRmT1_T2_T3_mT4_P12ihipStream_tbEUlT_E1_NS1_11comp_targetILNS1_3genE10ELNS1_11target_archE1200ELNS1_3gpuE4ELNS1_3repE0EEENS1_30default_config_static_selectorELNS0_4arch9wavefront6targetE1EEEvS14_,"axG",@progbits,_ZN7rocprim17ROCPRIM_400000_NS6detail17trampoline_kernelINS0_14default_configENS1_22reduce_config_selectorIN6thrust23THRUST_200600_302600_NS5tupleIblNS6_9null_typeES8_S8_S8_S8_S8_S8_S8_EEEEZNS1_11reduce_implILb1ES3_NS6_12zip_iteratorINS7_INS6_11hip_rocprim26transform_input_iterator_tIbNSD_35transform_pair_of_input_iterators_tIbNS6_6detail15normal_iteratorINS6_10device_ptrIKxEEEESL_NS6_8equal_toIxEEEENSG_9not_fun_tINSD_8identityEEEEENSD_19counting_iterator_tIlEES8_S8_S8_S8_S8_S8_S8_S8_EEEEPS9_S9_NSD_9__find_if7functorIS9_EEEE10hipError_tPvRmT1_T2_T3_mT4_P12ihipStream_tbEUlT_E1_NS1_11comp_targetILNS1_3genE10ELNS1_11target_archE1200ELNS1_3gpuE4ELNS1_3repE0EEENS1_30default_config_static_selectorELNS0_4arch9wavefront6targetE1EEEvS14_,comdat
.Lfunc_end240:
	.size	_ZN7rocprim17ROCPRIM_400000_NS6detail17trampoline_kernelINS0_14default_configENS1_22reduce_config_selectorIN6thrust23THRUST_200600_302600_NS5tupleIblNS6_9null_typeES8_S8_S8_S8_S8_S8_S8_EEEEZNS1_11reduce_implILb1ES3_NS6_12zip_iteratorINS7_INS6_11hip_rocprim26transform_input_iterator_tIbNSD_35transform_pair_of_input_iterators_tIbNS6_6detail15normal_iteratorINS6_10device_ptrIKxEEEESL_NS6_8equal_toIxEEEENSG_9not_fun_tINSD_8identityEEEEENSD_19counting_iterator_tIlEES8_S8_S8_S8_S8_S8_S8_S8_EEEEPS9_S9_NSD_9__find_if7functorIS9_EEEE10hipError_tPvRmT1_T2_T3_mT4_P12ihipStream_tbEUlT_E1_NS1_11comp_targetILNS1_3genE10ELNS1_11target_archE1200ELNS1_3gpuE4ELNS1_3repE0EEENS1_30default_config_static_selectorELNS0_4arch9wavefront6targetE1EEEvS14_, .Lfunc_end240-_ZN7rocprim17ROCPRIM_400000_NS6detail17trampoline_kernelINS0_14default_configENS1_22reduce_config_selectorIN6thrust23THRUST_200600_302600_NS5tupleIblNS6_9null_typeES8_S8_S8_S8_S8_S8_S8_EEEEZNS1_11reduce_implILb1ES3_NS6_12zip_iteratorINS7_INS6_11hip_rocprim26transform_input_iterator_tIbNSD_35transform_pair_of_input_iterators_tIbNS6_6detail15normal_iteratorINS6_10device_ptrIKxEEEESL_NS6_8equal_toIxEEEENSG_9not_fun_tINSD_8identityEEEEENSD_19counting_iterator_tIlEES8_S8_S8_S8_S8_S8_S8_S8_EEEEPS9_S9_NSD_9__find_if7functorIS9_EEEE10hipError_tPvRmT1_T2_T3_mT4_P12ihipStream_tbEUlT_E1_NS1_11comp_targetILNS1_3genE10ELNS1_11target_archE1200ELNS1_3gpuE4ELNS1_3repE0EEENS1_30default_config_static_selectorELNS0_4arch9wavefront6targetE1EEEvS14_
                                        ; -- End function
	.section	.AMDGPU.csdata,"",@progbits
; Kernel info:
; codeLenInByte = 0
; NumSgprs: 4
; NumVgprs: 0
; NumAgprs: 0
; TotalNumVgprs: 0
; ScratchSize: 0
; MemoryBound: 0
; FloatMode: 240
; IeeeMode: 1
; LDSByteSize: 0 bytes/workgroup (compile time only)
; SGPRBlocks: 0
; VGPRBlocks: 0
; NumSGPRsForWavesPerEU: 4
; NumVGPRsForWavesPerEU: 1
; AccumOffset: 4
; Occupancy: 8
; WaveLimiterHint : 0
; COMPUTE_PGM_RSRC2:SCRATCH_EN: 0
; COMPUTE_PGM_RSRC2:USER_SGPR: 6
; COMPUTE_PGM_RSRC2:TRAP_HANDLER: 0
; COMPUTE_PGM_RSRC2:TGID_X_EN: 1
; COMPUTE_PGM_RSRC2:TGID_Y_EN: 0
; COMPUTE_PGM_RSRC2:TGID_Z_EN: 0
; COMPUTE_PGM_RSRC2:TIDIG_COMP_CNT: 0
; COMPUTE_PGM_RSRC3_GFX90A:ACCUM_OFFSET: 0
; COMPUTE_PGM_RSRC3_GFX90A:TG_SPLIT: 0
	.section	.text._ZN7rocprim17ROCPRIM_400000_NS6detail17trampoline_kernelINS0_14default_configENS1_22reduce_config_selectorIN6thrust23THRUST_200600_302600_NS5tupleIblNS6_9null_typeES8_S8_S8_S8_S8_S8_S8_EEEEZNS1_11reduce_implILb1ES3_NS6_12zip_iteratorINS7_INS6_11hip_rocprim26transform_input_iterator_tIbNSD_35transform_pair_of_input_iterators_tIbNS6_6detail15normal_iteratorINS6_10device_ptrIKxEEEESL_NS6_8equal_toIxEEEENSG_9not_fun_tINSD_8identityEEEEENSD_19counting_iterator_tIlEES8_S8_S8_S8_S8_S8_S8_S8_EEEEPS9_S9_NSD_9__find_if7functorIS9_EEEE10hipError_tPvRmT1_T2_T3_mT4_P12ihipStream_tbEUlT_E1_NS1_11comp_targetILNS1_3genE9ELNS1_11target_archE1100ELNS1_3gpuE3ELNS1_3repE0EEENS1_30default_config_static_selectorELNS0_4arch9wavefront6targetE1EEEvS14_,"axG",@progbits,_ZN7rocprim17ROCPRIM_400000_NS6detail17trampoline_kernelINS0_14default_configENS1_22reduce_config_selectorIN6thrust23THRUST_200600_302600_NS5tupleIblNS6_9null_typeES8_S8_S8_S8_S8_S8_S8_EEEEZNS1_11reduce_implILb1ES3_NS6_12zip_iteratorINS7_INS6_11hip_rocprim26transform_input_iterator_tIbNSD_35transform_pair_of_input_iterators_tIbNS6_6detail15normal_iteratorINS6_10device_ptrIKxEEEESL_NS6_8equal_toIxEEEENSG_9not_fun_tINSD_8identityEEEEENSD_19counting_iterator_tIlEES8_S8_S8_S8_S8_S8_S8_S8_EEEEPS9_S9_NSD_9__find_if7functorIS9_EEEE10hipError_tPvRmT1_T2_T3_mT4_P12ihipStream_tbEUlT_E1_NS1_11comp_targetILNS1_3genE9ELNS1_11target_archE1100ELNS1_3gpuE3ELNS1_3repE0EEENS1_30default_config_static_selectorELNS0_4arch9wavefront6targetE1EEEvS14_,comdat
	.protected	_ZN7rocprim17ROCPRIM_400000_NS6detail17trampoline_kernelINS0_14default_configENS1_22reduce_config_selectorIN6thrust23THRUST_200600_302600_NS5tupleIblNS6_9null_typeES8_S8_S8_S8_S8_S8_S8_EEEEZNS1_11reduce_implILb1ES3_NS6_12zip_iteratorINS7_INS6_11hip_rocprim26transform_input_iterator_tIbNSD_35transform_pair_of_input_iterators_tIbNS6_6detail15normal_iteratorINS6_10device_ptrIKxEEEESL_NS6_8equal_toIxEEEENSG_9not_fun_tINSD_8identityEEEEENSD_19counting_iterator_tIlEES8_S8_S8_S8_S8_S8_S8_S8_EEEEPS9_S9_NSD_9__find_if7functorIS9_EEEE10hipError_tPvRmT1_T2_T3_mT4_P12ihipStream_tbEUlT_E1_NS1_11comp_targetILNS1_3genE9ELNS1_11target_archE1100ELNS1_3gpuE3ELNS1_3repE0EEENS1_30default_config_static_selectorELNS0_4arch9wavefront6targetE1EEEvS14_ ; -- Begin function _ZN7rocprim17ROCPRIM_400000_NS6detail17trampoline_kernelINS0_14default_configENS1_22reduce_config_selectorIN6thrust23THRUST_200600_302600_NS5tupleIblNS6_9null_typeES8_S8_S8_S8_S8_S8_S8_EEEEZNS1_11reduce_implILb1ES3_NS6_12zip_iteratorINS7_INS6_11hip_rocprim26transform_input_iterator_tIbNSD_35transform_pair_of_input_iterators_tIbNS6_6detail15normal_iteratorINS6_10device_ptrIKxEEEESL_NS6_8equal_toIxEEEENSG_9not_fun_tINSD_8identityEEEEENSD_19counting_iterator_tIlEES8_S8_S8_S8_S8_S8_S8_S8_EEEEPS9_S9_NSD_9__find_if7functorIS9_EEEE10hipError_tPvRmT1_T2_T3_mT4_P12ihipStream_tbEUlT_E1_NS1_11comp_targetILNS1_3genE9ELNS1_11target_archE1100ELNS1_3gpuE3ELNS1_3repE0EEENS1_30default_config_static_selectorELNS0_4arch9wavefront6targetE1EEEvS14_
	.globl	_ZN7rocprim17ROCPRIM_400000_NS6detail17trampoline_kernelINS0_14default_configENS1_22reduce_config_selectorIN6thrust23THRUST_200600_302600_NS5tupleIblNS6_9null_typeES8_S8_S8_S8_S8_S8_S8_EEEEZNS1_11reduce_implILb1ES3_NS6_12zip_iteratorINS7_INS6_11hip_rocprim26transform_input_iterator_tIbNSD_35transform_pair_of_input_iterators_tIbNS6_6detail15normal_iteratorINS6_10device_ptrIKxEEEESL_NS6_8equal_toIxEEEENSG_9not_fun_tINSD_8identityEEEEENSD_19counting_iterator_tIlEES8_S8_S8_S8_S8_S8_S8_S8_EEEEPS9_S9_NSD_9__find_if7functorIS9_EEEE10hipError_tPvRmT1_T2_T3_mT4_P12ihipStream_tbEUlT_E1_NS1_11comp_targetILNS1_3genE9ELNS1_11target_archE1100ELNS1_3gpuE3ELNS1_3repE0EEENS1_30default_config_static_selectorELNS0_4arch9wavefront6targetE1EEEvS14_
	.p2align	8
	.type	_ZN7rocprim17ROCPRIM_400000_NS6detail17trampoline_kernelINS0_14default_configENS1_22reduce_config_selectorIN6thrust23THRUST_200600_302600_NS5tupleIblNS6_9null_typeES8_S8_S8_S8_S8_S8_S8_EEEEZNS1_11reduce_implILb1ES3_NS6_12zip_iteratorINS7_INS6_11hip_rocprim26transform_input_iterator_tIbNSD_35transform_pair_of_input_iterators_tIbNS6_6detail15normal_iteratorINS6_10device_ptrIKxEEEESL_NS6_8equal_toIxEEEENSG_9not_fun_tINSD_8identityEEEEENSD_19counting_iterator_tIlEES8_S8_S8_S8_S8_S8_S8_S8_EEEEPS9_S9_NSD_9__find_if7functorIS9_EEEE10hipError_tPvRmT1_T2_T3_mT4_P12ihipStream_tbEUlT_E1_NS1_11comp_targetILNS1_3genE9ELNS1_11target_archE1100ELNS1_3gpuE3ELNS1_3repE0EEENS1_30default_config_static_selectorELNS0_4arch9wavefront6targetE1EEEvS14_,@function
_ZN7rocprim17ROCPRIM_400000_NS6detail17trampoline_kernelINS0_14default_configENS1_22reduce_config_selectorIN6thrust23THRUST_200600_302600_NS5tupleIblNS6_9null_typeES8_S8_S8_S8_S8_S8_S8_EEEEZNS1_11reduce_implILb1ES3_NS6_12zip_iteratorINS7_INS6_11hip_rocprim26transform_input_iterator_tIbNSD_35transform_pair_of_input_iterators_tIbNS6_6detail15normal_iteratorINS6_10device_ptrIKxEEEESL_NS6_8equal_toIxEEEENSG_9not_fun_tINSD_8identityEEEEENSD_19counting_iterator_tIlEES8_S8_S8_S8_S8_S8_S8_S8_EEEEPS9_S9_NSD_9__find_if7functorIS9_EEEE10hipError_tPvRmT1_T2_T3_mT4_P12ihipStream_tbEUlT_E1_NS1_11comp_targetILNS1_3genE9ELNS1_11target_archE1100ELNS1_3gpuE3ELNS1_3repE0EEENS1_30default_config_static_selectorELNS0_4arch9wavefront6targetE1EEEvS14_: ; @_ZN7rocprim17ROCPRIM_400000_NS6detail17trampoline_kernelINS0_14default_configENS1_22reduce_config_selectorIN6thrust23THRUST_200600_302600_NS5tupleIblNS6_9null_typeES8_S8_S8_S8_S8_S8_S8_EEEEZNS1_11reduce_implILb1ES3_NS6_12zip_iteratorINS7_INS6_11hip_rocprim26transform_input_iterator_tIbNSD_35transform_pair_of_input_iterators_tIbNS6_6detail15normal_iteratorINS6_10device_ptrIKxEEEESL_NS6_8equal_toIxEEEENSG_9not_fun_tINSD_8identityEEEEENSD_19counting_iterator_tIlEES8_S8_S8_S8_S8_S8_S8_S8_EEEEPS9_S9_NSD_9__find_if7functorIS9_EEEE10hipError_tPvRmT1_T2_T3_mT4_P12ihipStream_tbEUlT_E1_NS1_11comp_targetILNS1_3genE9ELNS1_11target_archE1100ELNS1_3gpuE3ELNS1_3repE0EEENS1_30default_config_static_selectorELNS0_4arch9wavefront6targetE1EEEvS14_
; %bb.0:
	.section	.rodata,"a",@progbits
	.p2align	6, 0x0
	.amdhsa_kernel _ZN7rocprim17ROCPRIM_400000_NS6detail17trampoline_kernelINS0_14default_configENS1_22reduce_config_selectorIN6thrust23THRUST_200600_302600_NS5tupleIblNS6_9null_typeES8_S8_S8_S8_S8_S8_S8_EEEEZNS1_11reduce_implILb1ES3_NS6_12zip_iteratorINS7_INS6_11hip_rocprim26transform_input_iterator_tIbNSD_35transform_pair_of_input_iterators_tIbNS6_6detail15normal_iteratorINS6_10device_ptrIKxEEEESL_NS6_8equal_toIxEEEENSG_9not_fun_tINSD_8identityEEEEENSD_19counting_iterator_tIlEES8_S8_S8_S8_S8_S8_S8_S8_EEEEPS9_S9_NSD_9__find_if7functorIS9_EEEE10hipError_tPvRmT1_T2_T3_mT4_P12ihipStream_tbEUlT_E1_NS1_11comp_targetILNS1_3genE9ELNS1_11target_archE1100ELNS1_3gpuE3ELNS1_3repE0EEENS1_30default_config_static_selectorELNS0_4arch9wavefront6targetE1EEEvS14_
		.amdhsa_group_segment_fixed_size 0
		.amdhsa_private_segment_fixed_size 0
		.amdhsa_kernarg_size 88
		.amdhsa_user_sgpr_count 6
		.amdhsa_user_sgpr_private_segment_buffer 1
		.amdhsa_user_sgpr_dispatch_ptr 0
		.amdhsa_user_sgpr_queue_ptr 0
		.amdhsa_user_sgpr_kernarg_segment_ptr 1
		.amdhsa_user_sgpr_dispatch_id 0
		.amdhsa_user_sgpr_flat_scratch_init 0
		.amdhsa_user_sgpr_kernarg_preload_length 0
		.amdhsa_user_sgpr_kernarg_preload_offset 0
		.amdhsa_user_sgpr_private_segment_size 0
		.amdhsa_uses_dynamic_stack 0
		.amdhsa_system_sgpr_private_segment_wavefront_offset 0
		.amdhsa_system_sgpr_workgroup_id_x 1
		.amdhsa_system_sgpr_workgroup_id_y 0
		.amdhsa_system_sgpr_workgroup_id_z 0
		.amdhsa_system_sgpr_workgroup_info 0
		.amdhsa_system_vgpr_workitem_id 0
		.amdhsa_next_free_vgpr 1
		.amdhsa_next_free_sgpr 0
		.amdhsa_accum_offset 4
		.amdhsa_reserve_vcc 0
		.amdhsa_reserve_flat_scratch 0
		.amdhsa_float_round_mode_32 0
		.amdhsa_float_round_mode_16_64 0
		.amdhsa_float_denorm_mode_32 3
		.amdhsa_float_denorm_mode_16_64 3
		.amdhsa_dx10_clamp 1
		.amdhsa_ieee_mode 1
		.amdhsa_fp16_overflow 0
		.amdhsa_tg_split 0
		.amdhsa_exception_fp_ieee_invalid_op 0
		.amdhsa_exception_fp_denorm_src 0
		.amdhsa_exception_fp_ieee_div_zero 0
		.amdhsa_exception_fp_ieee_overflow 0
		.amdhsa_exception_fp_ieee_underflow 0
		.amdhsa_exception_fp_ieee_inexact 0
		.amdhsa_exception_int_div_zero 0
	.end_amdhsa_kernel
	.section	.text._ZN7rocprim17ROCPRIM_400000_NS6detail17trampoline_kernelINS0_14default_configENS1_22reduce_config_selectorIN6thrust23THRUST_200600_302600_NS5tupleIblNS6_9null_typeES8_S8_S8_S8_S8_S8_S8_EEEEZNS1_11reduce_implILb1ES3_NS6_12zip_iteratorINS7_INS6_11hip_rocprim26transform_input_iterator_tIbNSD_35transform_pair_of_input_iterators_tIbNS6_6detail15normal_iteratorINS6_10device_ptrIKxEEEESL_NS6_8equal_toIxEEEENSG_9not_fun_tINSD_8identityEEEEENSD_19counting_iterator_tIlEES8_S8_S8_S8_S8_S8_S8_S8_EEEEPS9_S9_NSD_9__find_if7functorIS9_EEEE10hipError_tPvRmT1_T2_T3_mT4_P12ihipStream_tbEUlT_E1_NS1_11comp_targetILNS1_3genE9ELNS1_11target_archE1100ELNS1_3gpuE3ELNS1_3repE0EEENS1_30default_config_static_selectorELNS0_4arch9wavefront6targetE1EEEvS14_,"axG",@progbits,_ZN7rocprim17ROCPRIM_400000_NS6detail17trampoline_kernelINS0_14default_configENS1_22reduce_config_selectorIN6thrust23THRUST_200600_302600_NS5tupleIblNS6_9null_typeES8_S8_S8_S8_S8_S8_S8_EEEEZNS1_11reduce_implILb1ES3_NS6_12zip_iteratorINS7_INS6_11hip_rocprim26transform_input_iterator_tIbNSD_35transform_pair_of_input_iterators_tIbNS6_6detail15normal_iteratorINS6_10device_ptrIKxEEEESL_NS6_8equal_toIxEEEENSG_9not_fun_tINSD_8identityEEEEENSD_19counting_iterator_tIlEES8_S8_S8_S8_S8_S8_S8_S8_EEEEPS9_S9_NSD_9__find_if7functorIS9_EEEE10hipError_tPvRmT1_T2_T3_mT4_P12ihipStream_tbEUlT_E1_NS1_11comp_targetILNS1_3genE9ELNS1_11target_archE1100ELNS1_3gpuE3ELNS1_3repE0EEENS1_30default_config_static_selectorELNS0_4arch9wavefront6targetE1EEEvS14_,comdat
.Lfunc_end241:
	.size	_ZN7rocprim17ROCPRIM_400000_NS6detail17trampoline_kernelINS0_14default_configENS1_22reduce_config_selectorIN6thrust23THRUST_200600_302600_NS5tupleIblNS6_9null_typeES8_S8_S8_S8_S8_S8_S8_EEEEZNS1_11reduce_implILb1ES3_NS6_12zip_iteratorINS7_INS6_11hip_rocprim26transform_input_iterator_tIbNSD_35transform_pair_of_input_iterators_tIbNS6_6detail15normal_iteratorINS6_10device_ptrIKxEEEESL_NS6_8equal_toIxEEEENSG_9not_fun_tINSD_8identityEEEEENSD_19counting_iterator_tIlEES8_S8_S8_S8_S8_S8_S8_S8_EEEEPS9_S9_NSD_9__find_if7functorIS9_EEEE10hipError_tPvRmT1_T2_T3_mT4_P12ihipStream_tbEUlT_E1_NS1_11comp_targetILNS1_3genE9ELNS1_11target_archE1100ELNS1_3gpuE3ELNS1_3repE0EEENS1_30default_config_static_selectorELNS0_4arch9wavefront6targetE1EEEvS14_, .Lfunc_end241-_ZN7rocprim17ROCPRIM_400000_NS6detail17trampoline_kernelINS0_14default_configENS1_22reduce_config_selectorIN6thrust23THRUST_200600_302600_NS5tupleIblNS6_9null_typeES8_S8_S8_S8_S8_S8_S8_EEEEZNS1_11reduce_implILb1ES3_NS6_12zip_iteratorINS7_INS6_11hip_rocprim26transform_input_iterator_tIbNSD_35transform_pair_of_input_iterators_tIbNS6_6detail15normal_iteratorINS6_10device_ptrIKxEEEESL_NS6_8equal_toIxEEEENSG_9not_fun_tINSD_8identityEEEEENSD_19counting_iterator_tIlEES8_S8_S8_S8_S8_S8_S8_S8_EEEEPS9_S9_NSD_9__find_if7functorIS9_EEEE10hipError_tPvRmT1_T2_T3_mT4_P12ihipStream_tbEUlT_E1_NS1_11comp_targetILNS1_3genE9ELNS1_11target_archE1100ELNS1_3gpuE3ELNS1_3repE0EEENS1_30default_config_static_selectorELNS0_4arch9wavefront6targetE1EEEvS14_
                                        ; -- End function
	.section	.AMDGPU.csdata,"",@progbits
; Kernel info:
; codeLenInByte = 0
; NumSgprs: 4
; NumVgprs: 0
; NumAgprs: 0
; TotalNumVgprs: 0
; ScratchSize: 0
; MemoryBound: 0
; FloatMode: 240
; IeeeMode: 1
; LDSByteSize: 0 bytes/workgroup (compile time only)
; SGPRBlocks: 0
; VGPRBlocks: 0
; NumSGPRsForWavesPerEU: 4
; NumVGPRsForWavesPerEU: 1
; AccumOffset: 4
; Occupancy: 8
; WaveLimiterHint : 0
; COMPUTE_PGM_RSRC2:SCRATCH_EN: 0
; COMPUTE_PGM_RSRC2:USER_SGPR: 6
; COMPUTE_PGM_RSRC2:TRAP_HANDLER: 0
; COMPUTE_PGM_RSRC2:TGID_X_EN: 1
; COMPUTE_PGM_RSRC2:TGID_Y_EN: 0
; COMPUTE_PGM_RSRC2:TGID_Z_EN: 0
; COMPUTE_PGM_RSRC2:TIDIG_COMP_CNT: 0
; COMPUTE_PGM_RSRC3_GFX90A:ACCUM_OFFSET: 0
; COMPUTE_PGM_RSRC3_GFX90A:TG_SPLIT: 0
	.section	.text._ZN7rocprim17ROCPRIM_400000_NS6detail17trampoline_kernelINS0_14default_configENS1_22reduce_config_selectorIN6thrust23THRUST_200600_302600_NS5tupleIblNS6_9null_typeES8_S8_S8_S8_S8_S8_S8_EEEEZNS1_11reduce_implILb1ES3_NS6_12zip_iteratorINS7_INS6_11hip_rocprim26transform_input_iterator_tIbNSD_35transform_pair_of_input_iterators_tIbNS6_6detail15normal_iteratorINS6_10device_ptrIKxEEEESL_NS6_8equal_toIxEEEENSG_9not_fun_tINSD_8identityEEEEENSD_19counting_iterator_tIlEES8_S8_S8_S8_S8_S8_S8_S8_EEEEPS9_S9_NSD_9__find_if7functorIS9_EEEE10hipError_tPvRmT1_T2_T3_mT4_P12ihipStream_tbEUlT_E1_NS1_11comp_targetILNS1_3genE8ELNS1_11target_archE1030ELNS1_3gpuE2ELNS1_3repE0EEENS1_30default_config_static_selectorELNS0_4arch9wavefront6targetE1EEEvS14_,"axG",@progbits,_ZN7rocprim17ROCPRIM_400000_NS6detail17trampoline_kernelINS0_14default_configENS1_22reduce_config_selectorIN6thrust23THRUST_200600_302600_NS5tupleIblNS6_9null_typeES8_S8_S8_S8_S8_S8_S8_EEEEZNS1_11reduce_implILb1ES3_NS6_12zip_iteratorINS7_INS6_11hip_rocprim26transform_input_iterator_tIbNSD_35transform_pair_of_input_iterators_tIbNS6_6detail15normal_iteratorINS6_10device_ptrIKxEEEESL_NS6_8equal_toIxEEEENSG_9not_fun_tINSD_8identityEEEEENSD_19counting_iterator_tIlEES8_S8_S8_S8_S8_S8_S8_S8_EEEEPS9_S9_NSD_9__find_if7functorIS9_EEEE10hipError_tPvRmT1_T2_T3_mT4_P12ihipStream_tbEUlT_E1_NS1_11comp_targetILNS1_3genE8ELNS1_11target_archE1030ELNS1_3gpuE2ELNS1_3repE0EEENS1_30default_config_static_selectorELNS0_4arch9wavefront6targetE1EEEvS14_,comdat
	.protected	_ZN7rocprim17ROCPRIM_400000_NS6detail17trampoline_kernelINS0_14default_configENS1_22reduce_config_selectorIN6thrust23THRUST_200600_302600_NS5tupleIblNS6_9null_typeES8_S8_S8_S8_S8_S8_S8_EEEEZNS1_11reduce_implILb1ES3_NS6_12zip_iteratorINS7_INS6_11hip_rocprim26transform_input_iterator_tIbNSD_35transform_pair_of_input_iterators_tIbNS6_6detail15normal_iteratorINS6_10device_ptrIKxEEEESL_NS6_8equal_toIxEEEENSG_9not_fun_tINSD_8identityEEEEENSD_19counting_iterator_tIlEES8_S8_S8_S8_S8_S8_S8_S8_EEEEPS9_S9_NSD_9__find_if7functorIS9_EEEE10hipError_tPvRmT1_T2_T3_mT4_P12ihipStream_tbEUlT_E1_NS1_11comp_targetILNS1_3genE8ELNS1_11target_archE1030ELNS1_3gpuE2ELNS1_3repE0EEENS1_30default_config_static_selectorELNS0_4arch9wavefront6targetE1EEEvS14_ ; -- Begin function _ZN7rocprim17ROCPRIM_400000_NS6detail17trampoline_kernelINS0_14default_configENS1_22reduce_config_selectorIN6thrust23THRUST_200600_302600_NS5tupleIblNS6_9null_typeES8_S8_S8_S8_S8_S8_S8_EEEEZNS1_11reduce_implILb1ES3_NS6_12zip_iteratorINS7_INS6_11hip_rocprim26transform_input_iterator_tIbNSD_35transform_pair_of_input_iterators_tIbNS6_6detail15normal_iteratorINS6_10device_ptrIKxEEEESL_NS6_8equal_toIxEEEENSG_9not_fun_tINSD_8identityEEEEENSD_19counting_iterator_tIlEES8_S8_S8_S8_S8_S8_S8_S8_EEEEPS9_S9_NSD_9__find_if7functorIS9_EEEE10hipError_tPvRmT1_T2_T3_mT4_P12ihipStream_tbEUlT_E1_NS1_11comp_targetILNS1_3genE8ELNS1_11target_archE1030ELNS1_3gpuE2ELNS1_3repE0EEENS1_30default_config_static_selectorELNS0_4arch9wavefront6targetE1EEEvS14_
	.globl	_ZN7rocprim17ROCPRIM_400000_NS6detail17trampoline_kernelINS0_14default_configENS1_22reduce_config_selectorIN6thrust23THRUST_200600_302600_NS5tupleIblNS6_9null_typeES8_S8_S8_S8_S8_S8_S8_EEEEZNS1_11reduce_implILb1ES3_NS6_12zip_iteratorINS7_INS6_11hip_rocprim26transform_input_iterator_tIbNSD_35transform_pair_of_input_iterators_tIbNS6_6detail15normal_iteratorINS6_10device_ptrIKxEEEESL_NS6_8equal_toIxEEEENSG_9not_fun_tINSD_8identityEEEEENSD_19counting_iterator_tIlEES8_S8_S8_S8_S8_S8_S8_S8_EEEEPS9_S9_NSD_9__find_if7functorIS9_EEEE10hipError_tPvRmT1_T2_T3_mT4_P12ihipStream_tbEUlT_E1_NS1_11comp_targetILNS1_3genE8ELNS1_11target_archE1030ELNS1_3gpuE2ELNS1_3repE0EEENS1_30default_config_static_selectorELNS0_4arch9wavefront6targetE1EEEvS14_
	.p2align	8
	.type	_ZN7rocprim17ROCPRIM_400000_NS6detail17trampoline_kernelINS0_14default_configENS1_22reduce_config_selectorIN6thrust23THRUST_200600_302600_NS5tupleIblNS6_9null_typeES8_S8_S8_S8_S8_S8_S8_EEEEZNS1_11reduce_implILb1ES3_NS6_12zip_iteratorINS7_INS6_11hip_rocprim26transform_input_iterator_tIbNSD_35transform_pair_of_input_iterators_tIbNS6_6detail15normal_iteratorINS6_10device_ptrIKxEEEESL_NS6_8equal_toIxEEEENSG_9not_fun_tINSD_8identityEEEEENSD_19counting_iterator_tIlEES8_S8_S8_S8_S8_S8_S8_S8_EEEEPS9_S9_NSD_9__find_if7functorIS9_EEEE10hipError_tPvRmT1_T2_T3_mT4_P12ihipStream_tbEUlT_E1_NS1_11comp_targetILNS1_3genE8ELNS1_11target_archE1030ELNS1_3gpuE2ELNS1_3repE0EEENS1_30default_config_static_selectorELNS0_4arch9wavefront6targetE1EEEvS14_,@function
_ZN7rocprim17ROCPRIM_400000_NS6detail17trampoline_kernelINS0_14default_configENS1_22reduce_config_selectorIN6thrust23THRUST_200600_302600_NS5tupleIblNS6_9null_typeES8_S8_S8_S8_S8_S8_S8_EEEEZNS1_11reduce_implILb1ES3_NS6_12zip_iteratorINS7_INS6_11hip_rocprim26transform_input_iterator_tIbNSD_35transform_pair_of_input_iterators_tIbNS6_6detail15normal_iteratorINS6_10device_ptrIKxEEEESL_NS6_8equal_toIxEEEENSG_9not_fun_tINSD_8identityEEEEENSD_19counting_iterator_tIlEES8_S8_S8_S8_S8_S8_S8_S8_EEEEPS9_S9_NSD_9__find_if7functorIS9_EEEE10hipError_tPvRmT1_T2_T3_mT4_P12ihipStream_tbEUlT_E1_NS1_11comp_targetILNS1_3genE8ELNS1_11target_archE1030ELNS1_3gpuE2ELNS1_3repE0EEENS1_30default_config_static_selectorELNS0_4arch9wavefront6targetE1EEEvS14_: ; @_ZN7rocprim17ROCPRIM_400000_NS6detail17trampoline_kernelINS0_14default_configENS1_22reduce_config_selectorIN6thrust23THRUST_200600_302600_NS5tupleIblNS6_9null_typeES8_S8_S8_S8_S8_S8_S8_EEEEZNS1_11reduce_implILb1ES3_NS6_12zip_iteratorINS7_INS6_11hip_rocprim26transform_input_iterator_tIbNSD_35transform_pair_of_input_iterators_tIbNS6_6detail15normal_iteratorINS6_10device_ptrIKxEEEESL_NS6_8equal_toIxEEEENSG_9not_fun_tINSD_8identityEEEEENSD_19counting_iterator_tIlEES8_S8_S8_S8_S8_S8_S8_S8_EEEEPS9_S9_NSD_9__find_if7functorIS9_EEEE10hipError_tPvRmT1_T2_T3_mT4_P12ihipStream_tbEUlT_E1_NS1_11comp_targetILNS1_3genE8ELNS1_11target_archE1030ELNS1_3gpuE2ELNS1_3repE0EEENS1_30default_config_static_selectorELNS0_4arch9wavefront6targetE1EEEvS14_
; %bb.0:
	.section	.rodata,"a",@progbits
	.p2align	6, 0x0
	.amdhsa_kernel _ZN7rocprim17ROCPRIM_400000_NS6detail17trampoline_kernelINS0_14default_configENS1_22reduce_config_selectorIN6thrust23THRUST_200600_302600_NS5tupleIblNS6_9null_typeES8_S8_S8_S8_S8_S8_S8_EEEEZNS1_11reduce_implILb1ES3_NS6_12zip_iteratorINS7_INS6_11hip_rocprim26transform_input_iterator_tIbNSD_35transform_pair_of_input_iterators_tIbNS6_6detail15normal_iteratorINS6_10device_ptrIKxEEEESL_NS6_8equal_toIxEEEENSG_9not_fun_tINSD_8identityEEEEENSD_19counting_iterator_tIlEES8_S8_S8_S8_S8_S8_S8_S8_EEEEPS9_S9_NSD_9__find_if7functorIS9_EEEE10hipError_tPvRmT1_T2_T3_mT4_P12ihipStream_tbEUlT_E1_NS1_11comp_targetILNS1_3genE8ELNS1_11target_archE1030ELNS1_3gpuE2ELNS1_3repE0EEENS1_30default_config_static_selectorELNS0_4arch9wavefront6targetE1EEEvS14_
		.amdhsa_group_segment_fixed_size 0
		.amdhsa_private_segment_fixed_size 0
		.amdhsa_kernarg_size 88
		.amdhsa_user_sgpr_count 6
		.amdhsa_user_sgpr_private_segment_buffer 1
		.amdhsa_user_sgpr_dispatch_ptr 0
		.amdhsa_user_sgpr_queue_ptr 0
		.amdhsa_user_sgpr_kernarg_segment_ptr 1
		.amdhsa_user_sgpr_dispatch_id 0
		.amdhsa_user_sgpr_flat_scratch_init 0
		.amdhsa_user_sgpr_kernarg_preload_length 0
		.amdhsa_user_sgpr_kernarg_preload_offset 0
		.amdhsa_user_sgpr_private_segment_size 0
		.amdhsa_uses_dynamic_stack 0
		.amdhsa_system_sgpr_private_segment_wavefront_offset 0
		.amdhsa_system_sgpr_workgroup_id_x 1
		.amdhsa_system_sgpr_workgroup_id_y 0
		.amdhsa_system_sgpr_workgroup_id_z 0
		.amdhsa_system_sgpr_workgroup_info 0
		.amdhsa_system_vgpr_workitem_id 0
		.amdhsa_next_free_vgpr 1
		.amdhsa_next_free_sgpr 0
		.amdhsa_accum_offset 4
		.amdhsa_reserve_vcc 0
		.amdhsa_reserve_flat_scratch 0
		.amdhsa_float_round_mode_32 0
		.amdhsa_float_round_mode_16_64 0
		.amdhsa_float_denorm_mode_32 3
		.amdhsa_float_denorm_mode_16_64 3
		.amdhsa_dx10_clamp 1
		.amdhsa_ieee_mode 1
		.amdhsa_fp16_overflow 0
		.amdhsa_tg_split 0
		.amdhsa_exception_fp_ieee_invalid_op 0
		.amdhsa_exception_fp_denorm_src 0
		.amdhsa_exception_fp_ieee_div_zero 0
		.amdhsa_exception_fp_ieee_overflow 0
		.amdhsa_exception_fp_ieee_underflow 0
		.amdhsa_exception_fp_ieee_inexact 0
		.amdhsa_exception_int_div_zero 0
	.end_amdhsa_kernel
	.section	.text._ZN7rocprim17ROCPRIM_400000_NS6detail17trampoline_kernelINS0_14default_configENS1_22reduce_config_selectorIN6thrust23THRUST_200600_302600_NS5tupleIblNS6_9null_typeES8_S8_S8_S8_S8_S8_S8_EEEEZNS1_11reduce_implILb1ES3_NS6_12zip_iteratorINS7_INS6_11hip_rocprim26transform_input_iterator_tIbNSD_35transform_pair_of_input_iterators_tIbNS6_6detail15normal_iteratorINS6_10device_ptrIKxEEEESL_NS6_8equal_toIxEEEENSG_9not_fun_tINSD_8identityEEEEENSD_19counting_iterator_tIlEES8_S8_S8_S8_S8_S8_S8_S8_EEEEPS9_S9_NSD_9__find_if7functorIS9_EEEE10hipError_tPvRmT1_T2_T3_mT4_P12ihipStream_tbEUlT_E1_NS1_11comp_targetILNS1_3genE8ELNS1_11target_archE1030ELNS1_3gpuE2ELNS1_3repE0EEENS1_30default_config_static_selectorELNS0_4arch9wavefront6targetE1EEEvS14_,"axG",@progbits,_ZN7rocprim17ROCPRIM_400000_NS6detail17trampoline_kernelINS0_14default_configENS1_22reduce_config_selectorIN6thrust23THRUST_200600_302600_NS5tupleIblNS6_9null_typeES8_S8_S8_S8_S8_S8_S8_EEEEZNS1_11reduce_implILb1ES3_NS6_12zip_iteratorINS7_INS6_11hip_rocprim26transform_input_iterator_tIbNSD_35transform_pair_of_input_iterators_tIbNS6_6detail15normal_iteratorINS6_10device_ptrIKxEEEESL_NS6_8equal_toIxEEEENSG_9not_fun_tINSD_8identityEEEEENSD_19counting_iterator_tIlEES8_S8_S8_S8_S8_S8_S8_S8_EEEEPS9_S9_NSD_9__find_if7functorIS9_EEEE10hipError_tPvRmT1_T2_T3_mT4_P12ihipStream_tbEUlT_E1_NS1_11comp_targetILNS1_3genE8ELNS1_11target_archE1030ELNS1_3gpuE2ELNS1_3repE0EEENS1_30default_config_static_selectorELNS0_4arch9wavefront6targetE1EEEvS14_,comdat
.Lfunc_end242:
	.size	_ZN7rocprim17ROCPRIM_400000_NS6detail17trampoline_kernelINS0_14default_configENS1_22reduce_config_selectorIN6thrust23THRUST_200600_302600_NS5tupleIblNS6_9null_typeES8_S8_S8_S8_S8_S8_S8_EEEEZNS1_11reduce_implILb1ES3_NS6_12zip_iteratorINS7_INS6_11hip_rocprim26transform_input_iterator_tIbNSD_35transform_pair_of_input_iterators_tIbNS6_6detail15normal_iteratorINS6_10device_ptrIKxEEEESL_NS6_8equal_toIxEEEENSG_9not_fun_tINSD_8identityEEEEENSD_19counting_iterator_tIlEES8_S8_S8_S8_S8_S8_S8_S8_EEEEPS9_S9_NSD_9__find_if7functorIS9_EEEE10hipError_tPvRmT1_T2_T3_mT4_P12ihipStream_tbEUlT_E1_NS1_11comp_targetILNS1_3genE8ELNS1_11target_archE1030ELNS1_3gpuE2ELNS1_3repE0EEENS1_30default_config_static_selectorELNS0_4arch9wavefront6targetE1EEEvS14_, .Lfunc_end242-_ZN7rocprim17ROCPRIM_400000_NS6detail17trampoline_kernelINS0_14default_configENS1_22reduce_config_selectorIN6thrust23THRUST_200600_302600_NS5tupleIblNS6_9null_typeES8_S8_S8_S8_S8_S8_S8_EEEEZNS1_11reduce_implILb1ES3_NS6_12zip_iteratorINS7_INS6_11hip_rocprim26transform_input_iterator_tIbNSD_35transform_pair_of_input_iterators_tIbNS6_6detail15normal_iteratorINS6_10device_ptrIKxEEEESL_NS6_8equal_toIxEEEENSG_9not_fun_tINSD_8identityEEEEENSD_19counting_iterator_tIlEES8_S8_S8_S8_S8_S8_S8_S8_EEEEPS9_S9_NSD_9__find_if7functorIS9_EEEE10hipError_tPvRmT1_T2_T3_mT4_P12ihipStream_tbEUlT_E1_NS1_11comp_targetILNS1_3genE8ELNS1_11target_archE1030ELNS1_3gpuE2ELNS1_3repE0EEENS1_30default_config_static_selectorELNS0_4arch9wavefront6targetE1EEEvS14_
                                        ; -- End function
	.section	.AMDGPU.csdata,"",@progbits
; Kernel info:
; codeLenInByte = 0
; NumSgprs: 4
; NumVgprs: 0
; NumAgprs: 0
; TotalNumVgprs: 0
; ScratchSize: 0
; MemoryBound: 0
; FloatMode: 240
; IeeeMode: 1
; LDSByteSize: 0 bytes/workgroup (compile time only)
; SGPRBlocks: 0
; VGPRBlocks: 0
; NumSGPRsForWavesPerEU: 4
; NumVGPRsForWavesPerEU: 1
; AccumOffset: 4
; Occupancy: 8
; WaveLimiterHint : 0
; COMPUTE_PGM_RSRC2:SCRATCH_EN: 0
; COMPUTE_PGM_RSRC2:USER_SGPR: 6
; COMPUTE_PGM_RSRC2:TRAP_HANDLER: 0
; COMPUTE_PGM_RSRC2:TGID_X_EN: 1
; COMPUTE_PGM_RSRC2:TGID_Y_EN: 0
; COMPUTE_PGM_RSRC2:TGID_Z_EN: 0
; COMPUTE_PGM_RSRC2:TIDIG_COMP_CNT: 0
; COMPUTE_PGM_RSRC3_GFX90A:ACCUM_OFFSET: 0
; COMPUTE_PGM_RSRC3_GFX90A:TG_SPLIT: 0
	.section	.text._ZN7rocprim17ROCPRIM_400000_NS6detail17trampoline_kernelINS0_14default_configENS1_21merge_config_selectorIiNS0_10empty_typeEEEZNS1_10merge_implIS3_N6thrust23THRUST_200600_302600_NS6detail15normal_iteratorINS9_10device_ptrIKiEEEESF_NSB_INSC_IiEEEEPS5_SI_SI_NS9_4lessIiEEEE10hipError_tPvRmT0_T1_T2_T3_T4_T5_mmT6_P12ihipStream_tbEUlT_E_NS1_11comp_targetILNS1_3genE0ELNS1_11target_archE4294967295ELNS1_3gpuE0ELNS1_3repE0EEENS1_30default_config_static_selectorELNS0_4arch9wavefront6targetE1EEEvSP_,"axG",@progbits,_ZN7rocprim17ROCPRIM_400000_NS6detail17trampoline_kernelINS0_14default_configENS1_21merge_config_selectorIiNS0_10empty_typeEEEZNS1_10merge_implIS3_N6thrust23THRUST_200600_302600_NS6detail15normal_iteratorINS9_10device_ptrIKiEEEESF_NSB_INSC_IiEEEEPS5_SI_SI_NS9_4lessIiEEEE10hipError_tPvRmT0_T1_T2_T3_T4_T5_mmT6_P12ihipStream_tbEUlT_E_NS1_11comp_targetILNS1_3genE0ELNS1_11target_archE4294967295ELNS1_3gpuE0ELNS1_3repE0EEENS1_30default_config_static_selectorELNS0_4arch9wavefront6targetE1EEEvSP_,comdat
	.protected	_ZN7rocprim17ROCPRIM_400000_NS6detail17trampoline_kernelINS0_14default_configENS1_21merge_config_selectorIiNS0_10empty_typeEEEZNS1_10merge_implIS3_N6thrust23THRUST_200600_302600_NS6detail15normal_iteratorINS9_10device_ptrIKiEEEESF_NSB_INSC_IiEEEEPS5_SI_SI_NS9_4lessIiEEEE10hipError_tPvRmT0_T1_T2_T3_T4_T5_mmT6_P12ihipStream_tbEUlT_E_NS1_11comp_targetILNS1_3genE0ELNS1_11target_archE4294967295ELNS1_3gpuE0ELNS1_3repE0EEENS1_30default_config_static_selectorELNS0_4arch9wavefront6targetE1EEEvSP_ ; -- Begin function _ZN7rocprim17ROCPRIM_400000_NS6detail17trampoline_kernelINS0_14default_configENS1_21merge_config_selectorIiNS0_10empty_typeEEEZNS1_10merge_implIS3_N6thrust23THRUST_200600_302600_NS6detail15normal_iteratorINS9_10device_ptrIKiEEEESF_NSB_INSC_IiEEEEPS5_SI_SI_NS9_4lessIiEEEE10hipError_tPvRmT0_T1_T2_T3_T4_T5_mmT6_P12ihipStream_tbEUlT_E_NS1_11comp_targetILNS1_3genE0ELNS1_11target_archE4294967295ELNS1_3gpuE0ELNS1_3repE0EEENS1_30default_config_static_selectorELNS0_4arch9wavefront6targetE1EEEvSP_
	.globl	_ZN7rocprim17ROCPRIM_400000_NS6detail17trampoline_kernelINS0_14default_configENS1_21merge_config_selectorIiNS0_10empty_typeEEEZNS1_10merge_implIS3_N6thrust23THRUST_200600_302600_NS6detail15normal_iteratorINS9_10device_ptrIKiEEEESF_NSB_INSC_IiEEEEPS5_SI_SI_NS9_4lessIiEEEE10hipError_tPvRmT0_T1_T2_T3_T4_T5_mmT6_P12ihipStream_tbEUlT_E_NS1_11comp_targetILNS1_3genE0ELNS1_11target_archE4294967295ELNS1_3gpuE0ELNS1_3repE0EEENS1_30default_config_static_selectorELNS0_4arch9wavefront6targetE1EEEvSP_
	.p2align	8
	.type	_ZN7rocprim17ROCPRIM_400000_NS6detail17trampoline_kernelINS0_14default_configENS1_21merge_config_selectorIiNS0_10empty_typeEEEZNS1_10merge_implIS3_N6thrust23THRUST_200600_302600_NS6detail15normal_iteratorINS9_10device_ptrIKiEEEESF_NSB_INSC_IiEEEEPS5_SI_SI_NS9_4lessIiEEEE10hipError_tPvRmT0_T1_T2_T3_T4_T5_mmT6_P12ihipStream_tbEUlT_E_NS1_11comp_targetILNS1_3genE0ELNS1_11target_archE4294967295ELNS1_3gpuE0ELNS1_3repE0EEENS1_30default_config_static_selectorELNS0_4arch9wavefront6targetE1EEEvSP_,@function
_ZN7rocprim17ROCPRIM_400000_NS6detail17trampoline_kernelINS0_14default_configENS1_21merge_config_selectorIiNS0_10empty_typeEEEZNS1_10merge_implIS3_N6thrust23THRUST_200600_302600_NS6detail15normal_iteratorINS9_10device_ptrIKiEEEESF_NSB_INSC_IiEEEEPS5_SI_SI_NS9_4lessIiEEEE10hipError_tPvRmT0_T1_T2_T3_T4_T5_mmT6_P12ihipStream_tbEUlT_E_NS1_11comp_targetILNS1_3genE0ELNS1_11target_archE4294967295ELNS1_3gpuE0ELNS1_3repE0EEENS1_30default_config_static_selectorELNS0_4arch9wavefront6targetE1EEEvSP_: ; @_ZN7rocprim17ROCPRIM_400000_NS6detail17trampoline_kernelINS0_14default_configENS1_21merge_config_selectorIiNS0_10empty_typeEEEZNS1_10merge_implIS3_N6thrust23THRUST_200600_302600_NS6detail15normal_iteratorINS9_10device_ptrIKiEEEESF_NSB_INSC_IiEEEEPS5_SI_SI_NS9_4lessIiEEEE10hipError_tPvRmT0_T1_T2_T3_T4_T5_mmT6_P12ihipStream_tbEUlT_E_NS1_11comp_targetILNS1_3genE0ELNS1_11target_archE4294967295ELNS1_3gpuE0ELNS1_3repE0EEENS1_30default_config_static_selectorELNS0_4arch9wavefront6targetE1EEEvSP_
; %bb.0:
	.section	.rodata,"a",@progbits
	.p2align	6, 0x0
	.amdhsa_kernel _ZN7rocprim17ROCPRIM_400000_NS6detail17trampoline_kernelINS0_14default_configENS1_21merge_config_selectorIiNS0_10empty_typeEEEZNS1_10merge_implIS3_N6thrust23THRUST_200600_302600_NS6detail15normal_iteratorINS9_10device_ptrIKiEEEESF_NSB_INSC_IiEEEEPS5_SI_SI_NS9_4lessIiEEEE10hipError_tPvRmT0_T1_T2_T3_T4_T5_mmT6_P12ihipStream_tbEUlT_E_NS1_11comp_targetILNS1_3genE0ELNS1_11target_archE4294967295ELNS1_3gpuE0ELNS1_3repE0EEENS1_30default_config_static_selectorELNS0_4arch9wavefront6targetE1EEEvSP_
		.amdhsa_group_segment_fixed_size 0
		.amdhsa_private_segment_fixed_size 0
		.amdhsa_kernarg_size 48
		.amdhsa_user_sgpr_count 6
		.amdhsa_user_sgpr_private_segment_buffer 1
		.amdhsa_user_sgpr_dispatch_ptr 0
		.amdhsa_user_sgpr_queue_ptr 0
		.amdhsa_user_sgpr_kernarg_segment_ptr 1
		.amdhsa_user_sgpr_dispatch_id 0
		.amdhsa_user_sgpr_flat_scratch_init 0
		.amdhsa_user_sgpr_kernarg_preload_length 0
		.amdhsa_user_sgpr_kernarg_preload_offset 0
		.amdhsa_user_sgpr_private_segment_size 0
		.amdhsa_uses_dynamic_stack 0
		.amdhsa_system_sgpr_private_segment_wavefront_offset 0
		.amdhsa_system_sgpr_workgroup_id_x 1
		.amdhsa_system_sgpr_workgroup_id_y 0
		.amdhsa_system_sgpr_workgroup_id_z 0
		.amdhsa_system_sgpr_workgroup_info 0
		.amdhsa_system_vgpr_workitem_id 0
		.amdhsa_next_free_vgpr 1
		.amdhsa_next_free_sgpr 0
		.amdhsa_accum_offset 4
		.amdhsa_reserve_vcc 0
		.amdhsa_reserve_flat_scratch 0
		.amdhsa_float_round_mode_32 0
		.amdhsa_float_round_mode_16_64 0
		.amdhsa_float_denorm_mode_32 3
		.amdhsa_float_denorm_mode_16_64 3
		.amdhsa_dx10_clamp 1
		.amdhsa_ieee_mode 1
		.amdhsa_fp16_overflow 0
		.amdhsa_tg_split 0
		.amdhsa_exception_fp_ieee_invalid_op 0
		.amdhsa_exception_fp_denorm_src 0
		.amdhsa_exception_fp_ieee_div_zero 0
		.amdhsa_exception_fp_ieee_overflow 0
		.amdhsa_exception_fp_ieee_underflow 0
		.amdhsa_exception_fp_ieee_inexact 0
		.amdhsa_exception_int_div_zero 0
	.end_amdhsa_kernel
	.section	.text._ZN7rocprim17ROCPRIM_400000_NS6detail17trampoline_kernelINS0_14default_configENS1_21merge_config_selectorIiNS0_10empty_typeEEEZNS1_10merge_implIS3_N6thrust23THRUST_200600_302600_NS6detail15normal_iteratorINS9_10device_ptrIKiEEEESF_NSB_INSC_IiEEEEPS5_SI_SI_NS9_4lessIiEEEE10hipError_tPvRmT0_T1_T2_T3_T4_T5_mmT6_P12ihipStream_tbEUlT_E_NS1_11comp_targetILNS1_3genE0ELNS1_11target_archE4294967295ELNS1_3gpuE0ELNS1_3repE0EEENS1_30default_config_static_selectorELNS0_4arch9wavefront6targetE1EEEvSP_,"axG",@progbits,_ZN7rocprim17ROCPRIM_400000_NS6detail17trampoline_kernelINS0_14default_configENS1_21merge_config_selectorIiNS0_10empty_typeEEEZNS1_10merge_implIS3_N6thrust23THRUST_200600_302600_NS6detail15normal_iteratorINS9_10device_ptrIKiEEEESF_NSB_INSC_IiEEEEPS5_SI_SI_NS9_4lessIiEEEE10hipError_tPvRmT0_T1_T2_T3_T4_T5_mmT6_P12ihipStream_tbEUlT_E_NS1_11comp_targetILNS1_3genE0ELNS1_11target_archE4294967295ELNS1_3gpuE0ELNS1_3repE0EEENS1_30default_config_static_selectorELNS0_4arch9wavefront6targetE1EEEvSP_,comdat
.Lfunc_end243:
	.size	_ZN7rocprim17ROCPRIM_400000_NS6detail17trampoline_kernelINS0_14default_configENS1_21merge_config_selectorIiNS0_10empty_typeEEEZNS1_10merge_implIS3_N6thrust23THRUST_200600_302600_NS6detail15normal_iteratorINS9_10device_ptrIKiEEEESF_NSB_INSC_IiEEEEPS5_SI_SI_NS9_4lessIiEEEE10hipError_tPvRmT0_T1_T2_T3_T4_T5_mmT6_P12ihipStream_tbEUlT_E_NS1_11comp_targetILNS1_3genE0ELNS1_11target_archE4294967295ELNS1_3gpuE0ELNS1_3repE0EEENS1_30default_config_static_selectorELNS0_4arch9wavefront6targetE1EEEvSP_, .Lfunc_end243-_ZN7rocprim17ROCPRIM_400000_NS6detail17trampoline_kernelINS0_14default_configENS1_21merge_config_selectorIiNS0_10empty_typeEEEZNS1_10merge_implIS3_N6thrust23THRUST_200600_302600_NS6detail15normal_iteratorINS9_10device_ptrIKiEEEESF_NSB_INSC_IiEEEEPS5_SI_SI_NS9_4lessIiEEEE10hipError_tPvRmT0_T1_T2_T3_T4_T5_mmT6_P12ihipStream_tbEUlT_E_NS1_11comp_targetILNS1_3genE0ELNS1_11target_archE4294967295ELNS1_3gpuE0ELNS1_3repE0EEENS1_30default_config_static_selectorELNS0_4arch9wavefront6targetE1EEEvSP_
                                        ; -- End function
	.section	.AMDGPU.csdata,"",@progbits
; Kernel info:
; codeLenInByte = 0
; NumSgprs: 4
; NumVgprs: 0
; NumAgprs: 0
; TotalNumVgprs: 0
; ScratchSize: 0
; MemoryBound: 0
; FloatMode: 240
; IeeeMode: 1
; LDSByteSize: 0 bytes/workgroup (compile time only)
; SGPRBlocks: 0
; VGPRBlocks: 0
; NumSGPRsForWavesPerEU: 4
; NumVGPRsForWavesPerEU: 1
; AccumOffset: 4
; Occupancy: 8
; WaveLimiterHint : 0
; COMPUTE_PGM_RSRC2:SCRATCH_EN: 0
; COMPUTE_PGM_RSRC2:USER_SGPR: 6
; COMPUTE_PGM_RSRC2:TRAP_HANDLER: 0
; COMPUTE_PGM_RSRC2:TGID_X_EN: 1
; COMPUTE_PGM_RSRC2:TGID_Y_EN: 0
; COMPUTE_PGM_RSRC2:TGID_Z_EN: 0
; COMPUTE_PGM_RSRC2:TIDIG_COMP_CNT: 0
; COMPUTE_PGM_RSRC3_GFX90A:ACCUM_OFFSET: 0
; COMPUTE_PGM_RSRC3_GFX90A:TG_SPLIT: 0
	.section	.text._ZN7rocprim17ROCPRIM_400000_NS6detail17trampoline_kernelINS0_14default_configENS1_21merge_config_selectorIiNS0_10empty_typeEEEZNS1_10merge_implIS3_N6thrust23THRUST_200600_302600_NS6detail15normal_iteratorINS9_10device_ptrIKiEEEESF_NSB_INSC_IiEEEEPS5_SI_SI_NS9_4lessIiEEEE10hipError_tPvRmT0_T1_T2_T3_T4_T5_mmT6_P12ihipStream_tbEUlT_E_NS1_11comp_targetILNS1_3genE5ELNS1_11target_archE942ELNS1_3gpuE9ELNS1_3repE0EEENS1_30default_config_static_selectorELNS0_4arch9wavefront6targetE1EEEvSP_,"axG",@progbits,_ZN7rocprim17ROCPRIM_400000_NS6detail17trampoline_kernelINS0_14default_configENS1_21merge_config_selectorIiNS0_10empty_typeEEEZNS1_10merge_implIS3_N6thrust23THRUST_200600_302600_NS6detail15normal_iteratorINS9_10device_ptrIKiEEEESF_NSB_INSC_IiEEEEPS5_SI_SI_NS9_4lessIiEEEE10hipError_tPvRmT0_T1_T2_T3_T4_T5_mmT6_P12ihipStream_tbEUlT_E_NS1_11comp_targetILNS1_3genE5ELNS1_11target_archE942ELNS1_3gpuE9ELNS1_3repE0EEENS1_30default_config_static_selectorELNS0_4arch9wavefront6targetE1EEEvSP_,comdat
	.protected	_ZN7rocprim17ROCPRIM_400000_NS6detail17trampoline_kernelINS0_14default_configENS1_21merge_config_selectorIiNS0_10empty_typeEEEZNS1_10merge_implIS3_N6thrust23THRUST_200600_302600_NS6detail15normal_iteratorINS9_10device_ptrIKiEEEESF_NSB_INSC_IiEEEEPS5_SI_SI_NS9_4lessIiEEEE10hipError_tPvRmT0_T1_T2_T3_T4_T5_mmT6_P12ihipStream_tbEUlT_E_NS1_11comp_targetILNS1_3genE5ELNS1_11target_archE942ELNS1_3gpuE9ELNS1_3repE0EEENS1_30default_config_static_selectorELNS0_4arch9wavefront6targetE1EEEvSP_ ; -- Begin function _ZN7rocprim17ROCPRIM_400000_NS6detail17trampoline_kernelINS0_14default_configENS1_21merge_config_selectorIiNS0_10empty_typeEEEZNS1_10merge_implIS3_N6thrust23THRUST_200600_302600_NS6detail15normal_iteratorINS9_10device_ptrIKiEEEESF_NSB_INSC_IiEEEEPS5_SI_SI_NS9_4lessIiEEEE10hipError_tPvRmT0_T1_T2_T3_T4_T5_mmT6_P12ihipStream_tbEUlT_E_NS1_11comp_targetILNS1_3genE5ELNS1_11target_archE942ELNS1_3gpuE9ELNS1_3repE0EEENS1_30default_config_static_selectorELNS0_4arch9wavefront6targetE1EEEvSP_
	.globl	_ZN7rocprim17ROCPRIM_400000_NS6detail17trampoline_kernelINS0_14default_configENS1_21merge_config_selectorIiNS0_10empty_typeEEEZNS1_10merge_implIS3_N6thrust23THRUST_200600_302600_NS6detail15normal_iteratorINS9_10device_ptrIKiEEEESF_NSB_INSC_IiEEEEPS5_SI_SI_NS9_4lessIiEEEE10hipError_tPvRmT0_T1_T2_T3_T4_T5_mmT6_P12ihipStream_tbEUlT_E_NS1_11comp_targetILNS1_3genE5ELNS1_11target_archE942ELNS1_3gpuE9ELNS1_3repE0EEENS1_30default_config_static_selectorELNS0_4arch9wavefront6targetE1EEEvSP_
	.p2align	8
	.type	_ZN7rocprim17ROCPRIM_400000_NS6detail17trampoline_kernelINS0_14default_configENS1_21merge_config_selectorIiNS0_10empty_typeEEEZNS1_10merge_implIS3_N6thrust23THRUST_200600_302600_NS6detail15normal_iteratorINS9_10device_ptrIKiEEEESF_NSB_INSC_IiEEEEPS5_SI_SI_NS9_4lessIiEEEE10hipError_tPvRmT0_T1_T2_T3_T4_T5_mmT6_P12ihipStream_tbEUlT_E_NS1_11comp_targetILNS1_3genE5ELNS1_11target_archE942ELNS1_3gpuE9ELNS1_3repE0EEENS1_30default_config_static_selectorELNS0_4arch9wavefront6targetE1EEEvSP_,@function
_ZN7rocprim17ROCPRIM_400000_NS6detail17trampoline_kernelINS0_14default_configENS1_21merge_config_selectorIiNS0_10empty_typeEEEZNS1_10merge_implIS3_N6thrust23THRUST_200600_302600_NS6detail15normal_iteratorINS9_10device_ptrIKiEEEESF_NSB_INSC_IiEEEEPS5_SI_SI_NS9_4lessIiEEEE10hipError_tPvRmT0_T1_T2_T3_T4_T5_mmT6_P12ihipStream_tbEUlT_E_NS1_11comp_targetILNS1_3genE5ELNS1_11target_archE942ELNS1_3gpuE9ELNS1_3repE0EEENS1_30default_config_static_selectorELNS0_4arch9wavefront6targetE1EEEvSP_: ; @_ZN7rocprim17ROCPRIM_400000_NS6detail17trampoline_kernelINS0_14default_configENS1_21merge_config_selectorIiNS0_10empty_typeEEEZNS1_10merge_implIS3_N6thrust23THRUST_200600_302600_NS6detail15normal_iteratorINS9_10device_ptrIKiEEEESF_NSB_INSC_IiEEEEPS5_SI_SI_NS9_4lessIiEEEE10hipError_tPvRmT0_T1_T2_T3_T4_T5_mmT6_P12ihipStream_tbEUlT_E_NS1_11comp_targetILNS1_3genE5ELNS1_11target_archE942ELNS1_3gpuE9ELNS1_3repE0EEENS1_30default_config_static_selectorELNS0_4arch9wavefront6targetE1EEEvSP_
; %bb.0:
	.section	.rodata,"a",@progbits
	.p2align	6, 0x0
	.amdhsa_kernel _ZN7rocprim17ROCPRIM_400000_NS6detail17trampoline_kernelINS0_14default_configENS1_21merge_config_selectorIiNS0_10empty_typeEEEZNS1_10merge_implIS3_N6thrust23THRUST_200600_302600_NS6detail15normal_iteratorINS9_10device_ptrIKiEEEESF_NSB_INSC_IiEEEEPS5_SI_SI_NS9_4lessIiEEEE10hipError_tPvRmT0_T1_T2_T3_T4_T5_mmT6_P12ihipStream_tbEUlT_E_NS1_11comp_targetILNS1_3genE5ELNS1_11target_archE942ELNS1_3gpuE9ELNS1_3repE0EEENS1_30default_config_static_selectorELNS0_4arch9wavefront6targetE1EEEvSP_
		.amdhsa_group_segment_fixed_size 0
		.amdhsa_private_segment_fixed_size 0
		.amdhsa_kernarg_size 48
		.amdhsa_user_sgpr_count 6
		.amdhsa_user_sgpr_private_segment_buffer 1
		.amdhsa_user_sgpr_dispatch_ptr 0
		.amdhsa_user_sgpr_queue_ptr 0
		.amdhsa_user_sgpr_kernarg_segment_ptr 1
		.amdhsa_user_sgpr_dispatch_id 0
		.amdhsa_user_sgpr_flat_scratch_init 0
		.amdhsa_user_sgpr_kernarg_preload_length 0
		.amdhsa_user_sgpr_kernarg_preload_offset 0
		.amdhsa_user_sgpr_private_segment_size 0
		.amdhsa_uses_dynamic_stack 0
		.amdhsa_system_sgpr_private_segment_wavefront_offset 0
		.amdhsa_system_sgpr_workgroup_id_x 1
		.amdhsa_system_sgpr_workgroup_id_y 0
		.amdhsa_system_sgpr_workgroup_id_z 0
		.amdhsa_system_sgpr_workgroup_info 0
		.amdhsa_system_vgpr_workitem_id 0
		.amdhsa_next_free_vgpr 1
		.amdhsa_next_free_sgpr 0
		.amdhsa_accum_offset 4
		.amdhsa_reserve_vcc 0
		.amdhsa_reserve_flat_scratch 0
		.amdhsa_float_round_mode_32 0
		.amdhsa_float_round_mode_16_64 0
		.amdhsa_float_denorm_mode_32 3
		.amdhsa_float_denorm_mode_16_64 3
		.amdhsa_dx10_clamp 1
		.amdhsa_ieee_mode 1
		.amdhsa_fp16_overflow 0
		.amdhsa_tg_split 0
		.amdhsa_exception_fp_ieee_invalid_op 0
		.amdhsa_exception_fp_denorm_src 0
		.amdhsa_exception_fp_ieee_div_zero 0
		.amdhsa_exception_fp_ieee_overflow 0
		.amdhsa_exception_fp_ieee_underflow 0
		.amdhsa_exception_fp_ieee_inexact 0
		.amdhsa_exception_int_div_zero 0
	.end_amdhsa_kernel
	.section	.text._ZN7rocprim17ROCPRIM_400000_NS6detail17trampoline_kernelINS0_14default_configENS1_21merge_config_selectorIiNS0_10empty_typeEEEZNS1_10merge_implIS3_N6thrust23THRUST_200600_302600_NS6detail15normal_iteratorINS9_10device_ptrIKiEEEESF_NSB_INSC_IiEEEEPS5_SI_SI_NS9_4lessIiEEEE10hipError_tPvRmT0_T1_T2_T3_T4_T5_mmT6_P12ihipStream_tbEUlT_E_NS1_11comp_targetILNS1_3genE5ELNS1_11target_archE942ELNS1_3gpuE9ELNS1_3repE0EEENS1_30default_config_static_selectorELNS0_4arch9wavefront6targetE1EEEvSP_,"axG",@progbits,_ZN7rocprim17ROCPRIM_400000_NS6detail17trampoline_kernelINS0_14default_configENS1_21merge_config_selectorIiNS0_10empty_typeEEEZNS1_10merge_implIS3_N6thrust23THRUST_200600_302600_NS6detail15normal_iteratorINS9_10device_ptrIKiEEEESF_NSB_INSC_IiEEEEPS5_SI_SI_NS9_4lessIiEEEE10hipError_tPvRmT0_T1_T2_T3_T4_T5_mmT6_P12ihipStream_tbEUlT_E_NS1_11comp_targetILNS1_3genE5ELNS1_11target_archE942ELNS1_3gpuE9ELNS1_3repE0EEENS1_30default_config_static_selectorELNS0_4arch9wavefront6targetE1EEEvSP_,comdat
.Lfunc_end244:
	.size	_ZN7rocprim17ROCPRIM_400000_NS6detail17trampoline_kernelINS0_14default_configENS1_21merge_config_selectorIiNS0_10empty_typeEEEZNS1_10merge_implIS3_N6thrust23THRUST_200600_302600_NS6detail15normal_iteratorINS9_10device_ptrIKiEEEESF_NSB_INSC_IiEEEEPS5_SI_SI_NS9_4lessIiEEEE10hipError_tPvRmT0_T1_T2_T3_T4_T5_mmT6_P12ihipStream_tbEUlT_E_NS1_11comp_targetILNS1_3genE5ELNS1_11target_archE942ELNS1_3gpuE9ELNS1_3repE0EEENS1_30default_config_static_selectorELNS0_4arch9wavefront6targetE1EEEvSP_, .Lfunc_end244-_ZN7rocprim17ROCPRIM_400000_NS6detail17trampoline_kernelINS0_14default_configENS1_21merge_config_selectorIiNS0_10empty_typeEEEZNS1_10merge_implIS3_N6thrust23THRUST_200600_302600_NS6detail15normal_iteratorINS9_10device_ptrIKiEEEESF_NSB_INSC_IiEEEEPS5_SI_SI_NS9_4lessIiEEEE10hipError_tPvRmT0_T1_T2_T3_T4_T5_mmT6_P12ihipStream_tbEUlT_E_NS1_11comp_targetILNS1_3genE5ELNS1_11target_archE942ELNS1_3gpuE9ELNS1_3repE0EEENS1_30default_config_static_selectorELNS0_4arch9wavefront6targetE1EEEvSP_
                                        ; -- End function
	.section	.AMDGPU.csdata,"",@progbits
; Kernel info:
; codeLenInByte = 0
; NumSgprs: 4
; NumVgprs: 0
; NumAgprs: 0
; TotalNumVgprs: 0
; ScratchSize: 0
; MemoryBound: 0
; FloatMode: 240
; IeeeMode: 1
; LDSByteSize: 0 bytes/workgroup (compile time only)
; SGPRBlocks: 0
; VGPRBlocks: 0
; NumSGPRsForWavesPerEU: 4
; NumVGPRsForWavesPerEU: 1
; AccumOffset: 4
; Occupancy: 8
; WaveLimiterHint : 0
; COMPUTE_PGM_RSRC2:SCRATCH_EN: 0
; COMPUTE_PGM_RSRC2:USER_SGPR: 6
; COMPUTE_PGM_RSRC2:TRAP_HANDLER: 0
; COMPUTE_PGM_RSRC2:TGID_X_EN: 1
; COMPUTE_PGM_RSRC2:TGID_Y_EN: 0
; COMPUTE_PGM_RSRC2:TGID_Z_EN: 0
; COMPUTE_PGM_RSRC2:TIDIG_COMP_CNT: 0
; COMPUTE_PGM_RSRC3_GFX90A:ACCUM_OFFSET: 0
; COMPUTE_PGM_RSRC3_GFX90A:TG_SPLIT: 0
	.section	.text._ZN7rocprim17ROCPRIM_400000_NS6detail17trampoline_kernelINS0_14default_configENS1_21merge_config_selectorIiNS0_10empty_typeEEEZNS1_10merge_implIS3_N6thrust23THRUST_200600_302600_NS6detail15normal_iteratorINS9_10device_ptrIKiEEEESF_NSB_INSC_IiEEEEPS5_SI_SI_NS9_4lessIiEEEE10hipError_tPvRmT0_T1_T2_T3_T4_T5_mmT6_P12ihipStream_tbEUlT_E_NS1_11comp_targetILNS1_3genE4ELNS1_11target_archE910ELNS1_3gpuE8ELNS1_3repE0EEENS1_30default_config_static_selectorELNS0_4arch9wavefront6targetE1EEEvSP_,"axG",@progbits,_ZN7rocprim17ROCPRIM_400000_NS6detail17trampoline_kernelINS0_14default_configENS1_21merge_config_selectorIiNS0_10empty_typeEEEZNS1_10merge_implIS3_N6thrust23THRUST_200600_302600_NS6detail15normal_iteratorINS9_10device_ptrIKiEEEESF_NSB_INSC_IiEEEEPS5_SI_SI_NS9_4lessIiEEEE10hipError_tPvRmT0_T1_T2_T3_T4_T5_mmT6_P12ihipStream_tbEUlT_E_NS1_11comp_targetILNS1_3genE4ELNS1_11target_archE910ELNS1_3gpuE8ELNS1_3repE0EEENS1_30default_config_static_selectorELNS0_4arch9wavefront6targetE1EEEvSP_,comdat
	.protected	_ZN7rocprim17ROCPRIM_400000_NS6detail17trampoline_kernelINS0_14default_configENS1_21merge_config_selectorIiNS0_10empty_typeEEEZNS1_10merge_implIS3_N6thrust23THRUST_200600_302600_NS6detail15normal_iteratorINS9_10device_ptrIKiEEEESF_NSB_INSC_IiEEEEPS5_SI_SI_NS9_4lessIiEEEE10hipError_tPvRmT0_T1_T2_T3_T4_T5_mmT6_P12ihipStream_tbEUlT_E_NS1_11comp_targetILNS1_3genE4ELNS1_11target_archE910ELNS1_3gpuE8ELNS1_3repE0EEENS1_30default_config_static_selectorELNS0_4arch9wavefront6targetE1EEEvSP_ ; -- Begin function _ZN7rocprim17ROCPRIM_400000_NS6detail17trampoline_kernelINS0_14default_configENS1_21merge_config_selectorIiNS0_10empty_typeEEEZNS1_10merge_implIS3_N6thrust23THRUST_200600_302600_NS6detail15normal_iteratorINS9_10device_ptrIKiEEEESF_NSB_INSC_IiEEEEPS5_SI_SI_NS9_4lessIiEEEE10hipError_tPvRmT0_T1_T2_T3_T4_T5_mmT6_P12ihipStream_tbEUlT_E_NS1_11comp_targetILNS1_3genE4ELNS1_11target_archE910ELNS1_3gpuE8ELNS1_3repE0EEENS1_30default_config_static_selectorELNS0_4arch9wavefront6targetE1EEEvSP_
	.globl	_ZN7rocprim17ROCPRIM_400000_NS6detail17trampoline_kernelINS0_14default_configENS1_21merge_config_selectorIiNS0_10empty_typeEEEZNS1_10merge_implIS3_N6thrust23THRUST_200600_302600_NS6detail15normal_iteratorINS9_10device_ptrIKiEEEESF_NSB_INSC_IiEEEEPS5_SI_SI_NS9_4lessIiEEEE10hipError_tPvRmT0_T1_T2_T3_T4_T5_mmT6_P12ihipStream_tbEUlT_E_NS1_11comp_targetILNS1_3genE4ELNS1_11target_archE910ELNS1_3gpuE8ELNS1_3repE0EEENS1_30default_config_static_selectorELNS0_4arch9wavefront6targetE1EEEvSP_
	.p2align	8
	.type	_ZN7rocprim17ROCPRIM_400000_NS6detail17trampoline_kernelINS0_14default_configENS1_21merge_config_selectorIiNS0_10empty_typeEEEZNS1_10merge_implIS3_N6thrust23THRUST_200600_302600_NS6detail15normal_iteratorINS9_10device_ptrIKiEEEESF_NSB_INSC_IiEEEEPS5_SI_SI_NS9_4lessIiEEEE10hipError_tPvRmT0_T1_T2_T3_T4_T5_mmT6_P12ihipStream_tbEUlT_E_NS1_11comp_targetILNS1_3genE4ELNS1_11target_archE910ELNS1_3gpuE8ELNS1_3repE0EEENS1_30default_config_static_selectorELNS0_4arch9wavefront6targetE1EEEvSP_,@function
_ZN7rocprim17ROCPRIM_400000_NS6detail17trampoline_kernelINS0_14default_configENS1_21merge_config_selectorIiNS0_10empty_typeEEEZNS1_10merge_implIS3_N6thrust23THRUST_200600_302600_NS6detail15normal_iteratorINS9_10device_ptrIKiEEEESF_NSB_INSC_IiEEEEPS5_SI_SI_NS9_4lessIiEEEE10hipError_tPvRmT0_T1_T2_T3_T4_T5_mmT6_P12ihipStream_tbEUlT_E_NS1_11comp_targetILNS1_3genE4ELNS1_11target_archE910ELNS1_3gpuE8ELNS1_3repE0EEENS1_30default_config_static_selectorELNS0_4arch9wavefront6targetE1EEEvSP_: ; @_ZN7rocprim17ROCPRIM_400000_NS6detail17trampoline_kernelINS0_14default_configENS1_21merge_config_selectorIiNS0_10empty_typeEEEZNS1_10merge_implIS3_N6thrust23THRUST_200600_302600_NS6detail15normal_iteratorINS9_10device_ptrIKiEEEESF_NSB_INSC_IiEEEEPS5_SI_SI_NS9_4lessIiEEEE10hipError_tPvRmT0_T1_T2_T3_T4_T5_mmT6_P12ihipStream_tbEUlT_E_NS1_11comp_targetILNS1_3genE4ELNS1_11target_archE910ELNS1_3gpuE8ELNS1_3repE0EEENS1_30default_config_static_selectorELNS0_4arch9wavefront6targetE1EEEvSP_
; %bb.0:
	s_load_dword s7, s[4:5], 0x28
	s_load_dword s0, s[4:5], 0x3c
	s_load_dwordx4 s[8:11], s[4:5], 0x18
	s_waitcnt lgkmcnt(0)
	v_cvt_f32_u32_e32 v1, s7
	s_and_b32 s0, s0, 0xffff
	s_add_u32 s12, s10, s8
	s_addc_u32 s13, s11, s9
	v_rcp_iflag_f32_e32 v1, v1
	s_sub_i32 s1, 0, s7
	s_mul_i32 s6, s6, s0
	s_add_i32 s0, s7, s12
	v_mul_f32_e32 v1, 0x4f7ffffe, v1
	v_cvt_u32_f32_e32 v1, v1
	s_add_i32 s0, s0, -1
	v_add_u32_e32 v0, s6, v0
	v_readfirstlane_b32 s2, v1
	s_mul_i32 s1, s1, s2
	s_mul_hi_u32 s1, s2, s1
	s_add_i32 s2, s2, s1
	s_mul_hi_u32 s1, s0, s2
	s_mul_i32 s2, s1, s7
	s_sub_i32 s0, s0, s2
	s_add_i32 s3, s1, 1
	s_sub_i32 s2, s0, s7
	s_cmp_ge_u32 s0, s7
	s_cselect_b32 s1, s3, s1
	s_cselect_b32 s0, s2, s0
	s_add_i32 s2, s1, 1
	s_cmp_ge_u32 s0, s7
	s_cselect_b32 s0, s2, s1
	v_cmp_ge_u32_e32 vcc, s0, v0
	s_and_saveexec_b64 s[0:1], vcc
	s_cbranch_execz .LBB245_6
; %bb.1:
	v_mul_lo_u32 v2, v0, s7
	v_mov_b32_e32 v3, 0
	v_mov_b32_e32 v1, s13
	v_cmp_gt_u64_e32 vcc, s[12:13], v[2:3]
	v_cndmask_b32_e64 v7, v1, 0, vcc
	v_mov_b32_e32 v1, s12
	v_cndmask_b32_e32 v6, v1, v2, vcc
	v_mov_b32_e32 v1, s11
	v_subrev_co_u32_e32 v2, vcc, s10, v6
	v_subb_co_u32_e32 v3, vcc, v7, v1, vcc
	s_load_dwordx4 s[0:3], s[4:5], 0x0
	v_cmp_gt_u64_e32 vcc, v[2:3], v[6:7]
	v_cndmask_b32_e64 v3, v3, 0, vcc
	v_cndmask_b32_e64 v2, v2, 0, vcc
	v_mov_b32_e32 v1, s9
	v_cmp_gt_u64_e32 vcc, s[8:9], v[6:7]
	v_cndmask_b32_e32 v5, v1, v7, vcc
	v_mov_b32_e32 v1, s8
	v_cndmask_b32_e32 v4, v1, v6, vcc
	v_cmp_lt_u64_e32 vcc, v[2:3], v[4:5]
	s_and_saveexec_b64 s[6:7], vcc
	s_cbranch_execz .LBB245_5
; %bb.2:
	s_load_dwordx2 s[4:5], s[4:5], 0x10
	v_lshlrev_b64 v[6:7], 2, v[6:7]
	s_waitcnt lgkmcnt(0)
	v_mov_b32_e32 v8, s5
	v_add_co_u32_e32 v1, vcc, s4, v6
	v_addc_co_u32_e32 v6, vcc, v8, v7, vcc
	s_mov_b64 s[4:5], 0
	v_mov_b32_e32 v7, s3
.LBB245_3:                              ; =>This Inner Loop Header: Depth=1
	v_add_co_u32_e32 v8, vcc, v4, v2
	v_addc_co_u32_e32 v9, vcc, v5, v3, vcc
	v_lshrrev_b64 v[8:9], 1, v[8:9]
	v_lshlrev_b64 v[12:13], 2, v[8:9]
	v_not_b32_e32 v11, v9
	v_not_b32_e32 v10, v8
	v_add_co_u32_e32 v12, vcc, s2, v12
	v_addc_co_u32_e32 v13, vcc, v7, v13, vcc
	v_lshlrev_b64 v[10:11], 2, v[10:11]
	v_add_co_u32_e32 v10, vcc, v1, v10
	v_addc_co_u32_e32 v11, vcc, v6, v11, vcc
	global_load_dword v12, v[12:13], off
	s_nop 0
	global_load_dword v10, v[10:11], off
	v_add_co_u32_e32 v11, vcc, 1, v8
	v_addc_co_u32_e32 v13, vcc, 0, v9, vcc
	s_waitcnt vmcnt(0)
	v_cmp_lt_i32_e32 vcc, v10, v12
	v_cndmask_b32_e32 v5, v5, v9, vcc
	v_cndmask_b32_e32 v4, v4, v8, vcc
	;; [unrolled: 1-line block ×4, first 2 shown]
	v_cmp_ge_u64_e32 vcc, v[2:3], v[4:5]
	s_or_b64 s[4:5], vcc, s[4:5]
	s_andn2_b64 exec, exec, s[4:5]
	s_cbranch_execnz .LBB245_3
; %bb.4:
	s_or_b64 exec, exec, s[4:5]
.LBB245_5:
	s_or_b64 exec, exec, s[6:7]
	v_mov_b32_e32 v1, 0
	v_lshlrev_b64 v[0:1], 2, v[0:1]
	s_waitcnt lgkmcnt(0)
	v_mov_b32_e32 v3, s1
	v_add_co_u32_e32 v0, vcc, s0, v0
	v_addc_co_u32_e32 v1, vcc, v3, v1, vcc
	global_store_dword v[0:1], v2, off
.LBB245_6:
	s_endpgm
	.section	.rodata,"a",@progbits
	.p2align	6, 0x0
	.amdhsa_kernel _ZN7rocprim17ROCPRIM_400000_NS6detail17trampoline_kernelINS0_14default_configENS1_21merge_config_selectorIiNS0_10empty_typeEEEZNS1_10merge_implIS3_N6thrust23THRUST_200600_302600_NS6detail15normal_iteratorINS9_10device_ptrIKiEEEESF_NSB_INSC_IiEEEEPS5_SI_SI_NS9_4lessIiEEEE10hipError_tPvRmT0_T1_T2_T3_T4_T5_mmT6_P12ihipStream_tbEUlT_E_NS1_11comp_targetILNS1_3genE4ELNS1_11target_archE910ELNS1_3gpuE8ELNS1_3repE0EEENS1_30default_config_static_selectorELNS0_4arch9wavefront6targetE1EEEvSP_
		.amdhsa_group_segment_fixed_size 0
		.amdhsa_private_segment_fixed_size 0
		.amdhsa_kernarg_size 304
		.amdhsa_user_sgpr_count 6
		.amdhsa_user_sgpr_private_segment_buffer 1
		.amdhsa_user_sgpr_dispatch_ptr 0
		.amdhsa_user_sgpr_queue_ptr 0
		.amdhsa_user_sgpr_kernarg_segment_ptr 1
		.amdhsa_user_sgpr_dispatch_id 0
		.amdhsa_user_sgpr_flat_scratch_init 0
		.amdhsa_user_sgpr_kernarg_preload_length 0
		.amdhsa_user_sgpr_kernarg_preload_offset 0
		.amdhsa_user_sgpr_private_segment_size 0
		.amdhsa_uses_dynamic_stack 0
		.amdhsa_system_sgpr_private_segment_wavefront_offset 0
		.amdhsa_system_sgpr_workgroup_id_x 1
		.amdhsa_system_sgpr_workgroup_id_y 0
		.amdhsa_system_sgpr_workgroup_id_z 0
		.amdhsa_system_sgpr_workgroup_info 0
		.amdhsa_system_vgpr_workitem_id 0
		.amdhsa_next_free_vgpr 14
		.amdhsa_next_free_sgpr 14
		.amdhsa_accum_offset 16
		.amdhsa_reserve_vcc 1
		.amdhsa_reserve_flat_scratch 0
		.amdhsa_float_round_mode_32 0
		.amdhsa_float_round_mode_16_64 0
		.amdhsa_float_denorm_mode_32 3
		.amdhsa_float_denorm_mode_16_64 3
		.amdhsa_dx10_clamp 1
		.amdhsa_ieee_mode 1
		.amdhsa_fp16_overflow 0
		.amdhsa_tg_split 0
		.amdhsa_exception_fp_ieee_invalid_op 0
		.amdhsa_exception_fp_denorm_src 0
		.amdhsa_exception_fp_ieee_div_zero 0
		.amdhsa_exception_fp_ieee_overflow 0
		.amdhsa_exception_fp_ieee_underflow 0
		.amdhsa_exception_fp_ieee_inexact 0
		.amdhsa_exception_int_div_zero 0
	.end_amdhsa_kernel
	.section	.text._ZN7rocprim17ROCPRIM_400000_NS6detail17trampoline_kernelINS0_14default_configENS1_21merge_config_selectorIiNS0_10empty_typeEEEZNS1_10merge_implIS3_N6thrust23THRUST_200600_302600_NS6detail15normal_iteratorINS9_10device_ptrIKiEEEESF_NSB_INSC_IiEEEEPS5_SI_SI_NS9_4lessIiEEEE10hipError_tPvRmT0_T1_T2_T3_T4_T5_mmT6_P12ihipStream_tbEUlT_E_NS1_11comp_targetILNS1_3genE4ELNS1_11target_archE910ELNS1_3gpuE8ELNS1_3repE0EEENS1_30default_config_static_selectorELNS0_4arch9wavefront6targetE1EEEvSP_,"axG",@progbits,_ZN7rocprim17ROCPRIM_400000_NS6detail17trampoline_kernelINS0_14default_configENS1_21merge_config_selectorIiNS0_10empty_typeEEEZNS1_10merge_implIS3_N6thrust23THRUST_200600_302600_NS6detail15normal_iteratorINS9_10device_ptrIKiEEEESF_NSB_INSC_IiEEEEPS5_SI_SI_NS9_4lessIiEEEE10hipError_tPvRmT0_T1_T2_T3_T4_T5_mmT6_P12ihipStream_tbEUlT_E_NS1_11comp_targetILNS1_3genE4ELNS1_11target_archE910ELNS1_3gpuE8ELNS1_3repE0EEENS1_30default_config_static_selectorELNS0_4arch9wavefront6targetE1EEEvSP_,comdat
.Lfunc_end245:
	.size	_ZN7rocprim17ROCPRIM_400000_NS6detail17trampoline_kernelINS0_14default_configENS1_21merge_config_selectorIiNS0_10empty_typeEEEZNS1_10merge_implIS3_N6thrust23THRUST_200600_302600_NS6detail15normal_iteratorINS9_10device_ptrIKiEEEESF_NSB_INSC_IiEEEEPS5_SI_SI_NS9_4lessIiEEEE10hipError_tPvRmT0_T1_T2_T3_T4_T5_mmT6_P12ihipStream_tbEUlT_E_NS1_11comp_targetILNS1_3genE4ELNS1_11target_archE910ELNS1_3gpuE8ELNS1_3repE0EEENS1_30default_config_static_selectorELNS0_4arch9wavefront6targetE1EEEvSP_, .Lfunc_end245-_ZN7rocprim17ROCPRIM_400000_NS6detail17trampoline_kernelINS0_14default_configENS1_21merge_config_selectorIiNS0_10empty_typeEEEZNS1_10merge_implIS3_N6thrust23THRUST_200600_302600_NS6detail15normal_iteratorINS9_10device_ptrIKiEEEESF_NSB_INSC_IiEEEEPS5_SI_SI_NS9_4lessIiEEEE10hipError_tPvRmT0_T1_T2_T3_T4_T5_mmT6_P12ihipStream_tbEUlT_E_NS1_11comp_targetILNS1_3genE4ELNS1_11target_archE910ELNS1_3gpuE8ELNS1_3repE0EEENS1_30default_config_static_selectorELNS0_4arch9wavefront6targetE1EEEvSP_
                                        ; -- End function
	.section	.AMDGPU.csdata,"",@progbits
; Kernel info:
; codeLenInByte = 476
; NumSgprs: 18
; NumVgprs: 14
; NumAgprs: 0
; TotalNumVgprs: 14
; ScratchSize: 0
; MemoryBound: 0
; FloatMode: 240
; IeeeMode: 1
; LDSByteSize: 0 bytes/workgroup (compile time only)
; SGPRBlocks: 2
; VGPRBlocks: 1
; NumSGPRsForWavesPerEU: 18
; NumVGPRsForWavesPerEU: 14
; AccumOffset: 16
; Occupancy: 8
; WaveLimiterHint : 0
; COMPUTE_PGM_RSRC2:SCRATCH_EN: 0
; COMPUTE_PGM_RSRC2:USER_SGPR: 6
; COMPUTE_PGM_RSRC2:TRAP_HANDLER: 0
; COMPUTE_PGM_RSRC2:TGID_X_EN: 1
; COMPUTE_PGM_RSRC2:TGID_Y_EN: 0
; COMPUTE_PGM_RSRC2:TGID_Z_EN: 0
; COMPUTE_PGM_RSRC2:TIDIG_COMP_CNT: 0
; COMPUTE_PGM_RSRC3_GFX90A:ACCUM_OFFSET: 3
; COMPUTE_PGM_RSRC3_GFX90A:TG_SPLIT: 0
	.section	.text._ZN7rocprim17ROCPRIM_400000_NS6detail17trampoline_kernelINS0_14default_configENS1_21merge_config_selectorIiNS0_10empty_typeEEEZNS1_10merge_implIS3_N6thrust23THRUST_200600_302600_NS6detail15normal_iteratorINS9_10device_ptrIKiEEEESF_NSB_INSC_IiEEEEPS5_SI_SI_NS9_4lessIiEEEE10hipError_tPvRmT0_T1_T2_T3_T4_T5_mmT6_P12ihipStream_tbEUlT_E_NS1_11comp_targetILNS1_3genE3ELNS1_11target_archE908ELNS1_3gpuE7ELNS1_3repE0EEENS1_30default_config_static_selectorELNS0_4arch9wavefront6targetE1EEEvSP_,"axG",@progbits,_ZN7rocprim17ROCPRIM_400000_NS6detail17trampoline_kernelINS0_14default_configENS1_21merge_config_selectorIiNS0_10empty_typeEEEZNS1_10merge_implIS3_N6thrust23THRUST_200600_302600_NS6detail15normal_iteratorINS9_10device_ptrIKiEEEESF_NSB_INSC_IiEEEEPS5_SI_SI_NS9_4lessIiEEEE10hipError_tPvRmT0_T1_T2_T3_T4_T5_mmT6_P12ihipStream_tbEUlT_E_NS1_11comp_targetILNS1_3genE3ELNS1_11target_archE908ELNS1_3gpuE7ELNS1_3repE0EEENS1_30default_config_static_selectorELNS0_4arch9wavefront6targetE1EEEvSP_,comdat
	.protected	_ZN7rocprim17ROCPRIM_400000_NS6detail17trampoline_kernelINS0_14default_configENS1_21merge_config_selectorIiNS0_10empty_typeEEEZNS1_10merge_implIS3_N6thrust23THRUST_200600_302600_NS6detail15normal_iteratorINS9_10device_ptrIKiEEEESF_NSB_INSC_IiEEEEPS5_SI_SI_NS9_4lessIiEEEE10hipError_tPvRmT0_T1_T2_T3_T4_T5_mmT6_P12ihipStream_tbEUlT_E_NS1_11comp_targetILNS1_3genE3ELNS1_11target_archE908ELNS1_3gpuE7ELNS1_3repE0EEENS1_30default_config_static_selectorELNS0_4arch9wavefront6targetE1EEEvSP_ ; -- Begin function _ZN7rocprim17ROCPRIM_400000_NS6detail17trampoline_kernelINS0_14default_configENS1_21merge_config_selectorIiNS0_10empty_typeEEEZNS1_10merge_implIS3_N6thrust23THRUST_200600_302600_NS6detail15normal_iteratorINS9_10device_ptrIKiEEEESF_NSB_INSC_IiEEEEPS5_SI_SI_NS9_4lessIiEEEE10hipError_tPvRmT0_T1_T2_T3_T4_T5_mmT6_P12ihipStream_tbEUlT_E_NS1_11comp_targetILNS1_3genE3ELNS1_11target_archE908ELNS1_3gpuE7ELNS1_3repE0EEENS1_30default_config_static_selectorELNS0_4arch9wavefront6targetE1EEEvSP_
	.globl	_ZN7rocprim17ROCPRIM_400000_NS6detail17trampoline_kernelINS0_14default_configENS1_21merge_config_selectorIiNS0_10empty_typeEEEZNS1_10merge_implIS3_N6thrust23THRUST_200600_302600_NS6detail15normal_iteratorINS9_10device_ptrIKiEEEESF_NSB_INSC_IiEEEEPS5_SI_SI_NS9_4lessIiEEEE10hipError_tPvRmT0_T1_T2_T3_T4_T5_mmT6_P12ihipStream_tbEUlT_E_NS1_11comp_targetILNS1_3genE3ELNS1_11target_archE908ELNS1_3gpuE7ELNS1_3repE0EEENS1_30default_config_static_selectorELNS0_4arch9wavefront6targetE1EEEvSP_
	.p2align	8
	.type	_ZN7rocprim17ROCPRIM_400000_NS6detail17trampoline_kernelINS0_14default_configENS1_21merge_config_selectorIiNS0_10empty_typeEEEZNS1_10merge_implIS3_N6thrust23THRUST_200600_302600_NS6detail15normal_iteratorINS9_10device_ptrIKiEEEESF_NSB_INSC_IiEEEEPS5_SI_SI_NS9_4lessIiEEEE10hipError_tPvRmT0_T1_T2_T3_T4_T5_mmT6_P12ihipStream_tbEUlT_E_NS1_11comp_targetILNS1_3genE3ELNS1_11target_archE908ELNS1_3gpuE7ELNS1_3repE0EEENS1_30default_config_static_selectorELNS0_4arch9wavefront6targetE1EEEvSP_,@function
_ZN7rocprim17ROCPRIM_400000_NS6detail17trampoline_kernelINS0_14default_configENS1_21merge_config_selectorIiNS0_10empty_typeEEEZNS1_10merge_implIS3_N6thrust23THRUST_200600_302600_NS6detail15normal_iteratorINS9_10device_ptrIKiEEEESF_NSB_INSC_IiEEEEPS5_SI_SI_NS9_4lessIiEEEE10hipError_tPvRmT0_T1_T2_T3_T4_T5_mmT6_P12ihipStream_tbEUlT_E_NS1_11comp_targetILNS1_3genE3ELNS1_11target_archE908ELNS1_3gpuE7ELNS1_3repE0EEENS1_30default_config_static_selectorELNS0_4arch9wavefront6targetE1EEEvSP_: ; @_ZN7rocprim17ROCPRIM_400000_NS6detail17trampoline_kernelINS0_14default_configENS1_21merge_config_selectorIiNS0_10empty_typeEEEZNS1_10merge_implIS3_N6thrust23THRUST_200600_302600_NS6detail15normal_iteratorINS9_10device_ptrIKiEEEESF_NSB_INSC_IiEEEEPS5_SI_SI_NS9_4lessIiEEEE10hipError_tPvRmT0_T1_T2_T3_T4_T5_mmT6_P12ihipStream_tbEUlT_E_NS1_11comp_targetILNS1_3genE3ELNS1_11target_archE908ELNS1_3gpuE7ELNS1_3repE0EEENS1_30default_config_static_selectorELNS0_4arch9wavefront6targetE1EEEvSP_
; %bb.0:
	.section	.rodata,"a",@progbits
	.p2align	6, 0x0
	.amdhsa_kernel _ZN7rocprim17ROCPRIM_400000_NS6detail17trampoline_kernelINS0_14default_configENS1_21merge_config_selectorIiNS0_10empty_typeEEEZNS1_10merge_implIS3_N6thrust23THRUST_200600_302600_NS6detail15normal_iteratorINS9_10device_ptrIKiEEEESF_NSB_INSC_IiEEEEPS5_SI_SI_NS9_4lessIiEEEE10hipError_tPvRmT0_T1_T2_T3_T4_T5_mmT6_P12ihipStream_tbEUlT_E_NS1_11comp_targetILNS1_3genE3ELNS1_11target_archE908ELNS1_3gpuE7ELNS1_3repE0EEENS1_30default_config_static_selectorELNS0_4arch9wavefront6targetE1EEEvSP_
		.amdhsa_group_segment_fixed_size 0
		.amdhsa_private_segment_fixed_size 0
		.amdhsa_kernarg_size 48
		.amdhsa_user_sgpr_count 6
		.amdhsa_user_sgpr_private_segment_buffer 1
		.amdhsa_user_sgpr_dispatch_ptr 0
		.amdhsa_user_sgpr_queue_ptr 0
		.amdhsa_user_sgpr_kernarg_segment_ptr 1
		.amdhsa_user_sgpr_dispatch_id 0
		.amdhsa_user_sgpr_flat_scratch_init 0
		.amdhsa_user_sgpr_kernarg_preload_length 0
		.amdhsa_user_sgpr_kernarg_preload_offset 0
		.amdhsa_user_sgpr_private_segment_size 0
		.amdhsa_uses_dynamic_stack 0
		.amdhsa_system_sgpr_private_segment_wavefront_offset 0
		.amdhsa_system_sgpr_workgroup_id_x 1
		.amdhsa_system_sgpr_workgroup_id_y 0
		.amdhsa_system_sgpr_workgroup_id_z 0
		.amdhsa_system_sgpr_workgroup_info 0
		.amdhsa_system_vgpr_workitem_id 0
		.amdhsa_next_free_vgpr 1
		.amdhsa_next_free_sgpr 0
		.amdhsa_accum_offset 4
		.amdhsa_reserve_vcc 0
		.amdhsa_reserve_flat_scratch 0
		.amdhsa_float_round_mode_32 0
		.amdhsa_float_round_mode_16_64 0
		.amdhsa_float_denorm_mode_32 3
		.amdhsa_float_denorm_mode_16_64 3
		.amdhsa_dx10_clamp 1
		.amdhsa_ieee_mode 1
		.amdhsa_fp16_overflow 0
		.amdhsa_tg_split 0
		.amdhsa_exception_fp_ieee_invalid_op 0
		.amdhsa_exception_fp_denorm_src 0
		.amdhsa_exception_fp_ieee_div_zero 0
		.amdhsa_exception_fp_ieee_overflow 0
		.amdhsa_exception_fp_ieee_underflow 0
		.amdhsa_exception_fp_ieee_inexact 0
		.amdhsa_exception_int_div_zero 0
	.end_amdhsa_kernel
	.section	.text._ZN7rocprim17ROCPRIM_400000_NS6detail17trampoline_kernelINS0_14default_configENS1_21merge_config_selectorIiNS0_10empty_typeEEEZNS1_10merge_implIS3_N6thrust23THRUST_200600_302600_NS6detail15normal_iteratorINS9_10device_ptrIKiEEEESF_NSB_INSC_IiEEEEPS5_SI_SI_NS9_4lessIiEEEE10hipError_tPvRmT0_T1_T2_T3_T4_T5_mmT6_P12ihipStream_tbEUlT_E_NS1_11comp_targetILNS1_3genE3ELNS1_11target_archE908ELNS1_3gpuE7ELNS1_3repE0EEENS1_30default_config_static_selectorELNS0_4arch9wavefront6targetE1EEEvSP_,"axG",@progbits,_ZN7rocprim17ROCPRIM_400000_NS6detail17trampoline_kernelINS0_14default_configENS1_21merge_config_selectorIiNS0_10empty_typeEEEZNS1_10merge_implIS3_N6thrust23THRUST_200600_302600_NS6detail15normal_iteratorINS9_10device_ptrIKiEEEESF_NSB_INSC_IiEEEEPS5_SI_SI_NS9_4lessIiEEEE10hipError_tPvRmT0_T1_T2_T3_T4_T5_mmT6_P12ihipStream_tbEUlT_E_NS1_11comp_targetILNS1_3genE3ELNS1_11target_archE908ELNS1_3gpuE7ELNS1_3repE0EEENS1_30default_config_static_selectorELNS0_4arch9wavefront6targetE1EEEvSP_,comdat
.Lfunc_end246:
	.size	_ZN7rocprim17ROCPRIM_400000_NS6detail17trampoline_kernelINS0_14default_configENS1_21merge_config_selectorIiNS0_10empty_typeEEEZNS1_10merge_implIS3_N6thrust23THRUST_200600_302600_NS6detail15normal_iteratorINS9_10device_ptrIKiEEEESF_NSB_INSC_IiEEEEPS5_SI_SI_NS9_4lessIiEEEE10hipError_tPvRmT0_T1_T2_T3_T4_T5_mmT6_P12ihipStream_tbEUlT_E_NS1_11comp_targetILNS1_3genE3ELNS1_11target_archE908ELNS1_3gpuE7ELNS1_3repE0EEENS1_30default_config_static_selectorELNS0_4arch9wavefront6targetE1EEEvSP_, .Lfunc_end246-_ZN7rocprim17ROCPRIM_400000_NS6detail17trampoline_kernelINS0_14default_configENS1_21merge_config_selectorIiNS0_10empty_typeEEEZNS1_10merge_implIS3_N6thrust23THRUST_200600_302600_NS6detail15normal_iteratorINS9_10device_ptrIKiEEEESF_NSB_INSC_IiEEEEPS5_SI_SI_NS9_4lessIiEEEE10hipError_tPvRmT0_T1_T2_T3_T4_T5_mmT6_P12ihipStream_tbEUlT_E_NS1_11comp_targetILNS1_3genE3ELNS1_11target_archE908ELNS1_3gpuE7ELNS1_3repE0EEENS1_30default_config_static_selectorELNS0_4arch9wavefront6targetE1EEEvSP_
                                        ; -- End function
	.section	.AMDGPU.csdata,"",@progbits
; Kernel info:
; codeLenInByte = 0
; NumSgprs: 4
; NumVgprs: 0
; NumAgprs: 0
; TotalNumVgprs: 0
; ScratchSize: 0
; MemoryBound: 0
; FloatMode: 240
; IeeeMode: 1
; LDSByteSize: 0 bytes/workgroup (compile time only)
; SGPRBlocks: 0
; VGPRBlocks: 0
; NumSGPRsForWavesPerEU: 4
; NumVGPRsForWavesPerEU: 1
; AccumOffset: 4
; Occupancy: 8
; WaveLimiterHint : 0
; COMPUTE_PGM_RSRC2:SCRATCH_EN: 0
; COMPUTE_PGM_RSRC2:USER_SGPR: 6
; COMPUTE_PGM_RSRC2:TRAP_HANDLER: 0
; COMPUTE_PGM_RSRC2:TGID_X_EN: 1
; COMPUTE_PGM_RSRC2:TGID_Y_EN: 0
; COMPUTE_PGM_RSRC2:TGID_Z_EN: 0
; COMPUTE_PGM_RSRC2:TIDIG_COMP_CNT: 0
; COMPUTE_PGM_RSRC3_GFX90A:ACCUM_OFFSET: 0
; COMPUTE_PGM_RSRC3_GFX90A:TG_SPLIT: 0
	.section	.text._ZN7rocprim17ROCPRIM_400000_NS6detail17trampoline_kernelINS0_14default_configENS1_21merge_config_selectorIiNS0_10empty_typeEEEZNS1_10merge_implIS3_N6thrust23THRUST_200600_302600_NS6detail15normal_iteratorINS9_10device_ptrIKiEEEESF_NSB_INSC_IiEEEEPS5_SI_SI_NS9_4lessIiEEEE10hipError_tPvRmT0_T1_T2_T3_T4_T5_mmT6_P12ihipStream_tbEUlT_E_NS1_11comp_targetILNS1_3genE2ELNS1_11target_archE906ELNS1_3gpuE6ELNS1_3repE0EEENS1_30default_config_static_selectorELNS0_4arch9wavefront6targetE1EEEvSP_,"axG",@progbits,_ZN7rocprim17ROCPRIM_400000_NS6detail17trampoline_kernelINS0_14default_configENS1_21merge_config_selectorIiNS0_10empty_typeEEEZNS1_10merge_implIS3_N6thrust23THRUST_200600_302600_NS6detail15normal_iteratorINS9_10device_ptrIKiEEEESF_NSB_INSC_IiEEEEPS5_SI_SI_NS9_4lessIiEEEE10hipError_tPvRmT0_T1_T2_T3_T4_T5_mmT6_P12ihipStream_tbEUlT_E_NS1_11comp_targetILNS1_3genE2ELNS1_11target_archE906ELNS1_3gpuE6ELNS1_3repE0EEENS1_30default_config_static_selectorELNS0_4arch9wavefront6targetE1EEEvSP_,comdat
	.protected	_ZN7rocprim17ROCPRIM_400000_NS6detail17trampoline_kernelINS0_14default_configENS1_21merge_config_selectorIiNS0_10empty_typeEEEZNS1_10merge_implIS3_N6thrust23THRUST_200600_302600_NS6detail15normal_iteratorINS9_10device_ptrIKiEEEESF_NSB_INSC_IiEEEEPS5_SI_SI_NS9_4lessIiEEEE10hipError_tPvRmT0_T1_T2_T3_T4_T5_mmT6_P12ihipStream_tbEUlT_E_NS1_11comp_targetILNS1_3genE2ELNS1_11target_archE906ELNS1_3gpuE6ELNS1_3repE0EEENS1_30default_config_static_selectorELNS0_4arch9wavefront6targetE1EEEvSP_ ; -- Begin function _ZN7rocprim17ROCPRIM_400000_NS6detail17trampoline_kernelINS0_14default_configENS1_21merge_config_selectorIiNS0_10empty_typeEEEZNS1_10merge_implIS3_N6thrust23THRUST_200600_302600_NS6detail15normal_iteratorINS9_10device_ptrIKiEEEESF_NSB_INSC_IiEEEEPS5_SI_SI_NS9_4lessIiEEEE10hipError_tPvRmT0_T1_T2_T3_T4_T5_mmT6_P12ihipStream_tbEUlT_E_NS1_11comp_targetILNS1_3genE2ELNS1_11target_archE906ELNS1_3gpuE6ELNS1_3repE0EEENS1_30default_config_static_selectorELNS0_4arch9wavefront6targetE1EEEvSP_
	.globl	_ZN7rocprim17ROCPRIM_400000_NS6detail17trampoline_kernelINS0_14default_configENS1_21merge_config_selectorIiNS0_10empty_typeEEEZNS1_10merge_implIS3_N6thrust23THRUST_200600_302600_NS6detail15normal_iteratorINS9_10device_ptrIKiEEEESF_NSB_INSC_IiEEEEPS5_SI_SI_NS9_4lessIiEEEE10hipError_tPvRmT0_T1_T2_T3_T4_T5_mmT6_P12ihipStream_tbEUlT_E_NS1_11comp_targetILNS1_3genE2ELNS1_11target_archE906ELNS1_3gpuE6ELNS1_3repE0EEENS1_30default_config_static_selectorELNS0_4arch9wavefront6targetE1EEEvSP_
	.p2align	8
	.type	_ZN7rocprim17ROCPRIM_400000_NS6detail17trampoline_kernelINS0_14default_configENS1_21merge_config_selectorIiNS0_10empty_typeEEEZNS1_10merge_implIS3_N6thrust23THRUST_200600_302600_NS6detail15normal_iteratorINS9_10device_ptrIKiEEEESF_NSB_INSC_IiEEEEPS5_SI_SI_NS9_4lessIiEEEE10hipError_tPvRmT0_T1_T2_T3_T4_T5_mmT6_P12ihipStream_tbEUlT_E_NS1_11comp_targetILNS1_3genE2ELNS1_11target_archE906ELNS1_3gpuE6ELNS1_3repE0EEENS1_30default_config_static_selectorELNS0_4arch9wavefront6targetE1EEEvSP_,@function
_ZN7rocprim17ROCPRIM_400000_NS6detail17trampoline_kernelINS0_14default_configENS1_21merge_config_selectorIiNS0_10empty_typeEEEZNS1_10merge_implIS3_N6thrust23THRUST_200600_302600_NS6detail15normal_iteratorINS9_10device_ptrIKiEEEESF_NSB_INSC_IiEEEEPS5_SI_SI_NS9_4lessIiEEEE10hipError_tPvRmT0_T1_T2_T3_T4_T5_mmT6_P12ihipStream_tbEUlT_E_NS1_11comp_targetILNS1_3genE2ELNS1_11target_archE906ELNS1_3gpuE6ELNS1_3repE0EEENS1_30default_config_static_selectorELNS0_4arch9wavefront6targetE1EEEvSP_: ; @_ZN7rocprim17ROCPRIM_400000_NS6detail17trampoline_kernelINS0_14default_configENS1_21merge_config_selectorIiNS0_10empty_typeEEEZNS1_10merge_implIS3_N6thrust23THRUST_200600_302600_NS6detail15normal_iteratorINS9_10device_ptrIKiEEEESF_NSB_INSC_IiEEEEPS5_SI_SI_NS9_4lessIiEEEE10hipError_tPvRmT0_T1_T2_T3_T4_T5_mmT6_P12ihipStream_tbEUlT_E_NS1_11comp_targetILNS1_3genE2ELNS1_11target_archE906ELNS1_3gpuE6ELNS1_3repE0EEENS1_30default_config_static_selectorELNS0_4arch9wavefront6targetE1EEEvSP_
; %bb.0:
	.section	.rodata,"a",@progbits
	.p2align	6, 0x0
	.amdhsa_kernel _ZN7rocprim17ROCPRIM_400000_NS6detail17trampoline_kernelINS0_14default_configENS1_21merge_config_selectorIiNS0_10empty_typeEEEZNS1_10merge_implIS3_N6thrust23THRUST_200600_302600_NS6detail15normal_iteratorINS9_10device_ptrIKiEEEESF_NSB_INSC_IiEEEEPS5_SI_SI_NS9_4lessIiEEEE10hipError_tPvRmT0_T1_T2_T3_T4_T5_mmT6_P12ihipStream_tbEUlT_E_NS1_11comp_targetILNS1_3genE2ELNS1_11target_archE906ELNS1_3gpuE6ELNS1_3repE0EEENS1_30default_config_static_selectorELNS0_4arch9wavefront6targetE1EEEvSP_
		.amdhsa_group_segment_fixed_size 0
		.amdhsa_private_segment_fixed_size 0
		.amdhsa_kernarg_size 48
		.amdhsa_user_sgpr_count 6
		.amdhsa_user_sgpr_private_segment_buffer 1
		.amdhsa_user_sgpr_dispatch_ptr 0
		.amdhsa_user_sgpr_queue_ptr 0
		.amdhsa_user_sgpr_kernarg_segment_ptr 1
		.amdhsa_user_sgpr_dispatch_id 0
		.amdhsa_user_sgpr_flat_scratch_init 0
		.amdhsa_user_sgpr_kernarg_preload_length 0
		.amdhsa_user_sgpr_kernarg_preload_offset 0
		.amdhsa_user_sgpr_private_segment_size 0
		.amdhsa_uses_dynamic_stack 0
		.amdhsa_system_sgpr_private_segment_wavefront_offset 0
		.amdhsa_system_sgpr_workgroup_id_x 1
		.amdhsa_system_sgpr_workgroup_id_y 0
		.amdhsa_system_sgpr_workgroup_id_z 0
		.amdhsa_system_sgpr_workgroup_info 0
		.amdhsa_system_vgpr_workitem_id 0
		.amdhsa_next_free_vgpr 1
		.amdhsa_next_free_sgpr 0
		.amdhsa_accum_offset 4
		.amdhsa_reserve_vcc 0
		.amdhsa_reserve_flat_scratch 0
		.amdhsa_float_round_mode_32 0
		.amdhsa_float_round_mode_16_64 0
		.amdhsa_float_denorm_mode_32 3
		.amdhsa_float_denorm_mode_16_64 3
		.amdhsa_dx10_clamp 1
		.amdhsa_ieee_mode 1
		.amdhsa_fp16_overflow 0
		.amdhsa_tg_split 0
		.amdhsa_exception_fp_ieee_invalid_op 0
		.amdhsa_exception_fp_denorm_src 0
		.amdhsa_exception_fp_ieee_div_zero 0
		.amdhsa_exception_fp_ieee_overflow 0
		.amdhsa_exception_fp_ieee_underflow 0
		.amdhsa_exception_fp_ieee_inexact 0
		.amdhsa_exception_int_div_zero 0
	.end_amdhsa_kernel
	.section	.text._ZN7rocprim17ROCPRIM_400000_NS6detail17trampoline_kernelINS0_14default_configENS1_21merge_config_selectorIiNS0_10empty_typeEEEZNS1_10merge_implIS3_N6thrust23THRUST_200600_302600_NS6detail15normal_iteratorINS9_10device_ptrIKiEEEESF_NSB_INSC_IiEEEEPS5_SI_SI_NS9_4lessIiEEEE10hipError_tPvRmT0_T1_T2_T3_T4_T5_mmT6_P12ihipStream_tbEUlT_E_NS1_11comp_targetILNS1_3genE2ELNS1_11target_archE906ELNS1_3gpuE6ELNS1_3repE0EEENS1_30default_config_static_selectorELNS0_4arch9wavefront6targetE1EEEvSP_,"axG",@progbits,_ZN7rocprim17ROCPRIM_400000_NS6detail17trampoline_kernelINS0_14default_configENS1_21merge_config_selectorIiNS0_10empty_typeEEEZNS1_10merge_implIS3_N6thrust23THRUST_200600_302600_NS6detail15normal_iteratorINS9_10device_ptrIKiEEEESF_NSB_INSC_IiEEEEPS5_SI_SI_NS9_4lessIiEEEE10hipError_tPvRmT0_T1_T2_T3_T4_T5_mmT6_P12ihipStream_tbEUlT_E_NS1_11comp_targetILNS1_3genE2ELNS1_11target_archE906ELNS1_3gpuE6ELNS1_3repE0EEENS1_30default_config_static_selectorELNS0_4arch9wavefront6targetE1EEEvSP_,comdat
.Lfunc_end247:
	.size	_ZN7rocprim17ROCPRIM_400000_NS6detail17trampoline_kernelINS0_14default_configENS1_21merge_config_selectorIiNS0_10empty_typeEEEZNS1_10merge_implIS3_N6thrust23THRUST_200600_302600_NS6detail15normal_iteratorINS9_10device_ptrIKiEEEESF_NSB_INSC_IiEEEEPS5_SI_SI_NS9_4lessIiEEEE10hipError_tPvRmT0_T1_T2_T3_T4_T5_mmT6_P12ihipStream_tbEUlT_E_NS1_11comp_targetILNS1_3genE2ELNS1_11target_archE906ELNS1_3gpuE6ELNS1_3repE0EEENS1_30default_config_static_selectorELNS0_4arch9wavefront6targetE1EEEvSP_, .Lfunc_end247-_ZN7rocprim17ROCPRIM_400000_NS6detail17trampoline_kernelINS0_14default_configENS1_21merge_config_selectorIiNS0_10empty_typeEEEZNS1_10merge_implIS3_N6thrust23THRUST_200600_302600_NS6detail15normal_iteratorINS9_10device_ptrIKiEEEESF_NSB_INSC_IiEEEEPS5_SI_SI_NS9_4lessIiEEEE10hipError_tPvRmT0_T1_T2_T3_T4_T5_mmT6_P12ihipStream_tbEUlT_E_NS1_11comp_targetILNS1_3genE2ELNS1_11target_archE906ELNS1_3gpuE6ELNS1_3repE0EEENS1_30default_config_static_selectorELNS0_4arch9wavefront6targetE1EEEvSP_
                                        ; -- End function
	.section	.AMDGPU.csdata,"",@progbits
; Kernel info:
; codeLenInByte = 0
; NumSgprs: 4
; NumVgprs: 0
; NumAgprs: 0
; TotalNumVgprs: 0
; ScratchSize: 0
; MemoryBound: 0
; FloatMode: 240
; IeeeMode: 1
; LDSByteSize: 0 bytes/workgroup (compile time only)
; SGPRBlocks: 0
; VGPRBlocks: 0
; NumSGPRsForWavesPerEU: 4
; NumVGPRsForWavesPerEU: 1
; AccumOffset: 4
; Occupancy: 8
; WaveLimiterHint : 0
; COMPUTE_PGM_RSRC2:SCRATCH_EN: 0
; COMPUTE_PGM_RSRC2:USER_SGPR: 6
; COMPUTE_PGM_RSRC2:TRAP_HANDLER: 0
; COMPUTE_PGM_RSRC2:TGID_X_EN: 1
; COMPUTE_PGM_RSRC2:TGID_Y_EN: 0
; COMPUTE_PGM_RSRC2:TGID_Z_EN: 0
; COMPUTE_PGM_RSRC2:TIDIG_COMP_CNT: 0
; COMPUTE_PGM_RSRC3_GFX90A:ACCUM_OFFSET: 0
; COMPUTE_PGM_RSRC3_GFX90A:TG_SPLIT: 0
	.section	.text._ZN7rocprim17ROCPRIM_400000_NS6detail17trampoline_kernelINS0_14default_configENS1_21merge_config_selectorIiNS0_10empty_typeEEEZNS1_10merge_implIS3_N6thrust23THRUST_200600_302600_NS6detail15normal_iteratorINS9_10device_ptrIKiEEEESF_NSB_INSC_IiEEEEPS5_SI_SI_NS9_4lessIiEEEE10hipError_tPvRmT0_T1_T2_T3_T4_T5_mmT6_P12ihipStream_tbEUlT_E_NS1_11comp_targetILNS1_3genE10ELNS1_11target_archE1201ELNS1_3gpuE5ELNS1_3repE0EEENS1_30default_config_static_selectorELNS0_4arch9wavefront6targetE1EEEvSP_,"axG",@progbits,_ZN7rocprim17ROCPRIM_400000_NS6detail17trampoline_kernelINS0_14default_configENS1_21merge_config_selectorIiNS0_10empty_typeEEEZNS1_10merge_implIS3_N6thrust23THRUST_200600_302600_NS6detail15normal_iteratorINS9_10device_ptrIKiEEEESF_NSB_INSC_IiEEEEPS5_SI_SI_NS9_4lessIiEEEE10hipError_tPvRmT0_T1_T2_T3_T4_T5_mmT6_P12ihipStream_tbEUlT_E_NS1_11comp_targetILNS1_3genE10ELNS1_11target_archE1201ELNS1_3gpuE5ELNS1_3repE0EEENS1_30default_config_static_selectorELNS0_4arch9wavefront6targetE1EEEvSP_,comdat
	.protected	_ZN7rocprim17ROCPRIM_400000_NS6detail17trampoline_kernelINS0_14default_configENS1_21merge_config_selectorIiNS0_10empty_typeEEEZNS1_10merge_implIS3_N6thrust23THRUST_200600_302600_NS6detail15normal_iteratorINS9_10device_ptrIKiEEEESF_NSB_INSC_IiEEEEPS5_SI_SI_NS9_4lessIiEEEE10hipError_tPvRmT0_T1_T2_T3_T4_T5_mmT6_P12ihipStream_tbEUlT_E_NS1_11comp_targetILNS1_3genE10ELNS1_11target_archE1201ELNS1_3gpuE5ELNS1_3repE0EEENS1_30default_config_static_selectorELNS0_4arch9wavefront6targetE1EEEvSP_ ; -- Begin function _ZN7rocprim17ROCPRIM_400000_NS6detail17trampoline_kernelINS0_14default_configENS1_21merge_config_selectorIiNS0_10empty_typeEEEZNS1_10merge_implIS3_N6thrust23THRUST_200600_302600_NS6detail15normal_iteratorINS9_10device_ptrIKiEEEESF_NSB_INSC_IiEEEEPS5_SI_SI_NS9_4lessIiEEEE10hipError_tPvRmT0_T1_T2_T3_T4_T5_mmT6_P12ihipStream_tbEUlT_E_NS1_11comp_targetILNS1_3genE10ELNS1_11target_archE1201ELNS1_3gpuE5ELNS1_3repE0EEENS1_30default_config_static_selectorELNS0_4arch9wavefront6targetE1EEEvSP_
	.globl	_ZN7rocprim17ROCPRIM_400000_NS6detail17trampoline_kernelINS0_14default_configENS1_21merge_config_selectorIiNS0_10empty_typeEEEZNS1_10merge_implIS3_N6thrust23THRUST_200600_302600_NS6detail15normal_iteratorINS9_10device_ptrIKiEEEESF_NSB_INSC_IiEEEEPS5_SI_SI_NS9_4lessIiEEEE10hipError_tPvRmT0_T1_T2_T3_T4_T5_mmT6_P12ihipStream_tbEUlT_E_NS1_11comp_targetILNS1_3genE10ELNS1_11target_archE1201ELNS1_3gpuE5ELNS1_3repE0EEENS1_30default_config_static_selectorELNS0_4arch9wavefront6targetE1EEEvSP_
	.p2align	8
	.type	_ZN7rocprim17ROCPRIM_400000_NS6detail17trampoline_kernelINS0_14default_configENS1_21merge_config_selectorIiNS0_10empty_typeEEEZNS1_10merge_implIS3_N6thrust23THRUST_200600_302600_NS6detail15normal_iteratorINS9_10device_ptrIKiEEEESF_NSB_INSC_IiEEEEPS5_SI_SI_NS9_4lessIiEEEE10hipError_tPvRmT0_T1_T2_T3_T4_T5_mmT6_P12ihipStream_tbEUlT_E_NS1_11comp_targetILNS1_3genE10ELNS1_11target_archE1201ELNS1_3gpuE5ELNS1_3repE0EEENS1_30default_config_static_selectorELNS0_4arch9wavefront6targetE1EEEvSP_,@function
_ZN7rocprim17ROCPRIM_400000_NS6detail17trampoline_kernelINS0_14default_configENS1_21merge_config_selectorIiNS0_10empty_typeEEEZNS1_10merge_implIS3_N6thrust23THRUST_200600_302600_NS6detail15normal_iteratorINS9_10device_ptrIKiEEEESF_NSB_INSC_IiEEEEPS5_SI_SI_NS9_4lessIiEEEE10hipError_tPvRmT0_T1_T2_T3_T4_T5_mmT6_P12ihipStream_tbEUlT_E_NS1_11comp_targetILNS1_3genE10ELNS1_11target_archE1201ELNS1_3gpuE5ELNS1_3repE0EEENS1_30default_config_static_selectorELNS0_4arch9wavefront6targetE1EEEvSP_: ; @_ZN7rocprim17ROCPRIM_400000_NS6detail17trampoline_kernelINS0_14default_configENS1_21merge_config_selectorIiNS0_10empty_typeEEEZNS1_10merge_implIS3_N6thrust23THRUST_200600_302600_NS6detail15normal_iteratorINS9_10device_ptrIKiEEEESF_NSB_INSC_IiEEEEPS5_SI_SI_NS9_4lessIiEEEE10hipError_tPvRmT0_T1_T2_T3_T4_T5_mmT6_P12ihipStream_tbEUlT_E_NS1_11comp_targetILNS1_3genE10ELNS1_11target_archE1201ELNS1_3gpuE5ELNS1_3repE0EEENS1_30default_config_static_selectorELNS0_4arch9wavefront6targetE1EEEvSP_
; %bb.0:
	.section	.rodata,"a",@progbits
	.p2align	6, 0x0
	.amdhsa_kernel _ZN7rocprim17ROCPRIM_400000_NS6detail17trampoline_kernelINS0_14default_configENS1_21merge_config_selectorIiNS0_10empty_typeEEEZNS1_10merge_implIS3_N6thrust23THRUST_200600_302600_NS6detail15normal_iteratorINS9_10device_ptrIKiEEEESF_NSB_INSC_IiEEEEPS5_SI_SI_NS9_4lessIiEEEE10hipError_tPvRmT0_T1_T2_T3_T4_T5_mmT6_P12ihipStream_tbEUlT_E_NS1_11comp_targetILNS1_3genE10ELNS1_11target_archE1201ELNS1_3gpuE5ELNS1_3repE0EEENS1_30default_config_static_selectorELNS0_4arch9wavefront6targetE1EEEvSP_
		.amdhsa_group_segment_fixed_size 0
		.amdhsa_private_segment_fixed_size 0
		.amdhsa_kernarg_size 48
		.amdhsa_user_sgpr_count 6
		.amdhsa_user_sgpr_private_segment_buffer 1
		.amdhsa_user_sgpr_dispatch_ptr 0
		.amdhsa_user_sgpr_queue_ptr 0
		.amdhsa_user_sgpr_kernarg_segment_ptr 1
		.amdhsa_user_sgpr_dispatch_id 0
		.amdhsa_user_sgpr_flat_scratch_init 0
		.amdhsa_user_sgpr_kernarg_preload_length 0
		.amdhsa_user_sgpr_kernarg_preload_offset 0
		.amdhsa_user_sgpr_private_segment_size 0
		.amdhsa_uses_dynamic_stack 0
		.amdhsa_system_sgpr_private_segment_wavefront_offset 0
		.amdhsa_system_sgpr_workgroup_id_x 1
		.amdhsa_system_sgpr_workgroup_id_y 0
		.amdhsa_system_sgpr_workgroup_id_z 0
		.amdhsa_system_sgpr_workgroup_info 0
		.amdhsa_system_vgpr_workitem_id 0
		.amdhsa_next_free_vgpr 1
		.amdhsa_next_free_sgpr 0
		.amdhsa_accum_offset 4
		.amdhsa_reserve_vcc 0
		.amdhsa_reserve_flat_scratch 0
		.amdhsa_float_round_mode_32 0
		.amdhsa_float_round_mode_16_64 0
		.amdhsa_float_denorm_mode_32 3
		.amdhsa_float_denorm_mode_16_64 3
		.amdhsa_dx10_clamp 1
		.amdhsa_ieee_mode 1
		.amdhsa_fp16_overflow 0
		.amdhsa_tg_split 0
		.amdhsa_exception_fp_ieee_invalid_op 0
		.amdhsa_exception_fp_denorm_src 0
		.amdhsa_exception_fp_ieee_div_zero 0
		.amdhsa_exception_fp_ieee_overflow 0
		.amdhsa_exception_fp_ieee_underflow 0
		.amdhsa_exception_fp_ieee_inexact 0
		.amdhsa_exception_int_div_zero 0
	.end_amdhsa_kernel
	.section	.text._ZN7rocprim17ROCPRIM_400000_NS6detail17trampoline_kernelINS0_14default_configENS1_21merge_config_selectorIiNS0_10empty_typeEEEZNS1_10merge_implIS3_N6thrust23THRUST_200600_302600_NS6detail15normal_iteratorINS9_10device_ptrIKiEEEESF_NSB_INSC_IiEEEEPS5_SI_SI_NS9_4lessIiEEEE10hipError_tPvRmT0_T1_T2_T3_T4_T5_mmT6_P12ihipStream_tbEUlT_E_NS1_11comp_targetILNS1_3genE10ELNS1_11target_archE1201ELNS1_3gpuE5ELNS1_3repE0EEENS1_30default_config_static_selectorELNS0_4arch9wavefront6targetE1EEEvSP_,"axG",@progbits,_ZN7rocprim17ROCPRIM_400000_NS6detail17trampoline_kernelINS0_14default_configENS1_21merge_config_selectorIiNS0_10empty_typeEEEZNS1_10merge_implIS3_N6thrust23THRUST_200600_302600_NS6detail15normal_iteratorINS9_10device_ptrIKiEEEESF_NSB_INSC_IiEEEEPS5_SI_SI_NS9_4lessIiEEEE10hipError_tPvRmT0_T1_T2_T3_T4_T5_mmT6_P12ihipStream_tbEUlT_E_NS1_11comp_targetILNS1_3genE10ELNS1_11target_archE1201ELNS1_3gpuE5ELNS1_3repE0EEENS1_30default_config_static_selectorELNS0_4arch9wavefront6targetE1EEEvSP_,comdat
.Lfunc_end248:
	.size	_ZN7rocprim17ROCPRIM_400000_NS6detail17trampoline_kernelINS0_14default_configENS1_21merge_config_selectorIiNS0_10empty_typeEEEZNS1_10merge_implIS3_N6thrust23THRUST_200600_302600_NS6detail15normal_iteratorINS9_10device_ptrIKiEEEESF_NSB_INSC_IiEEEEPS5_SI_SI_NS9_4lessIiEEEE10hipError_tPvRmT0_T1_T2_T3_T4_T5_mmT6_P12ihipStream_tbEUlT_E_NS1_11comp_targetILNS1_3genE10ELNS1_11target_archE1201ELNS1_3gpuE5ELNS1_3repE0EEENS1_30default_config_static_selectorELNS0_4arch9wavefront6targetE1EEEvSP_, .Lfunc_end248-_ZN7rocprim17ROCPRIM_400000_NS6detail17trampoline_kernelINS0_14default_configENS1_21merge_config_selectorIiNS0_10empty_typeEEEZNS1_10merge_implIS3_N6thrust23THRUST_200600_302600_NS6detail15normal_iteratorINS9_10device_ptrIKiEEEESF_NSB_INSC_IiEEEEPS5_SI_SI_NS9_4lessIiEEEE10hipError_tPvRmT0_T1_T2_T3_T4_T5_mmT6_P12ihipStream_tbEUlT_E_NS1_11comp_targetILNS1_3genE10ELNS1_11target_archE1201ELNS1_3gpuE5ELNS1_3repE0EEENS1_30default_config_static_selectorELNS0_4arch9wavefront6targetE1EEEvSP_
                                        ; -- End function
	.section	.AMDGPU.csdata,"",@progbits
; Kernel info:
; codeLenInByte = 0
; NumSgprs: 4
; NumVgprs: 0
; NumAgprs: 0
; TotalNumVgprs: 0
; ScratchSize: 0
; MemoryBound: 0
; FloatMode: 240
; IeeeMode: 1
; LDSByteSize: 0 bytes/workgroup (compile time only)
; SGPRBlocks: 0
; VGPRBlocks: 0
; NumSGPRsForWavesPerEU: 4
; NumVGPRsForWavesPerEU: 1
; AccumOffset: 4
; Occupancy: 8
; WaveLimiterHint : 0
; COMPUTE_PGM_RSRC2:SCRATCH_EN: 0
; COMPUTE_PGM_RSRC2:USER_SGPR: 6
; COMPUTE_PGM_RSRC2:TRAP_HANDLER: 0
; COMPUTE_PGM_RSRC2:TGID_X_EN: 1
; COMPUTE_PGM_RSRC2:TGID_Y_EN: 0
; COMPUTE_PGM_RSRC2:TGID_Z_EN: 0
; COMPUTE_PGM_RSRC2:TIDIG_COMP_CNT: 0
; COMPUTE_PGM_RSRC3_GFX90A:ACCUM_OFFSET: 0
; COMPUTE_PGM_RSRC3_GFX90A:TG_SPLIT: 0
	.section	.text._ZN7rocprim17ROCPRIM_400000_NS6detail17trampoline_kernelINS0_14default_configENS1_21merge_config_selectorIiNS0_10empty_typeEEEZNS1_10merge_implIS3_N6thrust23THRUST_200600_302600_NS6detail15normal_iteratorINS9_10device_ptrIKiEEEESF_NSB_INSC_IiEEEEPS5_SI_SI_NS9_4lessIiEEEE10hipError_tPvRmT0_T1_T2_T3_T4_T5_mmT6_P12ihipStream_tbEUlT_E_NS1_11comp_targetILNS1_3genE10ELNS1_11target_archE1200ELNS1_3gpuE4ELNS1_3repE0EEENS1_30default_config_static_selectorELNS0_4arch9wavefront6targetE1EEEvSP_,"axG",@progbits,_ZN7rocprim17ROCPRIM_400000_NS6detail17trampoline_kernelINS0_14default_configENS1_21merge_config_selectorIiNS0_10empty_typeEEEZNS1_10merge_implIS3_N6thrust23THRUST_200600_302600_NS6detail15normal_iteratorINS9_10device_ptrIKiEEEESF_NSB_INSC_IiEEEEPS5_SI_SI_NS9_4lessIiEEEE10hipError_tPvRmT0_T1_T2_T3_T4_T5_mmT6_P12ihipStream_tbEUlT_E_NS1_11comp_targetILNS1_3genE10ELNS1_11target_archE1200ELNS1_3gpuE4ELNS1_3repE0EEENS1_30default_config_static_selectorELNS0_4arch9wavefront6targetE1EEEvSP_,comdat
	.protected	_ZN7rocprim17ROCPRIM_400000_NS6detail17trampoline_kernelINS0_14default_configENS1_21merge_config_selectorIiNS0_10empty_typeEEEZNS1_10merge_implIS3_N6thrust23THRUST_200600_302600_NS6detail15normal_iteratorINS9_10device_ptrIKiEEEESF_NSB_INSC_IiEEEEPS5_SI_SI_NS9_4lessIiEEEE10hipError_tPvRmT0_T1_T2_T3_T4_T5_mmT6_P12ihipStream_tbEUlT_E_NS1_11comp_targetILNS1_3genE10ELNS1_11target_archE1200ELNS1_3gpuE4ELNS1_3repE0EEENS1_30default_config_static_selectorELNS0_4arch9wavefront6targetE1EEEvSP_ ; -- Begin function _ZN7rocprim17ROCPRIM_400000_NS6detail17trampoline_kernelINS0_14default_configENS1_21merge_config_selectorIiNS0_10empty_typeEEEZNS1_10merge_implIS3_N6thrust23THRUST_200600_302600_NS6detail15normal_iteratorINS9_10device_ptrIKiEEEESF_NSB_INSC_IiEEEEPS5_SI_SI_NS9_4lessIiEEEE10hipError_tPvRmT0_T1_T2_T3_T4_T5_mmT6_P12ihipStream_tbEUlT_E_NS1_11comp_targetILNS1_3genE10ELNS1_11target_archE1200ELNS1_3gpuE4ELNS1_3repE0EEENS1_30default_config_static_selectorELNS0_4arch9wavefront6targetE1EEEvSP_
	.globl	_ZN7rocprim17ROCPRIM_400000_NS6detail17trampoline_kernelINS0_14default_configENS1_21merge_config_selectorIiNS0_10empty_typeEEEZNS1_10merge_implIS3_N6thrust23THRUST_200600_302600_NS6detail15normal_iteratorINS9_10device_ptrIKiEEEESF_NSB_INSC_IiEEEEPS5_SI_SI_NS9_4lessIiEEEE10hipError_tPvRmT0_T1_T2_T3_T4_T5_mmT6_P12ihipStream_tbEUlT_E_NS1_11comp_targetILNS1_3genE10ELNS1_11target_archE1200ELNS1_3gpuE4ELNS1_3repE0EEENS1_30default_config_static_selectorELNS0_4arch9wavefront6targetE1EEEvSP_
	.p2align	8
	.type	_ZN7rocprim17ROCPRIM_400000_NS6detail17trampoline_kernelINS0_14default_configENS1_21merge_config_selectorIiNS0_10empty_typeEEEZNS1_10merge_implIS3_N6thrust23THRUST_200600_302600_NS6detail15normal_iteratorINS9_10device_ptrIKiEEEESF_NSB_INSC_IiEEEEPS5_SI_SI_NS9_4lessIiEEEE10hipError_tPvRmT0_T1_T2_T3_T4_T5_mmT6_P12ihipStream_tbEUlT_E_NS1_11comp_targetILNS1_3genE10ELNS1_11target_archE1200ELNS1_3gpuE4ELNS1_3repE0EEENS1_30default_config_static_selectorELNS0_4arch9wavefront6targetE1EEEvSP_,@function
_ZN7rocprim17ROCPRIM_400000_NS6detail17trampoline_kernelINS0_14default_configENS1_21merge_config_selectorIiNS0_10empty_typeEEEZNS1_10merge_implIS3_N6thrust23THRUST_200600_302600_NS6detail15normal_iteratorINS9_10device_ptrIKiEEEESF_NSB_INSC_IiEEEEPS5_SI_SI_NS9_4lessIiEEEE10hipError_tPvRmT0_T1_T2_T3_T4_T5_mmT6_P12ihipStream_tbEUlT_E_NS1_11comp_targetILNS1_3genE10ELNS1_11target_archE1200ELNS1_3gpuE4ELNS1_3repE0EEENS1_30default_config_static_selectorELNS0_4arch9wavefront6targetE1EEEvSP_: ; @_ZN7rocprim17ROCPRIM_400000_NS6detail17trampoline_kernelINS0_14default_configENS1_21merge_config_selectorIiNS0_10empty_typeEEEZNS1_10merge_implIS3_N6thrust23THRUST_200600_302600_NS6detail15normal_iteratorINS9_10device_ptrIKiEEEESF_NSB_INSC_IiEEEEPS5_SI_SI_NS9_4lessIiEEEE10hipError_tPvRmT0_T1_T2_T3_T4_T5_mmT6_P12ihipStream_tbEUlT_E_NS1_11comp_targetILNS1_3genE10ELNS1_11target_archE1200ELNS1_3gpuE4ELNS1_3repE0EEENS1_30default_config_static_selectorELNS0_4arch9wavefront6targetE1EEEvSP_
; %bb.0:
	.section	.rodata,"a",@progbits
	.p2align	6, 0x0
	.amdhsa_kernel _ZN7rocprim17ROCPRIM_400000_NS6detail17trampoline_kernelINS0_14default_configENS1_21merge_config_selectorIiNS0_10empty_typeEEEZNS1_10merge_implIS3_N6thrust23THRUST_200600_302600_NS6detail15normal_iteratorINS9_10device_ptrIKiEEEESF_NSB_INSC_IiEEEEPS5_SI_SI_NS9_4lessIiEEEE10hipError_tPvRmT0_T1_T2_T3_T4_T5_mmT6_P12ihipStream_tbEUlT_E_NS1_11comp_targetILNS1_3genE10ELNS1_11target_archE1200ELNS1_3gpuE4ELNS1_3repE0EEENS1_30default_config_static_selectorELNS0_4arch9wavefront6targetE1EEEvSP_
		.amdhsa_group_segment_fixed_size 0
		.amdhsa_private_segment_fixed_size 0
		.amdhsa_kernarg_size 48
		.amdhsa_user_sgpr_count 6
		.amdhsa_user_sgpr_private_segment_buffer 1
		.amdhsa_user_sgpr_dispatch_ptr 0
		.amdhsa_user_sgpr_queue_ptr 0
		.amdhsa_user_sgpr_kernarg_segment_ptr 1
		.amdhsa_user_sgpr_dispatch_id 0
		.amdhsa_user_sgpr_flat_scratch_init 0
		.amdhsa_user_sgpr_kernarg_preload_length 0
		.amdhsa_user_sgpr_kernarg_preload_offset 0
		.amdhsa_user_sgpr_private_segment_size 0
		.amdhsa_uses_dynamic_stack 0
		.amdhsa_system_sgpr_private_segment_wavefront_offset 0
		.amdhsa_system_sgpr_workgroup_id_x 1
		.amdhsa_system_sgpr_workgroup_id_y 0
		.amdhsa_system_sgpr_workgroup_id_z 0
		.amdhsa_system_sgpr_workgroup_info 0
		.amdhsa_system_vgpr_workitem_id 0
		.amdhsa_next_free_vgpr 1
		.amdhsa_next_free_sgpr 0
		.amdhsa_accum_offset 4
		.amdhsa_reserve_vcc 0
		.amdhsa_reserve_flat_scratch 0
		.amdhsa_float_round_mode_32 0
		.amdhsa_float_round_mode_16_64 0
		.amdhsa_float_denorm_mode_32 3
		.amdhsa_float_denorm_mode_16_64 3
		.amdhsa_dx10_clamp 1
		.amdhsa_ieee_mode 1
		.amdhsa_fp16_overflow 0
		.amdhsa_tg_split 0
		.amdhsa_exception_fp_ieee_invalid_op 0
		.amdhsa_exception_fp_denorm_src 0
		.amdhsa_exception_fp_ieee_div_zero 0
		.amdhsa_exception_fp_ieee_overflow 0
		.amdhsa_exception_fp_ieee_underflow 0
		.amdhsa_exception_fp_ieee_inexact 0
		.amdhsa_exception_int_div_zero 0
	.end_amdhsa_kernel
	.section	.text._ZN7rocprim17ROCPRIM_400000_NS6detail17trampoline_kernelINS0_14default_configENS1_21merge_config_selectorIiNS0_10empty_typeEEEZNS1_10merge_implIS3_N6thrust23THRUST_200600_302600_NS6detail15normal_iteratorINS9_10device_ptrIKiEEEESF_NSB_INSC_IiEEEEPS5_SI_SI_NS9_4lessIiEEEE10hipError_tPvRmT0_T1_T2_T3_T4_T5_mmT6_P12ihipStream_tbEUlT_E_NS1_11comp_targetILNS1_3genE10ELNS1_11target_archE1200ELNS1_3gpuE4ELNS1_3repE0EEENS1_30default_config_static_selectorELNS0_4arch9wavefront6targetE1EEEvSP_,"axG",@progbits,_ZN7rocprim17ROCPRIM_400000_NS6detail17trampoline_kernelINS0_14default_configENS1_21merge_config_selectorIiNS0_10empty_typeEEEZNS1_10merge_implIS3_N6thrust23THRUST_200600_302600_NS6detail15normal_iteratorINS9_10device_ptrIKiEEEESF_NSB_INSC_IiEEEEPS5_SI_SI_NS9_4lessIiEEEE10hipError_tPvRmT0_T1_T2_T3_T4_T5_mmT6_P12ihipStream_tbEUlT_E_NS1_11comp_targetILNS1_3genE10ELNS1_11target_archE1200ELNS1_3gpuE4ELNS1_3repE0EEENS1_30default_config_static_selectorELNS0_4arch9wavefront6targetE1EEEvSP_,comdat
.Lfunc_end249:
	.size	_ZN7rocprim17ROCPRIM_400000_NS6detail17trampoline_kernelINS0_14default_configENS1_21merge_config_selectorIiNS0_10empty_typeEEEZNS1_10merge_implIS3_N6thrust23THRUST_200600_302600_NS6detail15normal_iteratorINS9_10device_ptrIKiEEEESF_NSB_INSC_IiEEEEPS5_SI_SI_NS9_4lessIiEEEE10hipError_tPvRmT0_T1_T2_T3_T4_T5_mmT6_P12ihipStream_tbEUlT_E_NS1_11comp_targetILNS1_3genE10ELNS1_11target_archE1200ELNS1_3gpuE4ELNS1_3repE0EEENS1_30default_config_static_selectorELNS0_4arch9wavefront6targetE1EEEvSP_, .Lfunc_end249-_ZN7rocprim17ROCPRIM_400000_NS6detail17trampoline_kernelINS0_14default_configENS1_21merge_config_selectorIiNS0_10empty_typeEEEZNS1_10merge_implIS3_N6thrust23THRUST_200600_302600_NS6detail15normal_iteratorINS9_10device_ptrIKiEEEESF_NSB_INSC_IiEEEEPS5_SI_SI_NS9_4lessIiEEEE10hipError_tPvRmT0_T1_T2_T3_T4_T5_mmT6_P12ihipStream_tbEUlT_E_NS1_11comp_targetILNS1_3genE10ELNS1_11target_archE1200ELNS1_3gpuE4ELNS1_3repE0EEENS1_30default_config_static_selectorELNS0_4arch9wavefront6targetE1EEEvSP_
                                        ; -- End function
	.section	.AMDGPU.csdata,"",@progbits
; Kernel info:
; codeLenInByte = 0
; NumSgprs: 4
; NumVgprs: 0
; NumAgprs: 0
; TotalNumVgprs: 0
; ScratchSize: 0
; MemoryBound: 0
; FloatMode: 240
; IeeeMode: 1
; LDSByteSize: 0 bytes/workgroup (compile time only)
; SGPRBlocks: 0
; VGPRBlocks: 0
; NumSGPRsForWavesPerEU: 4
; NumVGPRsForWavesPerEU: 1
; AccumOffset: 4
; Occupancy: 8
; WaveLimiterHint : 0
; COMPUTE_PGM_RSRC2:SCRATCH_EN: 0
; COMPUTE_PGM_RSRC2:USER_SGPR: 6
; COMPUTE_PGM_RSRC2:TRAP_HANDLER: 0
; COMPUTE_PGM_RSRC2:TGID_X_EN: 1
; COMPUTE_PGM_RSRC2:TGID_Y_EN: 0
; COMPUTE_PGM_RSRC2:TGID_Z_EN: 0
; COMPUTE_PGM_RSRC2:TIDIG_COMP_CNT: 0
; COMPUTE_PGM_RSRC3_GFX90A:ACCUM_OFFSET: 0
; COMPUTE_PGM_RSRC3_GFX90A:TG_SPLIT: 0
	.section	.text._ZN7rocprim17ROCPRIM_400000_NS6detail17trampoline_kernelINS0_14default_configENS1_21merge_config_selectorIiNS0_10empty_typeEEEZNS1_10merge_implIS3_N6thrust23THRUST_200600_302600_NS6detail15normal_iteratorINS9_10device_ptrIKiEEEESF_NSB_INSC_IiEEEEPS5_SI_SI_NS9_4lessIiEEEE10hipError_tPvRmT0_T1_T2_T3_T4_T5_mmT6_P12ihipStream_tbEUlT_E_NS1_11comp_targetILNS1_3genE9ELNS1_11target_archE1100ELNS1_3gpuE3ELNS1_3repE0EEENS1_30default_config_static_selectorELNS0_4arch9wavefront6targetE1EEEvSP_,"axG",@progbits,_ZN7rocprim17ROCPRIM_400000_NS6detail17trampoline_kernelINS0_14default_configENS1_21merge_config_selectorIiNS0_10empty_typeEEEZNS1_10merge_implIS3_N6thrust23THRUST_200600_302600_NS6detail15normal_iteratorINS9_10device_ptrIKiEEEESF_NSB_INSC_IiEEEEPS5_SI_SI_NS9_4lessIiEEEE10hipError_tPvRmT0_T1_T2_T3_T4_T5_mmT6_P12ihipStream_tbEUlT_E_NS1_11comp_targetILNS1_3genE9ELNS1_11target_archE1100ELNS1_3gpuE3ELNS1_3repE0EEENS1_30default_config_static_selectorELNS0_4arch9wavefront6targetE1EEEvSP_,comdat
	.protected	_ZN7rocprim17ROCPRIM_400000_NS6detail17trampoline_kernelINS0_14default_configENS1_21merge_config_selectorIiNS0_10empty_typeEEEZNS1_10merge_implIS3_N6thrust23THRUST_200600_302600_NS6detail15normal_iteratorINS9_10device_ptrIKiEEEESF_NSB_INSC_IiEEEEPS5_SI_SI_NS9_4lessIiEEEE10hipError_tPvRmT0_T1_T2_T3_T4_T5_mmT6_P12ihipStream_tbEUlT_E_NS1_11comp_targetILNS1_3genE9ELNS1_11target_archE1100ELNS1_3gpuE3ELNS1_3repE0EEENS1_30default_config_static_selectorELNS0_4arch9wavefront6targetE1EEEvSP_ ; -- Begin function _ZN7rocprim17ROCPRIM_400000_NS6detail17trampoline_kernelINS0_14default_configENS1_21merge_config_selectorIiNS0_10empty_typeEEEZNS1_10merge_implIS3_N6thrust23THRUST_200600_302600_NS6detail15normal_iteratorINS9_10device_ptrIKiEEEESF_NSB_INSC_IiEEEEPS5_SI_SI_NS9_4lessIiEEEE10hipError_tPvRmT0_T1_T2_T3_T4_T5_mmT6_P12ihipStream_tbEUlT_E_NS1_11comp_targetILNS1_3genE9ELNS1_11target_archE1100ELNS1_3gpuE3ELNS1_3repE0EEENS1_30default_config_static_selectorELNS0_4arch9wavefront6targetE1EEEvSP_
	.globl	_ZN7rocprim17ROCPRIM_400000_NS6detail17trampoline_kernelINS0_14default_configENS1_21merge_config_selectorIiNS0_10empty_typeEEEZNS1_10merge_implIS3_N6thrust23THRUST_200600_302600_NS6detail15normal_iteratorINS9_10device_ptrIKiEEEESF_NSB_INSC_IiEEEEPS5_SI_SI_NS9_4lessIiEEEE10hipError_tPvRmT0_T1_T2_T3_T4_T5_mmT6_P12ihipStream_tbEUlT_E_NS1_11comp_targetILNS1_3genE9ELNS1_11target_archE1100ELNS1_3gpuE3ELNS1_3repE0EEENS1_30default_config_static_selectorELNS0_4arch9wavefront6targetE1EEEvSP_
	.p2align	8
	.type	_ZN7rocprim17ROCPRIM_400000_NS6detail17trampoline_kernelINS0_14default_configENS1_21merge_config_selectorIiNS0_10empty_typeEEEZNS1_10merge_implIS3_N6thrust23THRUST_200600_302600_NS6detail15normal_iteratorINS9_10device_ptrIKiEEEESF_NSB_INSC_IiEEEEPS5_SI_SI_NS9_4lessIiEEEE10hipError_tPvRmT0_T1_T2_T3_T4_T5_mmT6_P12ihipStream_tbEUlT_E_NS1_11comp_targetILNS1_3genE9ELNS1_11target_archE1100ELNS1_3gpuE3ELNS1_3repE0EEENS1_30default_config_static_selectorELNS0_4arch9wavefront6targetE1EEEvSP_,@function
_ZN7rocprim17ROCPRIM_400000_NS6detail17trampoline_kernelINS0_14default_configENS1_21merge_config_selectorIiNS0_10empty_typeEEEZNS1_10merge_implIS3_N6thrust23THRUST_200600_302600_NS6detail15normal_iteratorINS9_10device_ptrIKiEEEESF_NSB_INSC_IiEEEEPS5_SI_SI_NS9_4lessIiEEEE10hipError_tPvRmT0_T1_T2_T3_T4_T5_mmT6_P12ihipStream_tbEUlT_E_NS1_11comp_targetILNS1_3genE9ELNS1_11target_archE1100ELNS1_3gpuE3ELNS1_3repE0EEENS1_30default_config_static_selectorELNS0_4arch9wavefront6targetE1EEEvSP_: ; @_ZN7rocprim17ROCPRIM_400000_NS6detail17trampoline_kernelINS0_14default_configENS1_21merge_config_selectorIiNS0_10empty_typeEEEZNS1_10merge_implIS3_N6thrust23THRUST_200600_302600_NS6detail15normal_iteratorINS9_10device_ptrIKiEEEESF_NSB_INSC_IiEEEEPS5_SI_SI_NS9_4lessIiEEEE10hipError_tPvRmT0_T1_T2_T3_T4_T5_mmT6_P12ihipStream_tbEUlT_E_NS1_11comp_targetILNS1_3genE9ELNS1_11target_archE1100ELNS1_3gpuE3ELNS1_3repE0EEENS1_30default_config_static_selectorELNS0_4arch9wavefront6targetE1EEEvSP_
; %bb.0:
	.section	.rodata,"a",@progbits
	.p2align	6, 0x0
	.amdhsa_kernel _ZN7rocprim17ROCPRIM_400000_NS6detail17trampoline_kernelINS0_14default_configENS1_21merge_config_selectorIiNS0_10empty_typeEEEZNS1_10merge_implIS3_N6thrust23THRUST_200600_302600_NS6detail15normal_iteratorINS9_10device_ptrIKiEEEESF_NSB_INSC_IiEEEEPS5_SI_SI_NS9_4lessIiEEEE10hipError_tPvRmT0_T1_T2_T3_T4_T5_mmT6_P12ihipStream_tbEUlT_E_NS1_11comp_targetILNS1_3genE9ELNS1_11target_archE1100ELNS1_3gpuE3ELNS1_3repE0EEENS1_30default_config_static_selectorELNS0_4arch9wavefront6targetE1EEEvSP_
		.amdhsa_group_segment_fixed_size 0
		.amdhsa_private_segment_fixed_size 0
		.amdhsa_kernarg_size 48
		.amdhsa_user_sgpr_count 6
		.amdhsa_user_sgpr_private_segment_buffer 1
		.amdhsa_user_sgpr_dispatch_ptr 0
		.amdhsa_user_sgpr_queue_ptr 0
		.amdhsa_user_sgpr_kernarg_segment_ptr 1
		.amdhsa_user_sgpr_dispatch_id 0
		.amdhsa_user_sgpr_flat_scratch_init 0
		.amdhsa_user_sgpr_kernarg_preload_length 0
		.amdhsa_user_sgpr_kernarg_preload_offset 0
		.amdhsa_user_sgpr_private_segment_size 0
		.amdhsa_uses_dynamic_stack 0
		.amdhsa_system_sgpr_private_segment_wavefront_offset 0
		.amdhsa_system_sgpr_workgroup_id_x 1
		.amdhsa_system_sgpr_workgroup_id_y 0
		.amdhsa_system_sgpr_workgroup_id_z 0
		.amdhsa_system_sgpr_workgroup_info 0
		.amdhsa_system_vgpr_workitem_id 0
		.amdhsa_next_free_vgpr 1
		.amdhsa_next_free_sgpr 0
		.amdhsa_accum_offset 4
		.amdhsa_reserve_vcc 0
		.amdhsa_reserve_flat_scratch 0
		.amdhsa_float_round_mode_32 0
		.amdhsa_float_round_mode_16_64 0
		.amdhsa_float_denorm_mode_32 3
		.amdhsa_float_denorm_mode_16_64 3
		.amdhsa_dx10_clamp 1
		.amdhsa_ieee_mode 1
		.amdhsa_fp16_overflow 0
		.amdhsa_tg_split 0
		.amdhsa_exception_fp_ieee_invalid_op 0
		.amdhsa_exception_fp_denorm_src 0
		.amdhsa_exception_fp_ieee_div_zero 0
		.amdhsa_exception_fp_ieee_overflow 0
		.amdhsa_exception_fp_ieee_underflow 0
		.amdhsa_exception_fp_ieee_inexact 0
		.amdhsa_exception_int_div_zero 0
	.end_amdhsa_kernel
	.section	.text._ZN7rocprim17ROCPRIM_400000_NS6detail17trampoline_kernelINS0_14default_configENS1_21merge_config_selectorIiNS0_10empty_typeEEEZNS1_10merge_implIS3_N6thrust23THRUST_200600_302600_NS6detail15normal_iteratorINS9_10device_ptrIKiEEEESF_NSB_INSC_IiEEEEPS5_SI_SI_NS9_4lessIiEEEE10hipError_tPvRmT0_T1_T2_T3_T4_T5_mmT6_P12ihipStream_tbEUlT_E_NS1_11comp_targetILNS1_3genE9ELNS1_11target_archE1100ELNS1_3gpuE3ELNS1_3repE0EEENS1_30default_config_static_selectorELNS0_4arch9wavefront6targetE1EEEvSP_,"axG",@progbits,_ZN7rocprim17ROCPRIM_400000_NS6detail17trampoline_kernelINS0_14default_configENS1_21merge_config_selectorIiNS0_10empty_typeEEEZNS1_10merge_implIS3_N6thrust23THRUST_200600_302600_NS6detail15normal_iteratorINS9_10device_ptrIKiEEEESF_NSB_INSC_IiEEEEPS5_SI_SI_NS9_4lessIiEEEE10hipError_tPvRmT0_T1_T2_T3_T4_T5_mmT6_P12ihipStream_tbEUlT_E_NS1_11comp_targetILNS1_3genE9ELNS1_11target_archE1100ELNS1_3gpuE3ELNS1_3repE0EEENS1_30default_config_static_selectorELNS0_4arch9wavefront6targetE1EEEvSP_,comdat
.Lfunc_end250:
	.size	_ZN7rocprim17ROCPRIM_400000_NS6detail17trampoline_kernelINS0_14default_configENS1_21merge_config_selectorIiNS0_10empty_typeEEEZNS1_10merge_implIS3_N6thrust23THRUST_200600_302600_NS6detail15normal_iteratorINS9_10device_ptrIKiEEEESF_NSB_INSC_IiEEEEPS5_SI_SI_NS9_4lessIiEEEE10hipError_tPvRmT0_T1_T2_T3_T4_T5_mmT6_P12ihipStream_tbEUlT_E_NS1_11comp_targetILNS1_3genE9ELNS1_11target_archE1100ELNS1_3gpuE3ELNS1_3repE0EEENS1_30default_config_static_selectorELNS0_4arch9wavefront6targetE1EEEvSP_, .Lfunc_end250-_ZN7rocprim17ROCPRIM_400000_NS6detail17trampoline_kernelINS0_14default_configENS1_21merge_config_selectorIiNS0_10empty_typeEEEZNS1_10merge_implIS3_N6thrust23THRUST_200600_302600_NS6detail15normal_iteratorINS9_10device_ptrIKiEEEESF_NSB_INSC_IiEEEEPS5_SI_SI_NS9_4lessIiEEEE10hipError_tPvRmT0_T1_T2_T3_T4_T5_mmT6_P12ihipStream_tbEUlT_E_NS1_11comp_targetILNS1_3genE9ELNS1_11target_archE1100ELNS1_3gpuE3ELNS1_3repE0EEENS1_30default_config_static_selectorELNS0_4arch9wavefront6targetE1EEEvSP_
                                        ; -- End function
	.section	.AMDGPU.csdata,"",@progbits
; Kernel info:
; codeLenInByte = 0
; NumSgprs: 4
; NumVgprs: 0
; NumAgprs: 0
; TotalNumVgprs: 0
; ScratchSize: 0
; MemoryBound: 0
; FloatMode: 240
; IeeeMode: 1
; LDSByteSize: 0 bytes/workgroup (compile time only)
; SGPRBlocks: 0
; VGPRBlocks: 0
; NumSGPRsForWavesPerEU: 4
; NumVGPRsForWavesPerEU: 1
; AccumOffset: 4
; Occupancy: 8
; WaveLimiterHint : 0
; COMPUTE_PGM_RSRC2:SCRATCH_EN: 0
; COMPUTE_PGM_RSRC2:USER_SGPR: 6
; COMPUTE_PGM_RSRC2:TRAP_HANDLER: 0
; COMPUTE_PGM_RSRC2:TGID_X_EN: 1
; COMPUTE_PGM_RSRC2:TGID_Y_EN: 0
; COMPUTE_PGM_RSRC2:TGID_Z_EN: 0
; COMPUTE_PGM_RSRC2:TIDIG_COMP_CNT: 0
; COMPUTE_PGM_RSRC3_GFX90A:ACCUM_OFFSET: 0
; COMPUTE_PGM_RSRC3_GFX90A:TG_SPLIT: 0
	.section	.text._ZN7rocprim17ROCPRIM_400000_NS6detail17trampoline_kernelINS0_14default_configENS1_21merge_config_selectorIiNS0_10empty_typeEEEZNS1_10merge_implIS3_N6thrust23THRUST_200600_302600_NS6detail15normal_iteratorINS9_10device_ptrIKiEEEESF_NSB_INSC_IiEEEEPS5_SI_SI_NS9_4lessIiEEEE10hipError_tPvRmT0_T1_T2_T3_T4_T5_mmT6_P12ihipStream_tbEUlT_E_NS1_11comp_targetILNS1_3genE8ELNS1_11target_archE1030ELNS1_3gpuE2ELNS1_3repE0EEENS1_30default_config_static_selectorELNS0_4arch9wavefront6targetE1EEEvSP_,"axG",@progbits,_ZN7rocprim17ROCPRIM_400000_NS6detail17trampoline_kernelINS0_14default_configENS1_21merge_config_selectorIiNS0_10empty_typeEEEZNS1_10merge_implIS3_N6thrust23THRUST_200600_302600_NS6detail15normal_iteratorINS9_10device_ptrIKiEEEESF_NSB_INSC_IiEEEEPS5_SI_SI_NS9_4lessIiEEEE10hipError_tPvRmT0_T1_T2_T3_T4_T5_mmT6_P12ihipStream_tbEUlT_E_NS1_11comp_targetILNS1_3genE8ELNS1_11target_archE1030ELNS1_3gpuE2ELNS1_3repE0EEENS1_30default_config_static_selectorELNS0_4arch9wavefront6targetE1EEEvSP_,comdat
	.protected	_ZN7rocprim17ROCPRIM_400000_NS6detail17trampoline_kernelINS0_14default_configENS1_21merge_config_selectorIiNS0_10empty_typeEEEZNS1_10merge_implIS3_N6thrust23THRUST_200600_302600_NS6detail15normal_iteratorINS9_10device_ptrIKiEEEESF_NSB_INSC_IiEEEEPS5_SI_SI_NS9_4lessIiEEEE10hipError_tPvRmT0_T1_T2_T3_T4_T5_mmT6_P12ihipStream_tbEUlT_E_NS1_11comp_targetILNS1_3genE8ELNS1_11target_archE1030ELNS1_3gpuE2ELNS1_3repE0EEENS1_30default_config_static_selectorELNS0_4arch9wavefront6targetE1EEEvSP_ ; -- Begin function _ZN7rocprim17ROCPRIM_400000_NS6detail17trampoline_kernelINS0_14default_configENS1_21merge_config_selectorIiNS0_10empty_typeEEEZNS1_10merge_implIS3_N6thrust23THRUST_200600_302600_NS6detail15normal_iteratorINS9_10device_ptrIKiEEEESF_NSB_INSC_IiEEEEPS5_SI_SI_NS9_4lessIiEEEE10hipError_tPvRmT0_T1_T2_T3_T4_T5_mmT6_P12ihipStream_tbEUlT_E_NS1_11comp_targetILNS1_3genE8ELNS1_11target_archE1030ELNS1_3gpuE2ELNS1_3repE0EEENS1_30default_config_static_selectorELNS0_4arch9wavefront6targetE1EEEvSP_
	.globl	_ZN7rocprim17ROCPRIM_400000_NS6detail17trampoline_kernelINS0_14default_configENS1_21merge_config_selectorIiNS0_10empty_typeEEEZNS1_10merge_implIS3_N6thrust23THRUST_200600_302600_NS6detail15normal_iteratorINS9_10device_ptrIKiEEEESF_NSB_INSC_IiEEEEPS5_SI_SI_NS9_4lessIiEEEE10hipError_tPvRmT0_T1_T2_T3_T4_T5_mmT6_P12ihipStream_tbEUlT_E_NS1_11comp_targetILNS1_3genE8ELNS1_11target_archE1030ELNS1_3gpuE2ELNS1_3repE0EEENS1_30default_config_static_selectorELNS0_4arch9wavefront6targetE1EEEvSP_
	.p2align	8
	.type	_ZN7rocprim17ROCPRIM_400000_NS6detail17trampoline_kernelINS0_14default_configENS1_21merge_config_selectorIiNS0_10empty_typeEEEZNS1_10merge_implIS3_N6thrust23THRUST_200600_302600_NS6detail15normal_iteratorINS9_10device_ptrIKiEEEESF_NSB_INSC_IiEEEEPS5_SI_SI_NS9_4lessIiEEEE10hipError_tPvRmT0_T1_T2_T3_T4_T5_mmT6_P12ihipStream_tbEUlT_E_NS1_11comp_targetILNS1_3genE8ELNS1_11target_archE1030ELNS1_3gpuE2ELNS1_3repE0EEENS1_30default_config_static_selectorELNS0_4arch9wavefront6targetE1EEEvSP_,@function
_ZN7rocprim17ROCPRIM_400000_NS6detail17trampoline_kernelINS0_14default_configENS1_21merge_config_selectorIiNS0_10empty_typeEEEZNS1_10merge_implIS3_N6thrust23THRUST_200600_302600_NS6detail15normal_iteratorINS9_10device_ptrIKiEEEESF_NSB_INSC_IiEEEEPS5_SI_SI_NS9_4lessIiEEEE10hipError_tPvRmT0_T1_T2_T3_T4_T5_mmT6_P12ihipStream_tbEUlT_E_NS1_11comp_targetILNS1_3genE8ELNS1_11target_archE1030ELNS1_3gpuE2ELNS1_3repE0EEENS1_30default_config_static_selectorELNS0_4arch9wavefront6targetE1EEEvSP_: ; @_ZN7rocprim17ROCPRIM_400000_NS6detail17trampoline_kernelINS0_14default_configENS1_21merge_config_selectorIiNS0_10empty_typeEEEZNS1_10merge_implIS3_N6thrust23THRUST_200600_302600_NS6detail15normal_iteratorINS9_10device_ptrIKiEEEESF_NSB_INSC_IiEEEEPS5_SI_SI_NS9_4lessIiEEEE10hipError_tPvRmT0_T1_T2_T3_T4_T5_mmT6_P12ihipStream_tbEUlT_E_NS1_11comp_targetILNS1_3genE8ELNS1_11target_archE1030ELNS1_3gpuE2ELNS1_3repE0EEENS1_30default_config_static_selectorELNS0_4arch9wavefront6targetE1EEEvSP_
; %bb.0:
	.section	.rodata,"a",@progbits
	.p2align	6, 0x0
	.amdhsa_kernel _ZN7rocprim17ROCPRIM_400000_NS6detail17trampoline_kernelINS0_14default_configENS1_21merge_config_selectorIiNS0_10empty_typeEEEZNS1_10merge_implIS3_N6thrust23THRUST_200600_302600_NS6detail15normal_iteratorINS9_10device_ptrIKiEEEESF_NSB_INSC_IiEEEEPS5_SI_SI_NS9_4lessIiEEEE10hipError_tPvRmT0_T1_T2_T3_T4_T5_mmT6_P12ihipStream_tbEUlT_E_NS1_11comp_targetILNS1_3genE8ELNS1_11target_archE1030ELNS1_3gpuE2ELNS1_3repE0EEENS1_30default_config_static_selectorELNS0_4arch9wavefront6targetE1EEEvSP_
		.amdhsa_group_segment_fixed_size 0
		.amdhsa_private_segment_fixed_size 0
		.amdhsa_kernarg_size 48
		.amdhsa_user_sgpr_count 6
		.amdhsa_user_sgpr_private_segment_buffer 1
		.amdhsa_user_sgpr_dispatch_ptr 0
		.amdhsa_user_sgpr_queue_ptr 0
		.amdhsa_user_sgpr_kernarg_segment_ptr 1
		.amdhsa_user_sgpr_dispatch_id 0
		.amdhsa_user_sgpr_flat_scratch_init 0
		.amdhsa_user_sgpr_kernarg_preload_length 0
		.amdhsa_user_sgpr_kernarg_preload_offset 0
		.amdhsa_user_sgpr_private_segment_size 0
		.amdhsa_uses_dynamic_stack 0
		.amdhsa_system_sgpr_private_segment_wavefront_offset 0
		.amdhsa_system_sgpr_workgroup_id_x 1
		.amdhsa_system_sgpr_workgroup_id_y 0
		.amdhsa_system_sgpr_workgroup_id_z 0
		.amdhsa_system_sgpr_workgroup_info 0
		.amdhsa_system_vgpr_workitem_id 0
		.amdhsa_next_free_vgpr 1
		.amdhsa_next_free_sgpr 0
		.amdhsa_accum_offset 4
		.amdhsa_reserve_vcc 0
		.amdhsa_reserve_flat_scratch 0
		.amdhsa_float_round_mode_32 0
		.amdhsa_float_round_mode_16_64 0
		.amdhsa_float_denorm_mode_32 3
		.amdhsa_float_denorm_mode_16_64 3
		.amdhsa_dx10_clamp 1
		.amdhsa_ieee_mode 1
		.amdhsa_fp16_overflow 0
		.amdhsa_tg_split 0
		.amdhsa_exception_fp_ieee_invalid_op 0
		.amdhsa_exception_fp_denorm_src 0
		.amdhsa_exception_fp_ieee_div_zero 0
		.amdhsa_exception_fp_ieee_overflow 0
		.amdhsa_exception_fp_ieee_underflow 0
		.amdhsa_exception_fp_ieee_inexact 0
		.amdhsa_exception_int_div_zero 0
	.end_amdhsa_kernel
	.section	.text._ZN7rocprim17ROCPRIM_400000_NS6detail17trampoline_kernelINS0_14default_configENS1_21merge_config_selectorIiNS0_10empty_typeEEEZNS1_10merge_implIS3_N6thrust23THRUST_200600_302600_NS6detail15normal_iteratorINS9_10device_ptrIKiEEEESF_NSB_INSC_IiEEEEPS5_SI_SI_NS9_4lessIiEEEE10hipError_tPvRmT0_T1_T2_T3_T4_T5_mmT6_P12ihipStream_tbEUlT_E_NS1_11comp_targetILNS1_3genE8ELNS1_11target_archE1030ELNS1_3gpuE2ELNS1_3repE0EEENS1_30default_config_static_selectorELNS0_4arch9wavefront6targetE1EEEvSP_,"axG",@progbits,_ZN7rocprim17ROCPRIM_400000_NS6detail17trampoline_kernelINS0_14default_configENS1_21merge_config_selectorIiNS0_10empty_typeEEEZNS1_10merge_implIS3_N6thrust23THRUST_200600_302600_NS6detail15normal_iteratorINS9_10device_ptrIKiEEEESF_NSB_INSC_IiEEEEPS5_SI_SI_NS9_4lessIiEEEE10hipError_tPvRmT0_T1_T2_T3_T4_T5_mmT6_P12ihipStream_tbEUlT_E_NS1_11comp_targetILNS1_3genE8ELNS1_11target_archE1030ELNS1_3gpuE2ELNS1_3repE0EEENS1_30default_config_static_selectorELNS0_4arch9wavefront6targetE1EEEvSP_,comdat
.Lfunc_end251:
	.size	_ZN7rocprim17ROCPRIM_400000_NS6detail17trampoline_kernelINS0_14default_configENS1_21merge_config_selectorIiNS0_10empty_typeEEEZNS1_10merge_implIS3_N6thrust23THRUST_200600_302600_NS6detail15normal_iteratorINS9_10device_ptrIKiEEEESF_NSB_INSC_IiEEEEPS5_SI_SI_NS9_4lessIiEEEE10hipError_tPvRmT0_T1_T2_T3_T4_T5_mmT6_P12ihipStream_tbEUlT_E_NS1_11comp_targetILNS1_3genE8ELNS1_11target_archE1030ELNS1_3gpuE2ELNS1_3repE0EEENS1_30default_config_static_selectorELNS0_4arch9wavefront6targetE1EEEvSP_, .Lfunc_end251-_ZN7rocprim17ROCPRIM_400000_NS6detail17trampoline_kernelINS0_14default_configENS1_21merge_config_selectorIiNS0_10empty_typeEEEZNS1_10merge_implIS3_N6thrust23THRUST_200600_302600_NS6detail15normal_iteratorINS9_10device_ptrIKiEEEESF_NSB_INSC_IiEEEEPS5_SI_SI_NS9_4lessIiEEEE10hipError_tPvRmT0_T1_T2_T3_T4_T5_mmT6_P12ihipStream_tbEUlT_E_NS1_11comp_targetILNS1_3genE8ELNS1_11target_archE1030ELNS1_3gpuE2ELNS1_3repE0EEENS1_30default_config_static_selectorELNS0_4arch9wavefront6targetE1EEEvSP_
                                        ; -- End function
	.section	.AMDGPU.csdata,"",@progbits
; Kernel info:
; codeLenInByte = 0
; NumSgprs: 4
; NumVgprs: 0
; NumAgprs: 0
; TotalNumVgprs: 0
; ScratchSize: 0
; MemoryBound: 0
; FloatMode: 240
; IeeeMode: 1
; LDSByteSize: 0 bytes/workgroup (compile time only)
; SGPRBlocks: 0
; VGPRBlocks: 0
; NumSGPRsForWavesPerEU: 4
; NumVGPRsForWavesPerEU: 1
; AccumOffset: 4
; Occupancy: 8
; WaveLimiterHint : 0
; COMPUTE_PGM_RSRC2:SCRATCH_EN: 0
; COMPUTE_PGM_RSRC2:USER_SGPR: 6
; COMPUTE_PGM_RSRC2:TRAP_HANDLER: 0
; COMPUTE_PGM_RSRC2:TGID_X_EN: 1
; COMPUTE_PGM_RSRC2:TGID_Y_EN: 0
; COMPUTE_PGM_RSRC2:TGID_Z_EN: 0
; COMPUTE_PGM_RSRC2:TIDIG_COMP_CNT: 0
; COMPUTE_PGM_RSRC3_GFX90A:ACCUM_OFFSET: 0
; COMPUTE_PGM_RSRC3_GFX90A:TG_SPLIT: 0
	.section	.text._ZN7rocprim17ROCPRIM_400000_NS6detail17trampoline_kernelINS0_14default_configENS1_21merge_config_selectorIiNS0_10empty_typeEEEZNS1_10merge_implIS3_N6thrust23THRUST_200600_302600_NS6detail15normal_iteratorINS9_10device_ptrIKiEEEESF_NSB_INSC_IiEEEEPS5_SI_SI_NS9_4lessIiEEEE10hipError_tPvRmT0_T1_T2_T3_T4_T5_mmT6_P12ihipStream_tbEUlT_E0_NS1_11comp_targetILNS1_3genE0ELNS1_11target_archE4294967295ELNS1_3gpuE0ELNS1_3repE0EEENS1_30default_config_static_selectorELNS0_4arch9wavefront6targetE1EEEvSP_,"axG",@progbits,_ZN7rocprim17ROCPRIM_400000_NS6detail17trampoline_kernelINS0_14default_configENS1_21merge_config_selectorIiNS0_10empty_typeEEEZNS1_10merge_implIS3_N6thrust23THRUST_200600_302600_NS6detail15normal_iteratorINS9_10device_ptrIKiEEEESF_NSB_INSC_IiEEEEPS5_SI_SI_NS9_4lessIiEEEE10hipError_tPvRmT0_T1_T2_T3_T4_T5_mmT6_P12ihipStream_tbEUlT_E0_NS1_11comp_targetILNS1_3genE0ELNS1_11target_archE4294967295ELNS1_3gpuE0ELNS1_3repE0EEENS1_30default_config_static_selectorELNS0_4arch9wavefront6targetE1EEEvSP_,comdat
	.protected	_ZN7rocprim17ROCPRIM_400000_NS6detail17trampoline_kernelINS0_14default_configENS1_21merge_config_selectorIiNS0_10empty_typeEEEZNS1_10merge_implIS3_N6thrust23THRUST_200600_302600_NS6detail15normal_iteratorINS9_10device_ptrIKiEEEESF_NSB_INSC_IiEEEEPS5_SI_SI_NS9_4lessIiEEEE10hipError_tPvRmT0_T1_T2_T3_T4_T5_mmT6_P12ihipStream_tbEUlT_E0_NS1_11comp_targetILNS1_3genE0ELNS1_11target_archE4294967295ELNS1_3gpuE0ELNS1_3repE0EEENS1_30default_config_static_selectorELNS0_4arch9wavefront6targetE1EEEvSP_ ; -- Begin function _ZN7rocprim17ROCPRIM_400000_NS6detail17trampoline_kernelINS0_14default_configENS1_21merge_config_selectorIiNS0_10empty_typeEEEZNS1_10merge_implIS3_N6thrust23THRUST_200600_302600_NS6detail15normal_iteratorINS9_10device_ptrIKiEEEESF_NSB_INSC_IiEEEEPS5_SI_SI_NS9_4lessIiEEEE10hipError_tPvRmT0_T1_T2_T3_T4_T5_mmT6_P12ihipStream_tbEUlT_E0_NS1_11comp_targetILNS1_3genE0ELNS1_11target_archE4294967295ELNS1_3gpuE0ELNS1_3repE0EEENS1_30default_config_static_selectorELNS0_4arch9wavefront6targetE1EEEvSP_
	.globl	_ZN7rocprim17ROCPRIM_400000_NS6detail17trampoline_kernelINS0_14default_configENS1_21merge_config_selectorIiNS0_10empty_typeEEEZNS1_10merge_implIS3_N6thrust23THRUST_200600_302600_NS6detail15normal_iteratorINS9_10device_ptrIKiEEEESF_NSB_INSC_IiEEEEPS5_SI_SI_NS9_4lessIiEEEE10hipError_tPvRmT0_T1_T2_T3_T4_T5_mmT6_P12ihipStream_tbEUlT_E0_NS1_11comp_targetILNS1_3genE0ELNS1_11target_archE4294967295ELNS1_3gpuE0ELNS1_3repE0EEENS1_30default_config_static_selectorELNS0_4arch9wavefront6targetE1EEEvSP_
	.p2align	8
	.type	_ZN7rocprim17ROCPRIM_400000_NS6detail17trampoline_kernelINS0_14default_configENS1_21merge_config_selectorIiNS0_10empty_typeEEEZNS1_10merge_implIS3_N6thrust23THRUST_200600_302600_NS6detail15normal_iteratorINS9_10device_ptrIKiEEEESF_NSB_INSC_IiEEEEPS5_SI_SI_NS9_4lessIiEEEE10hipError_tPvRmT0_T1_T2_T3_T4_T5_mmT6_P12ihipStream_tbEUlT_E0_NS1_11comp_targetILNS1_3genE0ELNS1_11target_archE4294967295ELNS1_3gpuE0ELNS1_3repE0EEENS1_30default_config_static_selectorELNS0_4arch9wavefront6targetE1EEEvSP_,@function
_ZN7rocprim17ROCPRIM_400000_NS6detail17trampoline_kernelINS0_14default_configENS1_21merge_config_selectorIiNS0_10empty_typeEEEZNS1_10merge_implIS3_N6thrust23THRUST_200600_302600_NS6detail15normal_iteratorINS9_10device_ptrIKiEEEESF_NSB_INSC_IiEEEEPS5_SI_SI_NS9_4lessIiEEEE10hipError_tPvRmT0_T1_T2_T3_T4_T5_mmT6_P12ihipStream_tbEUlT_E0_NS1_11comp_targetILNS1_3genE0ELNS1_11target_archE4294967295ELNS1_3gpuE0ELNS1_3repE0EEENS1_30default_config_static_selectorELNS0_4arch9wavefront6targetE1EEEvSP_: ; @_ZN7rocprim17ROCPRIM_400000_NS6detail17trampoline_kernelINS0_14default_configENS1_21merge_config_selectorIiNS0_10empty_typeEEEZNS1_10merge_implIS3_N6thrust23THRUST_200600_302600_NS6detail15normal_iteratorINS9_10device_ptrIKiEEEESF_NSB_INSC_IiEEEEPS5_SI_SI_NS9_4lessIiEEEE10hipError_tPvRmT0_T1_T2_T3_T4_T5_mmT6_P12ihipStream_tbEUlT_E0_NS1_11comp_targetILNS1_3genE0ELNS1_11target_archE4294967295ELNS1_3gpuE0ELNS1_3repE0EEENS1_30default_config_static_selectorELNS0_4arch9wavefront6targetE1EEEvSP_
; %bb.0:
	.section	.rodata,"a",@progbits
	.p2align	6, 0x0
	.amdhsa_kernel _ZN7rocprim17ROCPRIM_400000_NS6detail17trampoline_kernelINS0_14default_configENS1_21merge_config_selectorIiNS0_10empty_typeEEEZNS1_10merge_implIS3_N6thrust23THRUST_200600_302600_NS6detail15normal_iteratorINS9_10device_ptrIKiEEEESF_NSB_INSC_IiEEEEPS5_SI_SI_NS9_4lessIiEEEE10hipError_tPvRmT0_T1_T2_T3_T4_T5_mmT6_P12ihipStream_tbEUlT_E0_NS1_11comp_targetILNS1_3genE0ELNS1_11target_archE4294967295ELNS1_3gpuE0ELNS1_3repE0EEENS1_30default_config_static_selectorELNS0_4arch9wavefront6targetE1EEEvSP_
		.amdhsa_group_segment_fixed_size 0
		.amdhsa_private_segment_fixed_size 0
		.amdhsa_kernarg_size 88
		.amdhsa_user_sgpr_count 6
		.amdhsa_user_sgpr_private_segment_buffer 1
		.amdhsa_user_sgpr_dispatch_ptr 0
		.amdhsa_user_sgpr_queue_ptr 0
		.amdhsa_user_sgpr_kernarg_segment_ptr 1
		.amdhsa_user_sgpr_dispatch_id 0
		.amdhsa_user_sgpr_flat_scratch_init 0
		.amdhsa_user_sgpr_kernarg_preload_length 0
		.amdhsa_user_sgpr_kernarg_preload_offset 0
		.amdhsa_user_sgpr_private_segment_size 0
		.amdhsa_uses_dynamic_stack 0
		.amdhsa_system_sgpr_private_segment_wavefront_offset 0
		.amdhsa_system_sgpr_workgroup_id_x 1
		.amdhsa_system_sgpr_workgroup_id_y 0
		.amdhsa_system_sgpr_workgroup_id_z 0
		.amdhsa_system_sgpr_workgroup_info 0
		.amdhsa_system_vgpr_workitem_id 0
		.amdhsa_next_free_vgpr 1
		.amdhsa_next_free_sgpr 0
		.amdhsa_accum_offset 4
		.amdhsa_reserve_vcc 0
		.amdhsa_reserve_flat_scratch 0
		.amdhsa_float_round_mode_32 0
		.amdhsa_float_round_mode_16_64 0
		.amdhsa_float_denorm_mode_32 3
		.amdhsa_float_denorm_mode_16_64 3
		.amdhsa_dx10_clamp 1
		.amdhsa_ieee_mode 1
		.amdhsa_fp16_overflow 0
		.amdhsa_tg_split 0
		.amdhsa_exception_fp_ieee_invalid_op 0
		.amdhsa_exception_fp_denorm_src 0
		.amdhsa_exception_fp_ieee_div_zero 0
		.amdhsa_exception_fp_ieee_overflow 0
		.amdhsa_exception_fp_ieee_underflow 0
		.amdhsa_exception_fp_ieee_inexact 0
		.amdhsa_exception_int_div_zero 0
	.end_amdhsa_kernel
	.section	.text._ZN7rocprim17ROCPRIM_400000_NS6detail17trampoline_kernelINS0_14default_configENS1_21merge_config_selectorIiNS0_10empty_typeEEEZNS1_10merge_implIS3_N6thrust23THRUST_200600_302600_NS6detail15normal_iteratorINS9_10device_ptrIKiEEEESF_NSB_INSC_IiEEEEPS5_SI_SI_NS9_4lessIiEEEE10hipError_tPvRmT0_T1_T2_T3_T4_T5_mmT6_P12ihipStream_tbEUlT_E0_NS1_11comp_targetILNS1_3genE0ELNS1_11target_archE4294967295ELNS1_3gpuE0ELNS1_3repE0EEENS1_30default_config_static_selectorELNS0_4arch9wavefront6targetE1EEEvSP_,"axG",@progbits,_ZN7rocprim17ROCPRIM_400000_NS6detail17trampoline_kernelINS0_14default_configENS1_21merge_config_selectorIiNS0_10empty_typeEEEZNS1_10merge_implIS3_N6thrust23THRUST_200600_302600_NS6detail15normal_iteratorINS9_10device_ptrIKiEEEESF_NSB_INSC_IiEEEEPS5_SI_SI_NS9_4lessIiEEEE10hipError_tPvRmT0_T1_T2_T3_T4_T5_mmT6_P12ihipStream_tbEUlT_E0_NS1_11comp_targetILNS1_3genE0ELNS1_11target_archE4294967295ELNS1_3gpuE0ELNS1_3repE0EEENS1_30default_config_static_selectorELNS0_4arch9wavefront6targetE1EEEvSP_,comdat
.Lfunc_end252:
	.size	_ZN7rocprim17ROCPRIM_400000_NS6detail17trampoline_kernelINS0_14default_configENS1_21merge_config_selectorIiNS0_10empty_typeEEEZNS1_10merge_implIS3_N6thrust23THRUST_200600_302600_NS6detail15normal_iteratorINS9_10device_ptrIKiEEEESF_NSB_INSC_IiEEEEPS5_SI_SI_NS9_4lessIiEEEE10hipError_tPvRmT0_T1_T2_T3_T4_T5_mmT6_P12ihipStream_tbEUlT_E0_NS1_11comp_targetILNS1_3genE0ELNS1_11target_archE4294967295ELNS1_3gpuE0ELNS1_3repE0EEENS1_30default_config_static_selectorELNS0_4arch9wavefront6targetE1EEEvSP_, .Lfunc_end252-_ZN7rocprim17ROCPRIM_400000_NS6detail17trampoline_kernelINS0_14default_configENS1_21merge_config_selectorIiNS0_10empty_typeEEEZNS1_10merge_implIS3_N6thrust23THRUST_200600_302600_NS6detail15normal_iteratorINS9_10device_ptrIKiEEEESF_NSB_INSC_IiEEEEPS5_SI_SI_NS9_4lessIiEEEE10hipError_tPvRmT0_T1_T2_T3_T4_T5_mmT6_P12ihipStream_tbEUlT_E0_NS1_11comp_targetILNS1_3genE0ELNS1_11target_archE4294967295ELNS1_3gpuE0ELNS1_3repE0EEENS1_30default_config_static_selectorELNS0_4arch9wavefront6targetE1EEEvSP_
                                        ; -- End function
	.section	.AMDGPU.csdata,"",@progbits
; Kernel info:
; codeLenInByte = 0
; NumSgprs: 4
; NumVgprs: 0
; NumAgprs: 0
; TotalNumVgprs: 0
; ScratchSize: 0
; MemoryBound: 0
; FloatMode: 240
; IeeeMode: 1
; LDSByteSize: 0 bytes/workgroup (compile time only)
; SGPRBlocks: 0
; VGPRBlocks: 0
; NumSGPRsForWavesPerEU: 4
; NumVGPRsForWavesPerEU: 1
; AccumOffset: 4
; Occupancy: 8
; WaveLimiterHint : 0
; COMPUTE_PGM_RSRC2:SCRATCH_EN: 0
; COMPUTE_PGM_RSRC2:USER_SGPR: 6
; COMPUTE_PGM_RSRC2:TRAP_HANDLER: 0
; COMPUTE_PGM_RSRC2:TGID_X_EN: 1
; COMPUTE_PGM_RSRC2:TGID_Y_EN: 0
; COMPUTE_PGM_RSRC2:TGID_Z_EN: 0
; COMPUTE_PGM_RSRC2:TIDIG_COMP_CNT: 0
; COMPUTE_PGM_RSRC3_GFX90A:ACCUM_OFFSET: 0
; COMPUTE_PGM_RSRC3_GFX90A:TG_SPLIT: 0
	.section	.text._ZN7rocprim17ROCPRIM_400000_NS6detail17trampoline_kernelINS0_14default_configENS1_21merge_config_selectorIiNS0_10empty_typeEEEZNS1_10merge_implIS3_N6thrust23THRUST_200600_302600_NS6detail15normal_iteratorINS9_10device_ptrIKiEEEESF_NSB_INSC_IiEEEEPS5_SI_SI_NS9_4lessIiEEEE10hipError_tPvRmT0_T1_T2_T3_T4_T5_mmT6_P12ihipStream_tbEUlT_E0_NS1_11comp_targetILNS1_3genE5ELNS1_11target_archE942ELNS1_3gpuE9ELNS1_3repE0EEENS1_30default_config_static_selectorELNS0_4arch9wavefront6targetE1EEEvSP_,"axG",@progbits,_ZN7rocprim17ROCPRIM_400000_NS6detail17trampoline_kernelINS0_14default_configENS1_21merge_config_selectorIiNS0_10empty_typeEEEZNS1_10merge_implIS3_N6thrust23THRUST_200600_302600_NS6detail15normal_iteratorINS9_10device_ptrIKiEEEESF_NSB_INSC_IiEEEEPS5_SI_SI_NS9_4lessIiEEEE10hipError_tPvRmT0_T1_T2_T3_T4_T5_mmT6_P12ihipStream_tbEUlT_E0_NS1_11comp_targetILNS1_3genE5ELNS1_11target_archE942ELNS1_3gpuE9ELNS1_3repE0EEENS1_30default_config_static_selectorELNS0_4arch9wavefront6targetE1EEEvSP_,comdat
	.protected	_ZN7rocprim17ROCPRIM_400000_NS6detail17trampoline_kernelINS0_14default_configENS1_21merge_config_selectorIiNS0_10empty_typeEEEZNS1_10merge_implIS3_N6thrust23THRUST_200600_302600_NS6detail15normal_iteratorINS9_10device_ptrIKiEEEESF_NSB_INSC_IiEEEEPS5_SI_SI_NS9_4lessIiEEEE10hipError_tPvRmT0_T1_T2_T3_T4_T5_mmT6_P12ihipStream_tbEUlT_E0_NS1_11comp_targetILNS1_3genE5ELNS1_11target_archE942ELNS1_3gpuE9ELNS1_3repE0EEENS1_30default_config_static_selectorELNS0_4arch9wavefront6targetE1EEEvSP_ ; -- Begin function _ZN7rocprim17ROCPRIM_400000_NS6detail17trampoline_kernelINS0_14default_configENS1_21merge_config_selectorIiNS0_10empty_typeEEEZNS1_10merge_implIS3_N6thrust23THRUST_200600_302600_NS6detail15normal_iteratorINS9_10device_ptrIKiEEEESF_NSB_INSC_IiEEEEPS5_SI_SI_NS9_4lessIiEEEE10hipError_tPvRmT0_T1_T2_T3_T4_T5_mmT6_P12ihipStream_tbEUlT_E0_NS1_11comp_targetILNS1_3genE5ELNS1_11target_archE942ELNS1_3gpuE9ELNS1_3repE0EEENS1_30default_config_static_selectorELNS0_4arch9wavefront6targetE1EEEvSP_
	.globl	_ZN7rocprim17ROCPRIM_400000_NS6detail17trampoline_kernelINS0_14default_configENS1_21merge_config_selectorIiNS0_10empty_typeEEEZNS1_10merge_implIS3_N6thrust23THRUST_200600_302600_NS6detail15normal_iteratorINS9_10device_ptrIKiEEEESF_NSB_INSC_IiEEEEPS5_SI_SI_NS9_4lessIiEEEE10hipError_tPvRmT0_T1_T2_T3_T4_T5_mmT6_P12ihipStream_tbEUlT_E0_NS1_11comp_targetILNS1_3genE5ELNS1_11target_archE942ELNS1_3gpuE9ELNS1_3repE0EEENS1_30default_config_static_selectorELNS0_4arch9wavefront6targetE1EEEvSP_
	.p2align	8
	.type	_ZN7rocprim17ROCPRIM_400000_NS6detail17trampoline_kernelINS0_14default_configENS1_21merge_config_selectorIiNS0_10empty_typeEEEZNS1_10merge_implIS3_N6thrust23THRUST_200600_302600_NS6detail15normal_iteratorINS9_10device_ptrIKiEEEESF_NSB_INSC_IiEEEEPS5_SI_SI_NS9_4lessIiEEEE10hipError_tPvRmT0_T1_T2_T3_T4_T5_mmT6_P12ihipStream_tbEUlT_E0_NS1_11comp_targetILNS1_3genE5ELNS1_11target_archE942ELNS1_3gpuE9ELNS1_3repE0EEENS1_30default_config_static_selectorELNS0_4arch9wavefront6targetE1EEEvSP_,@function
_ZN7rocprim17ROCPRIM_400000_NS6detail17trampoline_kernelINS0_14default_configENS1_21merge_config_selectorIiNS0_10empty_typeEEEZNS1_10merge_implIS3_N6thrust23THRUST_200600_302600_NS6detail15normal_iteratorINS9_10device_ptrIKiEEEESF_NSB_INSC_IiEEEEPS5_SI_SI_NS9_4lessIiEEEE10hipError_tPvRmT0_T1_T2_T3_T4_T5_mmT6_P12ihipStream_tbEUlT_E0_NS1_11comp_targetILNS1_3genE5ELNS1_11target_archE942ELNS1_3gpuE9ELNS1_3repE0EEENS1_30default_config_static_selectorELNS0_4arch9wavefront6targetE1EEEvSP_: ; @_ZN7rocprim17ROCPRIM_400000_NS6detail17trampoline_kernelINS0_14default_configENS1_21merge_config_selectorIiNS0_10empty_typeEEEZNS1_10merge_implIS3_N6thrust23THRUST_200600_302600_NS6detail15normal_iteratorINS9_10device_ptrIKiEEEESF_NSB_INSC_IiEEEEPS5_SI_SI_NS9_4lessIiEEEE10hipError_tPvRmT0_T1_T2_T3_T4_T5_mmT6_P12ihipStream_tbEUlT_E0_NS1_11comp_targetILNS1_3genE5ELNS1_11target_archE942ELNS1_3gpuE9ELNS1_3repE0EEENS1_30default_config_static_selectorELNS0_4arch9wavefront6targetE1EEEvSP_
; %bb.0:
	.section	.rodata,"a",@progbits
	.p2align	6, 0x0
	.amdhsa_kernel _ZN7rocprim17ROCPRIM_400000_NS6detail17trampoline_kernelINS0_14default_configENS1_21merge_config_selectorIiNS0_10empty_typeEEEZNS1_10merge_implIS3_N6thrust23THRUST_200600_302600_NS6detail15normal_iteratorINS9_10device_ptrIKiEEEESF_NSB_INSC_IiEEEEPS5_SI_SI_NS9_4lessIiEEEE10hipError_tPvRmT0_T1_T2_T3_T4_T5_mmT6_P12ihipStream_tbEUlT_E0_NS1_11comp_targetILNS1_3genE5ELNS1_11target_archE942ELNS1_3gpuE9ELNS1_3repE0EEENS1_30default_config_static_selectorELNS0_4arch9wavefront6targetE1EEEvSP_
		.amdhsa_group_segment_fixed_size 0
		.amdhsa_private_segment_fixed_size 0
		.amdhsa_kernarg_size 88
		.amdhsa_user_sgpr_count 6
		.amdhsa_user_sgpr_private_segment_buffer 1
		.amdhsa_user_sgpr_dispatch_ptr 0
		.amdhsa_user_sgpr_queue_ptr 0
		.amdhsa_user_sgpr_kernarg_segment_ptr 1
		.amdhsa_user_sgpr_dispatch_id 0
		.amdhsa_user_sgpr_flat_scratch_init 0
		.amdhsa_user_sgpr_kernarg_preload_length 0
		.amdhsa_user_sgpr_kernarg_preload_offset 0
		.amdhsa_user_sgpr_private_segment_size 0
		.amdhsa_uses_dynamic_stack 0
		.amdhsa_system_sgpr_private_segment_wavefront_offset 0
		.amdhsa_system_sgpr_workgroup_id_x 1
		.amdhsa_system_sgpr_workgroup_id_y 0
		.amdhsa_system_sgpr_workgroup_id_z 0
		.amdhsa_system_sgpr_workgroup_info 0
		.amdhsa_system_vgpr_workitem_id 0
		.amdhsa_next_free_vgpr 1
		.amdhsa_next_free_sgpr 0
		.amdhsa_accum_offset 4
		.amdhsa_reserve_vcc 0
		.amdhsa_reserve_flat_scratch 0
		.amdhsa_float_round_mode_32 0
		.amdhsa_float_round_mode_16_64 0
		.amdhsa_float_denorm_mode_32 3
		.amdhsa_float_denorm_mode_16_64 3
		.amdhsa_dx10_clamp 1
		.amdhsa_ieee_mode 1
		.amdhsa_fp16_overflow 0
		.amdhsa_tg_split 0
		.amdhsa_exception_fp_ieee_invalid_op 0
		.amdhsa_exception_fp_denorm_src 0
		.amdhsa_exception_fp_ieee_div_zero 0
		.amdhsa_exception_fp_ieee_overflow 0
		.amdhsa_exception_fp_ieee_underflow 0
		.amdhsa_exception_fp_ieee_inexact 0
		.amdhsa_exception_int_div_zero 0
	.end_amdhsa_kernel
	.section	.text._ZN7rocprim17ROCPRIM_400000_NS6detail17trampoline_kernelINS0_14default_configENS1_21merge_config_selectorIiNS0_10empty_typeEEEZNS1_10merge_implIS3_N6thrust23THRUST_200600_302600_NS6detail15normal_iteratorINS9_10device_ptrIKiEEEESF_NSB_INSC_IiEEEEPS5_SI_SI_NS9_4lessIiEEEE10hipError_tPvRmT0_T1_T2_T3_T4_T5_mmT6_P12ihipStream_tbEUlT_E0_NS1_11comp_targetILNS1_3genE5ELNS1_11target_archE942ELNS1_3gpuE9ELNS1_3repE0EEENS1_30default_config_static_selectorELNS0_4arch9wavefront6targetE1EEEvSP_,"axG",@progbits,_ZN7rocprim17ROCPRIM_400000_NS6detail17trampoline_kernelINS0_14default_configENS1_21merge_config_selectorIiNS0_10empty_typeEEEZNS1_10merge_implIS3_N6thrust23THRUST_200600_302600_NS6detail15normal_iteratorINS9_10device_ptrIKiEEEESF_NSB_INSC_IiEEEEPS5_SI_SI_NS9_4lessIiEEEE10hipError_tPvRmT0_T1_T2_T3_T4_T5_mmT6_P12ihipStream_tbEUlT_E0_NS1_11comp_targetILNS1_3genE5ELNS1_11target_archE942ELNS1_3gpuE9ELNS1_3repE0EEENS1_30default_config_static_selectorELNS0_4arch9wavefront6targetE1EEEvSP_,comdat
.Lfunc_end253:
	.size	_ZN7rocprim17ROCPRIM_400000_NS6detail17trampoline_kernelINS0_14default_configENS1_21merge_config_selectorIiNS0_10empty_typeEEEZNS1_10merge_implIS3_N6thrust23THRUST_200600_302600_NS6detail15normal_iteratorINS9_10device_ptrIKiEEEESF_NSB_INSC_IiEEEEPS5_SI_SI_NS9_4lessIiEEEE10hipError_tPvRmT0_T1_T2_T3_T4_T5_mmT6_P12ihipStream_tbEUlT_E0_NS1_11comp_targetILNS1_3genE5ELNS1_11target_archE942ELNS1_3gpuE9ELNS1_3repE0EEENS1_30default_config_static_selectorELNS0_4arch9wavefront6targetE1EEEvSP_, .Lfunc_end253-_ZN7rocprim17ROCPRIM_400000_NS6detail17trampoline_kernelINS0_14default_configENS1_21merge_config_selectorIiNS0_10empty_typeEEEZNS1_10merge_implIS3_N6thrust23THRUST_200600_302600_NS6detail15normal_iteratorINS9_10device_ptrIKiEEEESF_NSB_INSC_IiEEEEPS5_SI_SI_NS9_4lessIiEEEE10hipError_tPvRmT0_T1_T2_T3_T4_T5_mmT6_P12ihipStream_tbEUlT_E0_NS1_11comp_targetILNS1_3genE5ELNS1_11target_archE942ELNS1_3gpuE9ELNS1_3repE0EEENS1_30default_config_static_selectorELNS0_4arch9wavefront6targetE1EEEvSP_
                                        ; -- End function
	.section	.AMDGPU.csdata,"",@progbits
; Kernel info:
; codeLenInByte = 0
; NumSgprs: 4
; NumVgprs: 0
; NumAgprs: 0
; TotalNumVgprs: 0
; ScratchSize: 0
; MemoryBound: 0
; FloatMode: 240
; IeeeMode: 1
; LDSByteSize: 0 bytes/workgroup (compile time only)
; SGPRBlocks: 0
; VGPRBlocks: 0
; NumSGPRsForWavesPerEU: 4
; NumVGPRsForWavesPerEU: 1
; AccumOffset: 4
; Occupancy: 8
; WaveLimiterHint : 0
; COMPUTE_PGM_RSRC2:SCRATCH_EN: 0
; COMPUTE_PGM_RSRC2:USER_SGPR: 6
; COMPUTE_PGM_RSRC2:TRAP_HANDLER: 0
; COMPUTE_PGM_RSRC2:TGID_X_EN: 1
; COMPUTE_PGM_RSRC2:TGID_Y_EN: 0
; COMPUTE_PGM_RSRC2:TGID_Z_EN: 0
; COMPUTE_PGM_RSRC2:TIDIG_COMP_CNT: 0
; COMPUTE_PGM_RSRC3_GFX90A:ACCUM_OFFSET: 0
; COMPUTE_PGM_RSRC3_GFX90A:TG_SPLIT: 0
	.section	.text._ZN7rocprim17ROCPRIM_400000_NS6detail17trampoline_kernelINS0_14default_configENS1_21merge_config_selectorIiNS0_10empty_typeEEEZNS1_10merge_implIS3_N6thrust23THRUST_200600_302600_NS6detail15normal_iteratorINS9_10device_ptrIKiEEEESF_NSB_INSC_IiEEEEPS5_SI_SI_NS9_4lessIiEEEE10hipError_tPvRmT0_T1_T2_T3_T4_T5_mmT6_P12ihipStream_tbEUlT_E0_NS1_11comp_targetILNS1_3genE4ELNS1_11target_archE910ELNS1_3gpuE8ELNS1_3repE0EEENS1_30default_config_static_selectorELNS0_4arch9wavefront6targetE1EEEvSP_,"axG",@progbits,_ZN7rocprim17ROCPRIM_400000_NS6detail17trampoline_kernelINS0_14default_configENS1_21merge_config_selectorIiNS0_10empty_typeEEEZNS1_10merge_implIS3_N6thrust23THRUST_200600_302600_NS6detail15normal_iteratorINS9_10device_ptrIKiEEEESF_NSB_INSC_IiEEEEPS5_SI_SI_NS9_4lessIiEEEE10hipError_tPvRmT0_T1_T2_T3_T4_T5_mmT6_P12ihipStream_tbEUlT_E0_NS1_11comp_targetILNS1_3genE4ELNS1_11target_archE910ELNS1_3gpuE8ELNS1_3repE0EEENS1_30default_config_static_selectorELNS0_4arch9wavefront6targetE1EEEvSP_,comdat
	.protected	_ZN7rocprim17ROCPRIM_400000_NS6detail17trampoline_kernelINS0_14default_configENS1_21merge_config_selectorIiNS0_10empty_typeEEEZNS1_10merge_implIS3_N6thrust23THRUST_200600_302600_NS6detail15normal_iteratorINS9_10device_ptrIKiEEEESF_NSB_INSC_IiEEEEPS5_SI_SI_NS9_4lessIiEEEE10hipError_tPvRmT0_T1_T2_T3_T4_T5_mmT6_P12ihipStream_tbEUlT_E0_NS1_11comp_targetILNS1_3genE4ELNS1_11target_archE910ELNS1_3gpuE8ELNS1_3repE0EEENS1_30default_config_static_selectorELNS0_4arch9wavefront6targetE1EEEvSP_ ; -- Begin function _ZN7rocprim17ROCPRIM_400000_NS6detail17trampoline_kernelINS0_14default_configENS1_21merge_config_selectorIiNS0_10empty_typeEEEZNS1_10merge_implIS3_N6thrust23THRUST_200600_302600_NS6detail15normal_iteratorINS9_10device_ptrIKiEEEESF_NSB_INSC_IiEEEEPS5_SI_SI_NS9_4lessIiEEEE10hipError_tPvRmT0_T1_T2_T3_T4_T5_mmT6_P12ihipStream_tbEUlT_E0_NS1_11comp_targetILNS1_3genE4ELNS1_11target_archE910ELNS1_3gpuE8ELNS1_3repE0EEENS1_30default_config_static_selectorELNS0_4arch9wavefront6targetE1EEEvSP_
	.globl	_ZN7rocprim17ROCPRIM_400000_NS6detail17trampoline_kernelINS0_14default_configENS1_21merge_config_selectorIiNS0_10empty_typeEEEZNS1_10merge_implIS3_N6thrust23THRUST_200600_302600_NS6detail15normal_iteratorINS9_10device_ptrIKiEEEESF_NSB_INSC_IiEEEEPS5_SI_SI_NS9_4lessIiEEEE10hipError_tPvRmT0_T1_T2_T3_T4_T5_mmT6_P12ihipStream_tbEUlT_E0_NS1_11comp_targetILNS1_3genE4ELNS1_11target_archE910ELNS1_3gpuE8ELNS1_3repE0EEENS1_30default_config_static_selectorELNS0_4arch9wavefront6targetE1EEEvSP_
	.p2align	8
	.type	_ZN7rocprim17ROCPRIM_400000_NS6detail17trampoline_kernelINS0_14default_configENS1_21merge_config_selectorIiNS0_10empty_typeEEEZNS1_10merge_implIS3_N6thrust23THRUST_200600_302600_NS6detail15normal_iteratorINS9_10device_ptrIKiEEEESF_NSB_INSC_IiEEEEPS5_SI_SI_NS9_4lessIiEEEE10hipError_tPvRmT0_T1_T2_T3_T4_T5_mmT6_P12ihipStream_tbEUlT_E0_NS1_11comp_targetILNS1_3genE4ELNS1_11target_archE910ELNS1_3gpuE8ELNS1_3repE0EEENS1_30default_config_static_selectorELNS0_4arch9wavefront6targetE1EEEvSP_,@function
_ZN7rocprim17ROCPRIM_400000_NS6detail17trampoline_kernelINS0_14default_configENS1_21merge_config_selectorIiNS0_10empty_typeEEEZNS1_10merge_implIS3_N6thrust23THRUST_200600_302600_NS6detail15normal_iteratorINS9_10device_ptrIKiEEEESF_NSB_INSC_IiEEEEPS5_SI_SI_NS9_4lessIiEEEE10hipError_tPvRmT0_T1_T2_T3_T4_T5_mmT6_P12ihipStream_tbEUlT_E0_NS1_11comp_targetILNS1_3genE4ELNS1_11target_archE910ELNS1_3gpuE8ELNS1_3repE0EEENS1_30default_config_static_selectorELNS0_4arch9wavefront6targetE1EEEvSP_: ; @_ZN7rocprim17ROCPRIM_400000_NS6detail17trampoline_kernelINS0_14default_configENS1_21merge_config_selectorIiNS0_10empty_typeEEEZNS1_10merge_implIS3_N6thrust23THRUST_200600_302600_NS6detail15normal_iteratorINS9_10device_ptrIKiEEEESF_NSB_INSC_IiEEEEPS5_SI_SI_NS9_4lessIiEEEE10hipError_tPvRmT0_T1_T2_T3_T4_T5_mmT6_P12ihipStream_tbEUlT_E0_NS1_11comp_targetILNS1_3genE4ELNS1_11target_archE910ELNS1_3gpuE8ELNS1_3repE0EEENS1_30default_config_static_selectorELNS0_4arch9wavefront6targetE1EEEvSP_
; %bb.0:
	s_load_dwordx4 s[0:3], s[4:5], 0x40
	s_load_dwordx8 s[12:19], s[4:5], 0x8
	s_mul_i32 s20, s6, 0xa00
	s_mov_b32 s23, 0
	s_waitcnt lgkmcnt(0)
	s_mov_b32 s3, s23
	s_add_i32 s21, s2, s0
	s_add_i32 s0, s21, 0x9ff
	s_mul_hi_u32 s0, s0, 0xcccccccd
	s_lshr_b32 s0, s0, 11
	s_min_u32 s1, s6, s0
	s_lshl_b32 s1, s1, 2
	s_load_dword s22, s[12:13], s1 offset:0x0
	s_add_i32 s6, s6, 1
	s_min_u32 s0, s6, s0
	s_lshl_b32 s0, s0, 2
	s_load_dword s6, s[12:13], s0 offset:0x0
	s_add_i32 s0, s20, 0xa00
	s_min_u32 s7, s21, s0
	s_waitcnt lgkmcnt(0)
	s_sub_i32 s2, s20, s22
	s_lshl_b64 s[0:1], s[22:23], 2
	s_add_u32 s0, s14, s0
	s_addc_u32 s1, s15, s1
	s_lshl_b64 s[4:5], s[2:3], 2
	s_add_u32 s9, s16, s4
	s_addc_u32 s10, s17, s5
	s_add_i32 s2, s2, s6
	s_sub_i32 s22, s6, s22
	s_sub_i32 s8, s7, s2
	s_add_u32 s2, s8, s22
	s_addc_u32 s3, 0, 0
	v_mov_b32_e32 v1, 0
	v_cmp_le_u32_e32 vcc, s22, v0
	s_and_saveexec_b64 s[4:5], vcc
	s_xor_b64 s[4:5], exec, s[4:5]
	s_cbranch_execz .LBB254_4
; %bb.1:
	v_cmp_gt_u64_e32 vcc, s[2:3], v[0:1]
	s_and_saveexec_b64 s[6:7], vcc
	s_cbranch_execz .LBB254_3
; %bb.2:
	v_mov_b32_e32 v1, s23
	v_subrev_co_u32_e32 v2, vcc, s22, v0
	v_subb_co_u32_e32 v3, vcc, 0, v1, vcc
	v_lshlrev_b64 v[2:3], 2, v[2:3]
	v_mov_b32_e32 v1, s10
	v_add_co_u32_e32 v2, vcc, s9, v2
	v_addc_co_u32_e32 v3, vcc, v1, v3, vcc
	global_load_dword v1, v[2:3], off
	v_lshlrev_b32_e32 v2, 2, v0
	s_waitcnt vmcnt(0)
	ds_write_b32 v2, v1
.LBB254_3:
	s_or_b64 exec, exec, s[6:7]
.LBB254_4:
	s_or_saveexec_b64 s[4:5], s[4:5]
	v_lshlrev_b32_e32 v1, 2, v0
	s_xor_b64 exec, exec, s[4:5]
	s_cbranch_execz .LBB254_6
; %bb.5:
	global_load_dword v2, v1, s[0:1]
	s_waitcnt vmcnt(0)
	ds_write_b32 v1, v2
.LBB254_6:
	s_or_b64 exec, exec, s[4:5]
	v_or_b32_e32 v10, 0x100, v0
	v_mov_b32_e32 v11, 0
	v_cmp_le_u32_e32 vcc, s22, v10
	s_and_saveexec_b64 s[4:5], vcc
	s_xor_b64 s[4:5], exec, s[4:5]
	s_cbranch_execz .LBB254_10
; %bb.7:
	v_cmp_gt_u64_e32 vcc, s[2:3], v[10:11]
	s_and_saveexec_b64 s[6:7], vcc
	s_cbranch_execz .LBB254_9
; %bb.8:
	v_mov_b32_e32 v3, s23
	v_subrev_co_u32_e32 v2, vcc, s22, v0
	v_subb_co_u32_e32 v3, vcc, 0, v3, vcc
	v_lshlrev_b64 v[2:3], 2, v[2:3]
	v_mov_b32_e32 v4, s10
	v_add_co_u32_e32 v2, vcc, s9, v2
	v_addc_co_u32_e32 v3, vcc, v4, v3, vcc
	global_load_dword v2, v[2:3], off offset:1024
	s_waitcnt vmcnt(0)
	ds_write_b32 v1, v2 offset:1024
.LBB254_9:
	s_or_b64 exec, exec, s[6:7]
.LBB254_10:
	s_andn2_saveexec_b64 s[4:5], s[4:5]
	s_cbranch_execz .LBB254_12
; %bb.11:
	global_load_dword v2, v1, s[0:1] offset:1024
	s_waitcnt vmcnt(0)
	ds_write_b32 v1, v2 offset:1024
.LBB254_12:
	s_or_b64 exec, exec, s[4:5]
	v_or_b32_e32 v12, 0x200, v0
	v_mov_b32_e32 v13, 0
	v_cmp_le_u32_e32 vcc, s22, v12
	s_and_saveexec_b64 s[4:5], vcc
	s_xor_b64 s[4:5], exec, s[4:5]
	s_cbranch_execz .LBB254_16
; %bb.13:
	v_cmp_gt_u64_e32 vcc, s[2:3], v[12:13]
	s_and_saveexec_b64 s[6:7], vcc
	s_cbranch_execz .LBB254_15
; %bb.14:
	v_mov_b32_e32 v3, s23
	v_subrev_co_u32_e32 v2, vcc, s22, v0
	v_subb_co_u32_e32 v3, vcc, 0, v3, vcc
	v_lshlrev_b64 v[2:3], 2, v[2:3]
	v_mov_b32_e32 v4, s10
	v_add_co_u32_e32 v2, vcc, s9, v2
	v_addc_co_u32_e32 v3, vcc, v4, v3, vcc
	global_load_dword v2, v[2:3], off offset:2048
	s_waitcnt vmcnt(0)
	ds_write_b32 v1, v2 offset:2048
.LBB254_15:
	s_or_b64 exec, exec, s[6:7]
.LBB254_16:
	s_andn2_saveexec_b64 s[4:5], s[4:5]
	s_cbranch_execz .LBB254_18
; %bb.17:
	global_load_dword v2, v1, s[0:1] offset:2048
	s_waitcnt vmcnt(0)
	ds_write_b32 v1, v2 offset:2048
.LBB254_18:
	s_or_b64 exec, exec, s[4:5]
	v_or_b32_e32 v14, 0x300, v0
	v_mov_b32_e32 v15, 0
	v_cmp_le_u32_e32 vcc, s22, v14
	s_and_saveexec_b64 s[4:5], vcc
	s_xor_b64 s[4:5], exec, s[4:5]
	s_cbranch_execz .LBB254_22
; %bb.19:
	v_cmp_gt_u64_e32 vcc, s[2:3], v[14:15]
	s_and_saveexec_b64 s[6:7], vcc
	s_cbranch_execz .LBB254_21
; %bb.20:
	v_mov_b32_e32 v3, s23
	v_subrev_co_u32_e32 v2, vcc, s22, v0
	v_subb_co_u32_e32 v3, vcc, 0, v3, vcc
	v_lshlrev_b64 v[2:3], 2, v[2:3]
	v_mov_b32_e32 v4, s10
	v_add_co_u32_e32 v2, vcc, s9, v2
	v_addc_co_u32_e32 v3, vcc, v4, v3, vcc
	global_load_dword v2, v[2:3], off offset:3072
	s_waitcnt vmcnt(0)
	ds_write_b32 v1, v2 offset:3072
.LBB254_21:
	s_or_b64 exec, exec, s[6:7]
.LBB254_22:
	s_andn2_saveexec_b64 s[4:5], s[4:5]
	s_cbranch_execz .LBB254_24
; %bb.23:
	global_load_dword v2, v1, s[0:1] offset:3072
	s_waitcnt vmcnt(0)
	ds_write_b32 v1, v2 offset:3072
.LBB254_24:
	s_or_b64 exec, exec, s[4:5]
	v_or_b32_e32 v16, 0x400, v0
	v_mov_b32_e32 v17, 0
	v_cmp_le_u32_e32 vcc, s22, v16
	s_and_saveexec_b64 s[4:5], vcc
	s_xor_b64 s[4:5], exec, s[4:5]
	s_cbranch_execz .LBB254_28
; %bb.25:
	v_cmp_gt_u64_e32 vcc, s[2:3], v[16:17]
	s_and_saveexec_b64 s[6:7], vcc
	s_cbranch_execz .LBB254_27
; %bb.26:
	v_mov_b32_e32 v3, s23
	v_subrev_co_u32_e32 v2, vcc, s22, v16
	v_subb_co_u32_e32 v3, vcc, 0, v3, vcc
	v_lshlrev_b64 v[2:3], 2, v[2:3]
	v_mov_b32_e32 v4, s10
	v_add_co_u32_e32 v2, vcc, s9, v2
	v_addc_co_u32_e32 v3, vcc, v4, v3, vcc
	global_load_dword v2, v[2:3], off
	s_waitcnt vmcnt(0)
	ds_write_b32 v1, v2 offset:4096
.LBB254_27:
	s_or_b64 exec, exec, s[6:7]
.LBB254_28:
	s_andn2_saveexec_b64 s[4:5], s[4:5]
	s_cbranch_execz .LBB254_30
; %bb.29:
	v_lshlrev_b32_e32 v2, 2, v16
	global_load_dword v2, v2, s[0:1]
	s_waitcnt vmcnt(0)
	ds_write_b32 v1, v2 offset:4096
.LBB254_30:
	s_or_b64 exec, exec, s[4:5]
	v_or_b32_e32 v18, 0x500, v0
	v_mov_b32_e32 v19, 0
	v_cmp_le_u32_e32 vcc, s22, v18
	s_and_saveexec_b64 s[4:5], vcc
	s_xor_b64 s[4:5], exec, s[4:5]
	s_cbranch_execz .LBB254_34
; %bb.31:
	v_cmp_gt_u64_e32 vcc, s[2:3], v[18:19]
	s_and_saveexec_b64 s[6:7], vcc
	s_cbranch_execz .LBB254_33
; %bb.32:
	v_mov_b32_e32 v3, s23
	v_subrev_co_u32_e32 v2, vcc, s22, v18
	v_subb_co_u32_e32 v3, vcc, 0, v3, vcc
	v_lshlrev_b64 v[2:3], 2, v[2:3]
	v_mov_b32_e32 v4, s10
	v_add_co_u32_e32 v2, vcc, s9, v2
	v_addc_co_u32_e32 v3, vcc, v4, v3, vcc
	global_load_dword v2, v[2:3], off
	s_waitcnt vmcnt(0)
	ds_write_b32 v1, v2 offset:5120
.LBB254_33:
	s_or_b64 exec, exec, s[6:7]
.LBB254_34:
	s_andn2_saveexec_b64 s[4:5], s[4:5]
	s_cbranch_execz .LBB254_36
; %bb.35:
	v_lshlrev_b32_e32 v2, 2, v18
	global_load_dword v2, v2, s[0:1]
	s_waitcnt vmcnt(0)
	ds_write_b32 v1, v2 offset:5120
.LBB254_36:
	;; [unrolled: 33-line block ×6, first 2 shown]
	s_or_b64 exec, exec, s[2:3]
	v_mul_u32_u24_e32 v2, 10, v0
	v_sub_u32_e64 v13, v2, s8 clamp
	v_min_u32_e32 v3, s22, v2
	v_cmp_lt_u32_e32 vcc, v13, v3
	v_lshlrev_b32_e32 v11, 2, v2
	s_waitcnt lgkmcnt(0)
	s_barrier
	s_and_saveexec_b64 s[0:1], vcc
	s_cbranch_execz .LBB254_64
; %bb.61:
	v_lshl_add_u32 v4, s22, 2, v11
	s_mov_b64 s[2:3], 0
.LBB254_62:                             ; =>This Inner Loop Header: Depth=1
	v_add_u32_e32 v5, v3, v13
	v_lshrrev_b32_e32 v5, 1, v5
	v_not_b32_e32 v6, v5
	v_lshlrev_b32_e32 v7, 2, v5
	v_lshl_add_u32 v6, v6, 2, v4
	ds_read_b32 v7, v7
	ds_read_b32 v6, v6
	v_add_u32_e32 v8, 1, v5
	s_waitcnt lgkmcnt(0)
	v_cmp_lt_i32_e32 vcc, v6, v7
	v_cndmask_b32_e32 v3, v3, v5, vcc
	v_cndmask_b32_e32 v13, v8, v13, vcc
	v_cmp_ge_u32_e32 vcc, v13, v3
	s_or_b64 s[2:3], vcc, s[2:3]
	s_andn2_b64 exec, exec, s[2:3]
	s_cbranch_execnz .LBB254_62
; %bb.63:
	s_or_b64 exec, exec, s[2:3]
.LBB254_64:
	s_or_b64 exec, exec, s[0:1]
	v_add_u32_e32 v2, s22, v2
	s_add_i32 s23, s8, s22
	v_sub_u32_e32 v15, v2, v13
	v_cmp_ge_u32_e32 vcc, s22, v13
	v_cmp_ge_u32_e64 s[0:1], s23, v15
	s_or_b64 s[0:1], vcc, s[0:1]
                                        ; implicit-def: $vgpr31
                                        ; implicit-def: $vgpr33
                                        ; implicit-def: $vgpr29
	s_and_saveexec_b64 s[16:17], s[0:1]
                                        ; implicit-def: $vgpr6_vgpr7_vgpr8_vgpr9
                                        ; implicit-def: $vgpr2_vgpr3_vgpr4_vgpr5
	s_cbranch_execz .LBB254_70
; %bb.65:
	v_cmp_gt_u32_e32 vcc, s22, v13
                                        ; implicit-def: $vgpr2
	s_and_saveexec_b64 s[0:1], vcc
	s_cbranch_execz .LBB254_67
; %bb.66:
	v_lshlrev_b32_e32 v2, 2, v13
	ds_read_b32 v2, v2
.LBB254_67:
	s_or_b64 exec, exec, s[0:1]
	v_cmp_le_u32_e64 s[0:1], s23, v15
	v_cmp_gt_u32_e64 s[2:3], s23, v15
                                        ; implicit-def: $vgpr3
	s_and_saveexec_b64 s[4:5], s[2:3]
	s_cbranch_execz .LBB254_69
; %bb.68:
	v_lshlrev_b32_e32 v3, 2, v15
	ds_read_b32 v3, v3
.LBB254_69:
	s_or_b64 exec, exec, s[4:5]
	s_waitcnt lgkmcnt(0)
	v_cmp_ge_i32_e64 s[2:3], v3, v2
	s_and_b64 s[2:3], vcc, s[2:3]
	s_or_b64 vcc, s[0:1], s[2:3]
	v_mov_b32_e32 v5, s23
	v_mov_b32_e32 v7, s22
	v_cndmask_b32_e32 v4, v15, v13, vcc
	v_cndmask_b32_e32 v6, v5, v7, vcc
	v_add_u32_e32 v4, 1, v4
	v_add_u32_e32 v6, -1, v6
	v_min_u32_e32 v6, v4, v6
	v_lshlrev_b32_e32 v6, 2, v6
	ds_read_b32 v6, v6
	v_cndmask_b32_e32 v9, v4, v15, vcc
	v_cndmask_b32_e32 v4, v13, v4, vcc
	v_cmp_gt_u32_e64 s[2:3], s22, v4
	v_cmp_le_u32_e64 s[0:1], s23, v9
	s_waitcnt lgkmcnt(0)
	v_cndmask_b32_e32 v8, v6, v3, vcc
	v_cndmask_b32_e32 v6, v2, v6, vcc
	v_cmp_ge_i32_e64 s[4:5], v8, v6
	s_and_b64 s[2:3], s[2:3], s[4:5]
	s_or_b64 s[0:1], s[0:1], s[2:3]
	v_cndmask_b32_e64 v13, v9, v4, s[0:1]
	v_cndmask_b32_e64 v15, v5, v7, s[0:1]
	v_add_u32_e32 v13, 1, v13
	v_add_u32_e32 v15, -1, v15
	v_min_u32_e32 v15, v13, v15
	v_lshlrev_b32_e32 v15, 2, v15
	ds_read_b32 v15, v15
	v_cndmask_b32_e64 v4, v4, v13, s[0:1]
	v_cndmask_b32_e64 v9, v13, v9, s[0:1]
	v_cmp_gt_u32_e64 s[4:5], s22, v4
	v_cmp_le_u32_e64 s[2:3], s23, v9
	s_waitcnt lgkmcnt(0)
	v_cndmask_b32_e64 v17, v15, v8, s[0:1]
	v_cndmask_b32_e64 v15, v6, v15, s[0:1]
	v_cmp_ge_i32_e64 s[6:7], v17, v15
	s_and_b64 s[4:5], s[4:5], s[6:7]
	s_or_b64 s[2:3], s[2:3], s[4:5]
	v_cndmask_b32_e64 v13, v9, v4, s[2:3]
	v_cndmask_b32_e64 v19, v5, v7, s[2:3]
	v_add_u32_e32 v13, 1, v13
	v_add_u32_e32 v19, -1, v19
	v_min_u32_e32 v19, v13, v19
	v_lshlrev_b32_e32 v19, 2, v19
	ds_read_b32 v19, v19
	v_cndmask_b32_e64 v4, v4, v13, s[2:3]
	v_cndmask_b32_e64 v9, v13, v9, s[2:3]
	v_cmp_gt_u32_e64 s[6:7], s22, v4
	v_cmp_le_u32_e64 s[4:5], s23, v9
	s_waitcnt lgkmcnt(0)
	v_cndmask_b32_e64 v21, v19, v17, s[2:3]
	v_cndmask_b32_e64 v19, v15, v19, s[2:3]
	v_cmp_ge_i32_e64 s[8:9], v21, v19
	s_and_b64 s[6:7], s[6:7], s[8:9]
	s_or_b64 s[4:5], s[4:5], s[6:7]
	v_cndmask_b32_e64 v13, v9, v4, s[4:5]
	v_cndmask_b32_e64 v23, v5, v7, s[4:5]
	v_add_u32_e32 v13, 1, v13
	v_add_u32_e32 v23, -1, v23
	v_min_u32_e32 v23, v13, v23
	v_lshlrev_b32_e32 v23, 2, v23
	ds_read_b32 v23, v23
	v_cndmask_b32_e64 v4, v4, v13, s[4:5]
	v_cndmask_b32_e64 v9, v13, v9, s[4:5]
	v_cmp_gt_u32_e64 s[8:9], s22, v4
	v_cmp_le_u32_e64 s[6:7], s23, v9
	s_waitcnt lgkmcnt(0)
	v_cndmask_b32_e64 v25, v23, v21, s[4:5]
	v_cndmask_b32_e64 v23, v19, v23, s[4:5]
	v_cmp_ge_i32_e64 s[10:11], v25, v23
	s_and_b64 s[8:9], s[8:9], s[10:11]
	s_or_b64 s[6:7], s[6:7], s[8:9]
	v_cndmask_b32_e64 v13, v9, v4, s[6:7]
	v_cndmask_b32_e64 v27, v5, v7, s[6:7]
	v_add_u32_e32 v13, 1, v13
	v_add_u32_e32 v27, -1, v27
	v_min_u32_e32 v27, v13, v27
	v_lshlrev_b32_e32 v27, 2, v27
	ds_read_b32 v27, v27
	v_cndmask_b32_e64 v4, v4, v13, s[6:7]
	v_cndmask_b32_e64 v9, v13, v9, s[6:7]
	v_cmp_gt_u32_e64 s[10:11], s22, v4
	v_cmp_le_u32_e64 s[8:9], s23, v9
	s_waitcnt lgkmcnt(0)
	v_cndmask_b32_e64 v30, v27, v25, s[6:7]
	v_cndmask_b32_e64 v27, v23, v27, s[6:7]
	v_cmp_ge_i32_e64 s[12:13], v30, v27
	s_and_b64 s[10:11], s[10:11], s[12:13]
	s_or_b64 s[8:9], s[8:9], s[10:11]
	v_cndmask_b32_e64 v13, v9, v4, s[8:9]
	v_cndmask_b32_e64 v28, v5, v7, s[8:9]
	v_add_u32_e32 v13, 1, v13
	v_add_u32_e32 v28, -1, v28
	v_min_u32_e32 v28, v13, v28
	v_lshlrev_b32_e32 v28, 2, v28
	ds_read_b32 v28, v28
	v_cndmask_b32_e64 v4, v4, v13, s[8:9]
	v_cndmask_b32_e64 v9, v13, v9, s[8:9]
	v_cmp_gt_u32_e64 s[12:13], s22, v4
	v_cmp_le_u32_e64 s[10:11], s23, v9
	s_waitcnt lgkmcnt(0)
	v_cndmask_b32_e64 v31, v28, v30, s[8:9]
	v_cndmask_b32_e64 v32, v27, v28, s[8:9]
	v_cmp_ge_i32_e64 s[14:15], v31, v32
	s_and_b64 s[12:13], s[12:13], s[14:15]
	s_or_b64 s[10:11], s[10:11], s[12:13]
	v_cndmask_b32_e64 v13, v9, v4, s[10:11]
	v_cndmask_b32_e64 v28, v5, v7, s[10:11]
	v_add_u32_e32 v13, 1, v13
	v_add_u32_e32 v28, -1, v28
	v_min_u32_e32 v28, v13, v28
	v_lshlrev_b32_e32 v28, 2, v28
	ds_read_b32 v28, v28
	v_cndmask_b32_e64 v4, v4, v13, s[10:11]
	v_cndmask_b32_e64 v9, v13, v9, s[10:11]
	v_cmp_gt_u32_e64 s[12:13], s22, v4
	v_cndmask_b32_e32 v2, v3, v2, vcc
	s_waitcnt lgkmcnt(0)
	v_cndmask_b32_e64 v33, v28, v31, s[10:11]
	v_cndmask_b32_e64 v34, v32, v28, s[10:11]
	v_cmp_ge_i32_e64 s[14:15], v33, v34
	v_cmp_le_u32_e32 vcc, s23, v9
	s_and_b64 s[12:13], s[12:13], s[14:15]
	s_or_b64 vcc, vcc, s[12:13]
	v_cndmask_b32_e32 v3, v9, v4, vcc
	v_cndmask_b32_e32 v13, v5, v7, vcc
	v_add_u32_e32 v35, 1, v3
	v_add_u32_e32 v3, -1, v13
	v_min_u32_e32 v3, v35, v3
	v_lshlrev_b32_e32 v3, 2, v3
	ds_read_b32 v13, v3
	v_cndmask_b32_e64 v3, v8, v6, s[0:1]
	v_cndmask_b32_e32 v4, v4, v35, vcc
	v_cndmask_b32_e64 v28, v17, v15, s[2:3]
	v_cndmask_b32_e64 v29, v21, v19, s[4:5]
	s_waitcnt lgkmcnt(0)
	v_cndmask_b32_e32 v8, v13, v33, vcc
	v_cndmask_b32_e32 v13, v34, v13, vcc
	;; [unrolled: 1-line block ×3, first 2 shown]
	v_cmp_gt_u32_e64 s[2:3], s22, v4
	v_cmp_ge_i32_e64 s[4:5], v8, v13
	v_cmp_le_u32_e64 s[0:1], s23, v9
	s_and_b64 s[2:3], s[2:3], s[4:5]
	s_or_b64 s[0:1], s[0:1], s[2:3]
	v_cndmask_b32_e64 v15, v9, v4, s[0:1]
	v_cndmask_b32_e64 v5, v5, v7, s[0:1]
	v_add_u32_e32 v15, 1, v15
	v_add_u32_e32 v5, -1, v5
	v_min_u32_e32 v5, v15, v5
	v_lshlrev_b32_e32 v5, 2, v5
	ds_read_b32 v5, v5
	v_cndmask_b32_e64 v7, v30, v27, s[8:9]
	v_cndmask_b32_e64 v30, v8, v13, s[0:1]
	;; [unrolled: 1-line block ×4, first 2 shown]
	s_waitcnt lgkmcnt(0)
	v_cndmask_b32_e64 v8, v5, v8, s[0:1]
	v_cndmask_b32_e64 v5, v13, v5, s[0:1]
	v_cmp_gt_u32_e64 s[0:1], s22, v4
	v_cmp_ge_i32_e64 s[2:3], v8, v5
	v_cndmask_b32_e32 v33, v33, v34, vcc
	v_cmp_le_u32_e32 vcc, s23, v9
	s_and_b64 s[0:1], s[0:1], s[2:3]
	s_or_b64 vcc, vcc, s[0:1]
	v_cndmask_b32_e64 v6, v25, v23, s[6:7]
	v_cndmask_b32_e64 v32, v31, v32, s[10:11]
	v_cndmask_b32_e32 v31, v8, v5, vcc
.LBB254_70:
	s_or_b64 exec, exec, s[16:17]
	s_sub_i32 s6, s21, s20
	s_mov_b32 s21, 0
	s_lshl_b64 s[0:1], s[20:21], 2
	s_add_u32 s0, s18, s0
	s_addc_u32 s1, s19, s1
	s_cmpk_gt_u32 s6, 0x9ff
	s_barrier
	ds_write2_b64 v11, v[2:3], v[28:29] offset1:1
	ds_write2_b64 v11, v[6:7], v[32:33] offset0:2 offset1:3
	ds_write_b64 v11, v[30:31] offset:32
	s_waitcnt lgkmcnt(0)
	s_cbranch_scc0 .LBB254_72
; %bb.71:
	s_movk_i32 s2, 0xffdc
	v_mad_i32_i24 v2, v0, s2, v11
	s_barrier
	ds_read2st64_b32 v[4:5], v2 offset1:4
	ds_read2st64_b32 v[6:7], v2 offset0:8 offset1:12
	ds_read2st64_b32 v[8:9], v2 offset0:16 offset1:20
	;; [unrolled: 1-line block ×4, first 2 shown]
	v_mov_b32_e32 v13, s1
	v_add_co_u32_e32 v15, vcc, s0, v1
	v_addc_co_u32_e32 v13, vcc, 0, v13, vcc
	s_movk_i32 s2, 0x1000
	s_waitcnt lgkmcnt(4)
	global_store_dword v1, v4, s[0:1]
	global_store_dword v1, v5, s[0:1] offset:1024
	s_waitcnt lgkmcnt(3)
	global_store_dword v1, v6, s[0:1] offset:2048
	global_store_dword v1, v7, s[0:1] offset:3072
	v_add_co_u32_e32 v4, vcc, s2, v15
	v_addc_co_u32_e32 v5, vcc, 0, v13, vcc
	s_waitcnt lgkmcnt(2)
	global_store_dword v[4:5], v8, off
	global_store_dword v[4:5], v9, off offset:1024
	s_waitcnt lgkmcnt(1)
	global_store_dword v[4:5], v28, off offset:2048
	global_store_dword v[4:5], v29, off offset:3072
	v_add_co_u32_e32 v4, vcc, 0x2000, v15
	v_addc_co_u32_e32 v5, vcc, 0, v13, vcc
	s_waitcnt lgkmcnt(0)
	global_store_dword v[4:5], v2, off
	s_mov_b64 s[2:3], -1
	s_cbranch_execz .LBB254_73
	s_branch .LBB254_84
.LBB254_72:
	s_mov_b64 s[2:3], 0
                                        ; implicit-def: $vgpr3
.LBB254_73:
	s_movk_i32 s2, 0xffdc
	v_mad_i32_i24 v2, v0, s2, v11
	s_barrier
	ds_read2st64_b32 v[30:31], v2 offset0:4 offset1:8
	ds_read2st64_b32 v[28:29], v2 offset0:12 offset1:16
	;; [unrolled: 1-line block ×4, first 2 shown]
	ds_read_b32 v3, v2 offset:9216
	v_mov_b32_e32 v2, s1
	v_add_co_u32_e32 v6, vcc, s0, v1
	v_addc_co_u32_e32 v7, vcc, 0, v2, vcc
	v_cmp_gt_u32_e32 vcc, s6, v0
	s_and_saveexec_b64 s[2:3], vcc
	s_cbranch_execnz .LBB254_87
; %bb.74:
	s_or_b64 exec, exec, s[2:3]
	v_cmp_gt_u32_e32 vcc, s6, v10
	s_and_saveexec_b64 s[2:3], vcc
	s_cbranch_execnz .LBB254_88
.LBB254_75:
	s_or_b64 exec, exec, s[2:3]
	v_cmp_gt_u32_e32 vcc, s6, v12
	s_and_saveexec_b64 s[2:3], vcc
	s_cbranch_execnz .LBB254_89
.LBB254_76:
	s_or_b64 exec, exec, s[2:3]
	v_cmp_gt_u32_e32 vcc, s6, v14
	s_and_saveexec_b64 s[2:3], vcc
	s_cbranch_execnz .LBB254_90
.LBB254_77:
	s_or_b64 exec, exec, s[2:3]
	v_cmp_gt_u32_e32 vcc, s6, v16
	s_and_saveexec_b64 s[2:3], vcc
	s_cbranch_execnz .LBB254_91
.LBB254_78:
	s_or_b64 exec, exec, s[2:3]
	v_cmp_gt_u32_e32 vcc, s6, v18
	s_and_saveexec_b64 s[2:3], vcc
	s_cbranch_execnz .LBB254_92
.LBB254_79:
	s_or_b64 exec, exec, s[2:3]
	v_cmp_gt_u32_e32 vcc, s6, v20
	s_and_saveexec_b64 s[2:3], vcc
	s_cbranch_execnz .LBB254_93
.LBB254_80:
	s_or_b64 exec, exec, s[2:3]
	v_cmp_gt_u32_e32 vcc, s6, v22
	s_and_saveexec_b64 s[2:3], vcc
	s_cbranch_execnz .LBB254_94
.LBB254_81:
	s_or_b64 exec, exec, s[2:3]
	v_cmp_gt_u32_e32 vcc, s6, v24
	s_and_saveexec_b64 s[2:3], vcc
	s_cbranch_execz .LBB254_83
.LBB254_82:
	v_add_co_u32_e32 v6, vcc, 0x2000, v6
	v_addc_co_u32_e32 v7, vcc, 0, v7, vcc
	s_waitcnt lgkmcnt(1)
	global_store_dword v[6:7], v5, off
.LBB254_83:
	s_or_b64 exec, exec, s[2:3]
	v_cmp_gt_u32_e64 s[2:3], s6, v26
.LBB254_84:
	s_and_saveexec_b64 s[4:5], s[2:3]
	s_cbranch_execnz .LBB254_86
; %bb.85:
	s_endpgm
.LBB254_86:
	v_mov_b32_e32 v0, s1
	v_add_co_u32_e32 v1, vcc, s0, v1
	v_addc_co_u32_e32 v2, vcc, 0, v0, vcc
	v_add_co_u32_e32 v0, vcc, 0x2000, v1
	v_addc_co_u32_e32 v1, vcc, 0, v2, vcc
	s_waitcnt lgkmcnt(0)
	global_store_dword v[0:1], v3, off offset:1024
	s_endpgm
.LBB254_87:
	v_mul_i32_i24_e32 v0, 0xffffffdc, v0
	v_add_u32_e32 v0, v11, v0
	ds_read_b32 v0, v0
	s_waitcnt lgkmcnt(0)
	global_store_dword v[6:7], v0, off
	s_or_b64 exec, exec, s[2:3]
	v_cmp_gt_u32_e32 vcc, s6, v10
	s_and_saveexec_b64 s[2:3], vcc
	s_cbranch_execz .LBB254_75
.LBB254_88:
	s_waitcnt lgkmcnt(4)
	global_store_dword v[6:7], v30, off offset:1024
	s_or_b64 exec, exec, s[2:3]
	v_cmp_gt_u32_e32 vcc, s6, v12
	s_and_saveexec_b64 s[2:3], vcc
	s_cbranch_execz .LBB254_76
.LBB254_89:
	s_waitcnt lgkmcnt(4)
	global_store_dword v[6:7], v31, off offset:2048
	s_or_b64 exec, exec, s[2:3]
	v_cmp_gt_u32_e32 vcc, s6, v14
	s_and_saveexec_b64 s[2:3], vcc
	s_cbranch_execz .LBB254_77
.LBB254_90:
	s_waitcnt lgkmcnt(3)
	global_store_dword v[6:7], v28, off offset:3072
	s_or_b64 exec, exec, s[2:3]
	v_cmp_gt_u32_e32 vcc, s6, v16
	s_and_saveexec_b64 s[2:3], vcc
	s_cbranch_execz .LBB254_78
.LBB254_91:
	v_add_co_u32_e32 v10, vcc, 0x1000, v6
	v_addc_co_u32_e32 v11, vcc, 0, v7, vcc
	s_waitcnt lgkmcnt(3)
	global_store_dword v[10:11], v29, off
	s_or_b64 exec, exec, s[2:3]
	v_cmp_gt_u32_e32 vcc, s6, v18
	s_and_saveexec_b64 s[2:3], vcc
	s_cbranch_execz .LBB254_79
.LBB254_92:
	v_add_co_u32_e32 v10, vcc, 0x1000, v6
	v_addc_co_u32_e32 v11, vcc, 0, v7, vcc
	s_waitcnt lgkmcnt(2)
	global_store_dword v[10:11], v8, off offset:1024
	s_or_b64 exec, exec, s[2:3]
	v_cmp_gt_u32_e32 vcc, s6, v20
	s_and_saveexec_b64 s[2:3], vcc
	s_cbranch_execz .LBB254_80
.LBB254_93:
	v_add_co_u32_e32 v10, vcc, 0x1000, v6
	v_addc_co_u32_e32 v11, vcc, 0, v7, vcc
	s_waitcnt lgkmcnt(2)
	global_store_dword v[10:11], v9, off offset:2048
	s_or_b64 exec, exec, s[2:3]
	v_cmp_gt_u32_e32 vcc, s6, v22
	s_and_saveexec_b64 s[2:3], vcc
	s_cbranch_execz .LBB254_81
.LBB254_94:
	s_waitcnt lgkmcnt(2)
	v_add_co_u32_e32 v8, vcc, 0x1000, v6
	v_addc_co_u32_e32 v9, vcc, 0, v7, vcc
	s_waitcnt lgkmcnt(1)
	global_store_dword v[8:9], v4, off offset:3072
	s_or_b64 exec, exec, s[2:3]
	v_cmp_gt_u32_e32 vcc, s6, v24
	s_and_saveexec_b64 s[2:3], vcc
	s_cbranch_execnz .LBB254_82
	s_branch .LBB254_83
	.section	.rodata,"a",@progbits
	.p2align	6, 0x0
	.amdhsa_kernel _ZN7rocprim17ROCPRIM_400000_NS6detail17trampoline_kernelINS0_14default_configENS1_21merge_config_selectorIiNS0_10empty_typeEEEZNS1_10merge_implIS3_N6thrust23THRUST_200600_302600_NS6detail15normal_iteratorINS9_10device_ptrIKiEEEESF_NSB_INSC_IiEEEEPS5_SI_SI_NS9_4lessIiEEEE10hipError_tPvRmT0_T1_T2_T3_T4_T5_mmT6_P12ihipStream_tbEUlT_E0_NS1_11comp_targetILNS1_3genE4ELNS1_11target_archE910ELNS1_3gpuE8ELNS1_3repE0EEENS1_30default_config_static_selectorELNS0_4arch9wavefront6targetE1EEEvSP_
		.amdhsa_group_segment_fixed_size 10256
		.amdhsa_private_segment_fixed_size 0
		.amdhsa_kernarg_size 88
		.amdhsa_user_sgpr_count 6
		.amdhsa_user_sgpr_private_segment_buffer 1
		.amdhsa_user_sgpr_dispatch_ptr 0
		.amdhsa_user_sgpr_queue_ptr 0
		.amdhsa_user_sgpr_kernarg_segment_ptr 1
		.amdhsa_user_sgpr_dispatch_id 0
		.amdhsa_user_sgpr_flat_scratch_init 0
		.amdhsa_user_sgpr_kernarg_preload_length 0
		.amdhsa_user_sgpr_kernarg_preload_offset 0
		.amdhsa_user_sgpr_private_segment_size 0
		.amdhsa_uses_dynamic_stack 0
		.amdhsa_system_sgpr_private_segment_wavefront_offset 0
		.amdhsa_system_sgpr_workgroup_id_x 1
		.amdhsa_system_sgpr_workgroup_id_y 0
		.amdhsa_system_sgpr_workgroup_id_z 0
		.amdhsa_system_sgpr_workgroup_info 0
		.amdhsa_system_vgpr_workitem_id 0
		.amdhsa_next_free_vgpr 36
		.amdhsa_next_free_sgpr 24
		.amdhsa_accum_offset 36
		.amdhsa_reserve_vcc 1
		.amdhsa_reserve_flat_scratch 0
		.amdhsa_float_round_mode_32 0
		.amdhsa_float_round_mode_16_64 0
		.amdhsa_float_denorm_mode_32 3
		.amdhsa_float_denorm_mode_16_64 3
		.amdhsa_dx10_clamp 1
		.amdhsa_ieee_mode 1
		.amdhsa_fp16_overflow 0
		.amdhsa_tg_split 0
		.amdhsa_exception_fp_ieee_invalid_op 0
		.amdhsa_exception_fp_denorm_src 0
		.amdhsa_exception_fp_ieee_div_zero 0
		.amdhsa_exception_fp_ieee_overflow 0
		.amdhsa_exception_fp_ieee_underflow 0
		.amdhsa_exception_fp_ieee_inexact 0
		.amdhsa_exception_int_div_zero 0
	.end_amdhsa_kernel
	.section	.text._ZN7rocprim17ROCPRIM_400000_NS6detail17trampoline_kernelINS0_14default_configENS1_21merge_config_selectorIiNS0_10empty_typeEEEZNS1_10merge_implIS3_N6thrust23THRUST_200600_302600_NS6detail15normal_iteratorINS9_10device_ptrIKiEEEESF_NSB_INSC_IiEEEEPS5_SI_SI_NS9_4lessIiEEEE10hipError_tPvRmT0_T1_T2_T3_T4_T5_mmT6_P12ihipStream_tbEUlT_E0_NS1_11comp_targetILNS1_3genE4ELNS1_11target_archE910ELNS1_3gpuE8ELNS1_3repE0EEENS1_30default_config_static_selectorELNS0_4arch9wavefront6targetE1EEEvSP_,"axG",@progbits,_ZN7rocprim17ROCPRIM_400000_NS6detail17trampoline_kernelINS0_14default_configENS1_21merge_config_selectorIiNS0_10empty_typeEEEZNS1_10merge_implIS3_N6thrust23THRUST_200600_302600_NS6detail15normal_iteratorINS9_10device_ptrIKiEEEESF_NSB_INSC_IiEEEEPS5_SI_SI_NS9_4lessIiEEEE10hipError_tPvRmT0_T1_T2_T3_T4_T5_mmT6_P12ihipStream_tbEUlT_E0_NS1_11comp_targetILNS1_3genE4ELNS1_11target_archE910ELNS1_3gpuE8ELNS1_3repE0EEENS1_30default_config_static_selectorELNS0_4arch9wavefront6targetE1EEEvSP_,comdat
.Lfunc_end254:
	.size	_ZN7rocprim17ROCPRIM_400000_NS6detail17trampoline_kernelINS0_14default_configENS1_21merge_config_selectorIiNS0_10empty_typeEEEZNS1_10merge_implIS3_N6thrust23THRUST_200600_302600_NS6detail15normal_iteratorINS9_10device_ptrIKiEEEESF_NSB_INSC_IiEEEEPS5_SI_SI_NS9_4lessIiEEEE10hipError_tPvRmT0_T1_T2_T3_T4_T5_mmT6_P12ihipStream_tbEUlT_E0_NS1_11comp_targetILNS1_3genE4ELNS1_11target_archE910ELNS1_3gpuE8ELNS1_3repE0EEENS1_30default_config_static_selectorELNS0_4arch9wavefront6targetE1EEEvSP_, .Lfunc_end254-_ZN7rocprim17ROCPRIM_400000_NS6detail17trampoline_kernelINS0_14default_configENS1_21merge_config_selectorIiNS0_10empty_typeEEEZNS1_10merge_implIS3_N6thrust23THRUST_200600_302600_NS6detail15normal_iteratorINS9_10device_ptrIKiEEEESF_NSB_INSC_IiEEEEPS5_SI_SI_NS9_4lessIiEEEE10hipError_tPvRmT0_T1_T2_T3_T4_T5_mmT6_P12ihipStream_tbEUlT_E0_NS1_11comp_targetILNS1_3genE4ELNS1_11target_archE910ELNS1_3gpuE8ELNS1_3repE0EEENS1_30default_config_static_selectorELNS0_4arch9wavefront6targetE1EEEvSP_
                                        ; -- End function
	.section	.AMDGPU.csdata,"",@progbits
; Kernel info:
; codeLenInByte = 3580
; NumSgprs: 28
; NumVgprs: 36
; NumAgprs: 0
; TotalNumVgprs: 36
; ScratchSize: 0
; MemoryBound: 0
; FloatMode: 240
; IeeeMode: 1
; LDSByteSize: 10256 bytes/workgroup (compile time only)
; SGPRBlocks: 3
; VGPRBlocks: 4
; NumSGPRsForWavesPerEU: 28
; NumVGPRsForWavesPerEU: 36
; AccumOffset: 36
; Occupancy: 6
; WaveLimiterHint : 1
; COMPUTE_PGM_RSRC2:SCRATCH_EN: 0
; COMPUTE_PGM_RSRC2:USER_SGPR: 6
; COMPUTE_PGM_RSRC2:TRAP_HANDLER: 0
; COMPUTE_PGM_RSRC2:TGID_X_EN: 1
; COMPUTE_PGM_RSRC2:TGID_Y_EN: 0
; COMPUTE_PGM_RSRC2:TGID_Z_EN: 0
; COMPUTE_PGM_RSRC2:TIDIG_COMP_CNT: 0
; COMPUTE_PGM_RSRC3_GFX90A:ACCUM_OFFSET: 8
; COMPUTE_PGM_RSRC3_GFX90A:TG_SPLIT: 0
	.section	.text._ZN7rocprim17ROCPRIM_400000_NS6detail17trampoline_kernelINS0_14default_configENS1_21merge_config_selectorIiNS0_10empty_typeEEEZNS1_10merge_implIS3_N6thrust23THRUST_200600_302600_NS6detail15normal_iteratorINS9_10device_ptrIKiEEEESF_NSB_INSC_IiEEEEPS5_SI_SI_NS9_4lessIiEEEE10hipError_tPvRmT0_T1_T2_T3_T4_T5_mmT6_P12ihipStream_tbEUlT_E0_NS1_11comp_targetILNS1_3genE3ELNS1_11target_archE908ELNS1_3gpuE7ELNS1_3repE0EEENS1_30default_config_static_selectorELNS0_4arch9wavefront6targetE1EEEvSP_,"axG",@progbits,_ZN7rocprim17ROCPRIM_400000_NS6detail17trampoline_kernelINS0_14default_configENS1_21merge_config_selectorIiNS0_10empty_typeEEEZNS1_10merge_implIS3_N6thrust23THRUST_200600_302600_NS6detail15normal_iteratorINS9_10device_ptrIKiEEEESF_NSB_INSC_IiEEEEPS5_SI_SI_NS9_4lessIiEEEE10hipError_tPvRmT0_T1_T2_T3_T4_T5_mmT6_P12ihipStream_tbEUlT_E0_NS1_11comp_targetILNS1_3genE3ELNS1_11target_archE908ELNS1_3gpuE7ELNS1_3repE0EEENS1_30default_config_static_selectorELNS0_4arch9wavefront6targetE1EEEvSP_,comdat
	.protected	_ZN7rocprim17ROCPRIM_400000_NS6detail17trampoline_kernelINS0_14default_configENS1_21merge_config_selectorIiNS0_10empty_typeEEEZNS1_10merge_implIS3_N6thrust23THRUST_200600_302600_NS6detail15normal_iteratorINS9_10device_ptrIKiEEEESF_NSB_INSC_IiEEEEPS5_SI_SI_NS9_4lessIiEEEE10hipError_tPvRmT0_T1_T2_T3_T4_T5_mmT6_P12ihipStream_tbEUlT_E0_NS1_11comp_targetILNS1_3genE3ELNS1_11target_archE908ELNS1_3gpuE7ELNS1_3repE0EEENS1_30default_config_static_selectorELNS0_4arch9wavefront6targetE1EEEvSP_ ; -- Begin function _ZN7rocprim17ROCPRIM_400000_NS6detail17trampoline_kernelINS0_14default_configENS1_21merge_config_selectorIiNS0_10empty_typeEEEZNS1_10merge_implIS3_N6thrust23THRUST_200600_302600_NS6detail15normal_iteratorINS9_10device_ptrIKiEEEESF_NSB_INSC_IiEEEEPS5_SI_SI_NS9_4lessIiEEEE10hipError_tPvRmT0_T1_T2_T3_T4_T5_mmT6_P12ihipStream_tbEUlT_E0_NS1_11comp_targetILNS1_3genE3ELNS1_11target_archE908ELNS1_3gpuE7ELNS1_3repE0EEENS1_30default_config_static_selectorELNS0_4arch9wavefront6targetE1EEEvSP_
	.globl	_ZN7rocprim17ROCPRIM_400000_NS6detail17trampoline_kernelINS0_14default_configENS1_21merge_config_selectorIiNS0_10empty_typeEEEZNS1_10merge_implIS3_N6thrust23THRUST_200600_302600_NS6detail15normal_iteratorINS9_10device_ptrIKiEEEESF_NSB_INSC_IiEEEEPS5_SI_SI_NS9_4lessIiEEEE10hipError_tPvRmT0_T1_T2_T3_T4_T5_mmT6_P12ihipStream_tbEUlT_E0_NS1_11comp_targetILNS1_3genE3ELNS1_11target_archE908ELNS1_3gpuE7ELNS1_3repE0EEENS1_30default_config_static_selectorELNS0_4arch9wavefront6targetE1EEEvSP_
	.p2align	8
	.type	_ZN7rocprim17ROCPRIM_400000_NS6detail17trampoline_kernelINS0_14default_configENS1_21merge_config_selectorIiNS0_10empty_typeEEEZNS1_10merge_implIS3_N6thrust23THRUST_200600_302600_NS6detail15normal_iteratorINS9_10device_ptrIKiEEEESF_NSB_INSC_IiEEEEPS5_SI_SI_NS9_4lessIiEEEE10hipError_tPvRmT0_T1_T2_T3_T4_T5_mmT6_P12ihipStream_tbEUlT_E0_NS1_11comp_targetILNS1_3genE3ELNS1_11target_archE908ELNS1_3gpuE7ELNS1_3repE0EEENS1_30default_config_static_selectorELNS0_4arch9wavefront6targetE1EEEvSP_,@function
_ZN7rocprim17ROCPRIM_400000_NS6detail17trampoline_kernelINS0_14default_configENS1_21merge_config_selectorIiNS0_10empty_typeEEEZNS1_10merge_implIS3_N6thrust23THRUST_200600_302600_NS6detail15normal_iteratorINS9_10device_ptrIKiEEEESF_NSB_INSC_IiEEEEPS5_SI_SI_NS9_4lessIiEEEE10hipError_tPvRmT0_T1_T2_T3_T4_T5_mmT6_P12ihipStream_tbEUlT_E0_NS1_11comp_targetILNS1_3genE3ELNS1_11target_archE908ELNS1_3gpuE7ELNS1_3repE0EEENS1_30default_config_static_selectorELNS0_4arch9wavefront6targetE1EEEvSP_: ; @_ZN7rocprim17ROCPRIM_400000_NS6detail17trampoline_kernelINS0_14default_configENS1_21merge_config_selectorIiNS0_10empty_typeEEEZNS1_10merge_implIS3_N6thrust23THRUST_200600_302600_NS6detail15normal_iteratorINS9_10device_ptrIKiEEEESF_NSB_INSC_IiEEEEPS5_SI_SI_NS9_4lessIiEEEE10hipError_tPvRmT0_T1_T2_T3_T4_T5_mmT6_P12ihipStream_tbEUlT_E0_NS1_11comp_targetILNS1_3genE3ELNS1_11target_archE908ELNS1_3gpuE7ELNS1_3repE0EEENS1_30default_config_static_selectorELNS0_4arch9wavefront6targetE1EEEvSP_
; %bb.0:
	.section	.rodata,"a",@progbits
	.p2align	6, 0x0
	.amdhsa_kernel _ZN7rocprim17ROCPRIM_400000_NS6detail17trampoline_kernelINS0_14default_configENS1_21merge_config_selectorIiNS0_10empty_typeEEEZNS1_10merge_implIS3_N6thrust23THRUST_200600_302600_NS6detail15normal_iteratorINS9_10device_ptrIKiEEEESF_NSB_INSC_IiEEEEPS5_SI_SI_NS9_4lessIiEEEE10hipError_tPvRmT0_T1_T2_T3_T4_T5_mmT6_P12ihipStream_tbEUlT_E0_NS1_11comp_targetILNS1_3genE3ELNS1_11target_archE908ELNS1_3gpuE7ELNS1_3repE0EEENS1_30default_config_static_selectorELNS0_4arch9wavefront6targetE1EEEvSP_
		.amdhsa_group_segment_fixed_size 0
		.amdhsa_private_segment_fixed_size 0
		.amdhsa_kernarg_size 88
		.amdhsa_user_sgpr_count 6
		.amdhsa_user_sgpr_private_segment_buffer 1
		.amdhsa_user_sgpr_dispatch_ptr 0
		.amdhsa_user_sgpr_queue_ptr 0
		.amdhsa_user_sgpr_kernarg_segment_ptr 1
		.amdhsa_user_sgpr_dispatch_id 0
		.amdhsa_user_sgpr_flat_scratch_init 0
		.amdhsa_user_sgpr_kernarg_preload_length 0
		.amdhsa_user_sgpr_kernarg_preload_offset 0
		.amdhsa_user_sgpr_private_segment_size 0
		.amdhsa_uses_dynamic_stack 0
		.amdhsa_system_sgpr_private_segment_wavefront_offset 0
		.amdhsa_system_sgpr_workgroup_id_x 1
		.amdhsa_system_sgpr_workgroup_id_y 0
		.amdhsa_system_sgpr_workgroup_id_z 0
		.amdhsa_system_sgpr_workgroup_info 0
		.amdhsa_system_vgpr_workitem_id 0
		.amdhsa_next_free_vgpr 1
		.amdhsa_next_free_sgpr 0
		.amdhsa_accum_offset 4
		.amdhsa_reserve_vcc 0
		.amdhsa_reserve_flat_scratch 0
		.amdhsa_float_round_mode_32 0
		.amdhsa_float_round_mode_16_64 0
		.amdhsa_float_denorm_mode_32 3
		.amdhsa_float_denorm_mode_16_64 3
		.amdhsa_dx10_clamp 1
		.amdhsa_ieee_mode 1
		.amdhsa_fp16_overflow 0
		.amdhsa_tg_split 0
		.amdhsa_exception_fp_ieee_invalid_op 0
		.amdhsa_exception_fp_denorm_src 0
		.amdhsa_exception_fp_ieee_div_zero 0
		.amdhsa_exception_fp_ieee_overflow 0
		.amdhsa_exception_fp_ieee_underflow 0
		.amdhsa_exception_fp_ieee_inexact 0
		.amdhsa_exception_int_div_zero 0
	.end_amdhsa_kernel
	.section	.text._ZN7rocprim17ROCPRIM_400000_NS6detail17trampoline_kernelINS0_14default_configENS1_21merge_config_selectorIiNS0_10empty_typeEEEZNS1_10merge_implIS3_N6thrust23THRUST_200600_302600_NS6detail15normal_iteratorINS9_10device_ptrIKiEEEESF_NSB_INSC_IiEEEEPS5_SI_SI_NS9_4lessIiEEEE10hipError_tPvRmT0_T1_T2_T3_T4_T5_mmT6_P12ihipStream_tbEUlT_E0_NS1_11comp_targetILNS1_3genE3ELNS1_11target_archE908ELNS1_3gpuE7ELNS1_3repE0EEENS1_30default_config_static_selectorELNS0_4arch9wavefront6targetE1EEEvSP_,"axG",@progbits,_ZN7rocprim17ROCPRIM_400000_NS6detail17trampoline_kernelINS0_14default_configENS1_21merge_config_selectorIiNS0_10empty_typeEEEZNS1_10merge_implIS3_N6thrust23THRUST_200600_302600_NS6detail15normal_iteratorINS9_10device_ptrIKiEEEESF_NSB_INSC_IiEEEEPS5_SI_SI_NS9_4lessIiEEEE10hipError_tPvRmT0_T1_T2_T3_T4_T5_mmT6_P12ihipStream_tbEUlT_E0_NS1_11comp_targetILNS1_3genE3ELNS1_11target_archE908ELNS1_3gpuE7ELNS1_3repE0EEENS1_30default_config_static_selectorELNS0_4arch9wavefront6targetE1EEEvSP_,comdat
.Lfunc_end255:
	.size	_ZN7rocprim17ROCPRIM_400000_NS6detail17trampoline_kernelINS0_14default_configENS1_21merge_config_selectorIiNS0_10empty_typeEEEZNS1_10merge_implIS3_N6thrust23THRUST_200600_302600_NS6detail15normal_iteratorINS9_10device_ptrIKiEEEESF_NSB_INSC_IiEEEEPS5_SI_SI_NS9_4lessIiEEEE10hipError_tPvRmT0_T1_T2_T3_T4_T5_mmT6_P12ihipStream_tbEUlT_E0_NS1_11comp_targetILNS1_3genE3ELNS1_11target_archE908ELNS1_3gpuE7ELNS1_3repE0EEENS1_30default_config_static_selectorELNS0_4arch9wavefront6targetE1EEEvSP_, .Lfunc_end255-_ZN7rocprim17ROCPRIM_400000_NS6detail17trampoline_kernelINS0_14default_configENS1_21merge_config_selectorIiNS0_10empty_typeEEEZNS1_10merge_implIS3_N6thrust23THRUST_200600_302600_NS6detail15normal_iteratorINS9_10device_ptrIKiEEEESF_NSB_INSC_IiEEEEPS5_SI_SI_NS9_4lessIiEEEE10hipError_tPvRmT0_T1_T2_T3_T4_T5_mmT6_P12ihipStream_tbEUlT_E0_NS1_11comp_targetILNS1_3genE3ELNS1_11target_archE908ELNS1_3gpuE7ELNS1_3repE0EEENS1_30default_config_static_selectorELNS0_4arch9wavefront6targetE1EEEvSP_
                                        ; -- End function
	.section	.AMDGPU.csdata,"",@progbits
; Kernel info:
; codeLenInByte = 0
; NumSgprs: 4
; NumVgprs: 0
; NumAgprs: 0
; TotalNumVgprs: 0
; ScratchSize: 0
; MemoryBound: 0
; FloatMode: 240
; IeeeMode: 1
; LDSByteSize: 0 bytes/workgroup (compile time only)
; SGPRBlocks: 0
; VGPRBlocks: 0
; NumSGPRsForWavesPerEU: 4
; NumVGPRsForWavesPerEU: 1
; AccumOffset: 4
; Occupancy: 8
; WaveLimiterHint : 0
; COMPUTE_PGM_RSRC2:SCRATCH_EN: 0
; COMPUTE_PGM_RSRC2:USER_SGPR: 6
; COMPUTE_PGM_RSRC2:TRAP_HANDLER: 0
; COMPUTE_PGM_RSRC2:TGID_X_EN: 1
; COMPUTE_PGM_RSRC2:TGID_Y_EN: 0
; COMPUTE_PGM_RSRC2:TGID_Z_EN: 0
; COMPUTE_PGM_RSRC2:TIDIG_COMP_CNT: 0
; COMPUTE_PGM_RSRC3_GFX90A:ACCUM_OFFSET: 0
; COMPUTE_PGM_RSRC3_GFX90A:TG_SPLIT: 0
	.section	.text._ZN7rocprim17ROCPRIM_400000_NS6detail17trampoline_kernelINS0_14default_configENS1_21merge_config_selectorIiNS0_10empty_typeEEEZNS1_10merge_implIS3_N6thrust23THRUST_200600_302600_NS6detail15normal_iteratorINS9_10device_ptrIKiEEEESF_NSB_INSC_IiEEEEPS5_SI_SI_NS9_4lessIiEEEE10hipError_tPvRmT0_T1_T2_T3_T4_T5_mmT6_P12ihipStream_tbEUlT_E0_NS1_11comp_targetILNS1_3genE2ELNS1_11target_archE906ELNS1_3gpuE6ELNS1_3repE0EEENS1_30default_config_static_selectorELNS0_4arch9wavefront6targetE1EEEvSP_,"axG",@progbits,_ZN7rocprim17ROCPRIM_400000_NS6detail17trampoline_kernelINS0_14default_configENS1_21merge_config_selectorIiNS0_10empty_typeEEEZNS1_10merge_implIS3_N6thrust23THRUST_200600_302600_NS6detail15normal_iteratorINS9_10device_ptrIKiEEEESF_NSB_INSC_IiEEEEPS5_SI_SI_NS9_4lessIiEEEE10hipError_tPvRmT0_T1_T2_T3_T4_T5_mmT6_P12ihipStream_tbEUlT_E0_NS1_11comp_targetILNS1_3genE2ELNS1_11target_archE906ELNS1_3gpuE6ELNS1_3repE0EEENS1_30default_config_static_selectorELNS0_4arch9wavefront6targetE1EEEvSP_,comdat
	.protected	_ZN7rocprim17ROCPRIM_400000_NS6detail17trampoline_kernelINS0_14default_configENS1_21merge_config_selectorIiNS0_10empty_typeEEEZNS1_10merge_implIS3_N6thrust23THRUST_200600_302600_NS6detail15normal_iteratorINS9_10device_ptrIKiEEEESF_NSB_INSC_IiEEEEPS5_SI_SI_NS9_4lessIiEEEE10hipError_tPvRmT0_T1_T2_T3_T4_T5_mmT6_P12ihipStream_tbEUlT_E0_NS1_11comp_targetILNS1_3genE2ELNS1_11target_archE906ELNS1_3gpuE6ELNS1_3repE0EEENS1_30default_config_static_selectorELNS0_4arch9wavefront6targetE1EEEvSP_ ; -- Begin function _ZN7rocprim17ROCPRIM_400000_NS6detail17trampoline_kernelINS0_14default_configENS1_21merge_config_selectorIiNS0_10empty_typeEEEZNS1_10merge_implIS3_N6thrust23THRUST_200600_302600_NS6detail15normal_iteratorINS9_10device_ptrIKiEEEESF_NSB_INSC_IiEEEEPS5_SI_SI_NS9_4lessIiEEEE10hipError_tPvRmT0_T1_T2_T3_T4_T5_mmT6_P12ihipStream_tbEUlT_E0_NS1_11comp_targetILNS1_3genE2ELNS1_11target_archE906ELNS1_3gpuE6ELNS1_3repE0EEENS1_30default_config_static_selectorELNS0_4arch9wavefront6targetE1EEEvSP_
	.globl	_ZN7rocprim17ROCPRIM_400000_NS6detail17trampoline_kernelINS0_14default_configENS1_21merge_config_selectorIiNS0_10empty_typeEEEZNS1_10merge_implIS3_N6thrust23THRUST_200600_302600_NS6detail15normal_iteratorINS9_10device_ptrIKiEEEESF_NSB_INSC_IiEEEEPS5_SI_SI_NS9_4lessIiEEEE10hipError_tPvRmT0_T1_T2_T3_T4_T5_mmT6_P12ihipStream_tbEUlT_E0_NS1_11comp_targetILNS1_3genE2ELNS1_11target_archE906ELNS1_3gpuE6ELNS1_3repE0EEENS1_30default_config_static_selectorELNS0_4arch9wavefront6targetE1EEEvSP_
	.p2align	8
	.type	_ZN7rocprim17ROCPRIM_400000_NS6detail17trampoline_kernelINS0_14default_configENS1_21merge_config_selectorIiNS0_10empty_typeEEEZNS1_10merge_implIS3_N6thrust23THRUST_200600_302600_NS6detail15normal_iteratorINS9_10device_ptrIKiEEEESF_NSB_INSC_IiEEEEPS5_SI_SI_NS9_4lessIiEEEE10hipError_tPvRmT0_T1_T2_T3_T4_T5_mmT6_P12ihipStream_tbEUlT_E0_NS1_11comp_targetILNS1_3genE2ELNS1_11target_archE906ELNS1_3gpuE6ELNS1_3repE0EEENS1_30default_config_static_selectorELNS0_4arch9wavefront6targetE1EEEvSP_,@function
_ZN7rocprim17ROCPRIM_400000_NS6detail17trampoline_kernelINS0_14default_configENS1_21merge_config_selectorIiNS0_10empty_typeEEEZNS1_10merge_implIS3_N6thrust23THRUST_200600_302600_NS6detail15normal_iteratorINS9_10device_ptrIKiEEEESF_NSB_INSC_IiEEEEPS5_SI_SI_NS9_4lessIiEEEE10hipError_tPvRmT0_T1_T2_T3_T4_T5_mmT6_P12ihipStream_tbEUlT_E0_NS1_11comp_targetILNS1_3genE2ELNS1_11target_archE906ELNS1_3gpuE6ELNS1_3repE0EEENS1_30default_config_static_selectorELNS0_4arch9wavefront6targetE1EEEvSP_: ; @_ZN7rocprim17ROCPRIM_400000_NS6detail17trampoline_kernelINS0_14default_configENS1_21merge_config_selectorIiNS0_10empty_typeEEEZNS1_10merge_implIS3_N6thrust23THRUST_200600_302600_NS6detail15normal_iteratorINS9_10device_ptrIKiEEEESF_NSB_INSC_IiEEEEPS5_SI_SI_NS9_4lessIiEEEE10hipError_tPvRmT0_T1_T2_T3_T4_T5_mmT6_P12ihipStream_tbEUlT_E0_NS1_11comp_targetILNS1_3genE2ELNS1_11target_archE906ELNS1_3gpuE6ELNS1_3repE0EEENS1_30default_config_static_selectorELNS0_4arch9wavefront6targetE1EEEvSP_
; %bb.0:
	.section	.rodata,"a",@progbits
	.p2align	6, 0x0
	.amdhsa_kernel _ZN7rocprim17ROCPRIM_400000_NS6detail17trampoline_kernelINS0_14default_configENS1_21merge_config_selectorIiNS0_10empty_typeEEEZNS1_10merge_implIS3_N6thrust23THRUST_200600_302600_NS6detail15normal_iteratorINS9_10device_ptrIKiEEEESF_NSB_INSC_IiEEEEPS5_SI_SI_NS9_4lessIiEEEE10hipError_tPvRmT0_T1_T2_T3_T4_T5_mmT6_P12ihipStream_tbEUlT_E0_NS1_11comp_targetILNS1_3genE2ELNS1_11target_archE906ELNS1_3gpuE6ELNS1_3repE0EEENS1_30default_config_static_selectorELNS0_4arch9wavefront6targetE1EEEvSP_
		.amdhsa_group_segment_fixed_size 0
		.amdhsa_private_segment_fixed_size 0
		.amdhsa_kernarg_size 88
		.amdhsa_user_sgpr_count 6
		.amdhsa_user_sgpr_private_segment_buffer 1
		.amdhsa_user_sgpr_dispatch_ptr 0
		.amdhsa_user_sgpr_queue_ptr 0
		.amdhsa_user_sgpr_kernarg_segment_ptr 1
		.amdhsa_user_sgpr_dispatch_id 0
		.amdhsa_user_sgpr_flat_scratch_init 0
		.amdhsa_user_sgpr_kernarg_preload_length 0
		.amdhsa_user_sgpr_kernarg_preload_offset 0
		.amdhsa_user_sgpr_private_segment_size 0
		.amdhsa_uses_dynamic_stack 0
		.amdhsa_system_sgpr_private_segment_wavefront_offset 0
		.amdhsa_system_sgpr_workgroup_id_x 1
		.amdhsa_system_sgpr_workgroup_id_y 0
		.amdhsa_system_sgpr_workgroup_id_z 0
		.amdhsa_system_sgpr_workgroup_info 0
		.amdhsa_system_vgpr_workitem_id 0
		.amdhsa_next_free_vgpr 1
		.amdhsa_next_free_sgpr 0
		.amdhsa_accum_offset 4
		.amdhsa_reserve_vcc 0
		.amdhsa_reserve_flat_scratch 0
		.amdhsa_float_round_mode_32 0
		.amdhsa_float_round_mode_16_64 0
		.amdhsa_float_denorm_mode_32 3
		.amdhsa_float_denorm_mode_16_64 3
		.amdhsa_dx10_clamp 1
		.amdhsa_ieee_mode 1
		.amdhsa_fp16_overflow 0
		.amdhsa_tg_split 0
		.amdhsa_exception_fp_ieee_invalid_op 0
		.amdhsa_exception_fp_denorm_src 0
		.amdhsa_exception_fp_ieee_div_zero 0
		.amdhsa_exception_fp_ieee_overflow 0
		.amdhsa_exception_fp_ieee_underflow 0
		.amdhsa_exception_fp_ieee_inexact 0
		.amdhsa_exception_int_div_zero 0
	.end_amdhsa_kernel
	.section	.text._ZN7rocprim17ROCPRIM_400000_NS6detail17trampoline_kernelINS0_14default_configENS1_21merge_config_selectorIiNS0_10empty_typeEEEZNS1_10merge_implIS3_N6thrust23THRUST_200600_302600_NS6detail15normal_iteratorINS9_10device_ptrIKiEEEESF_NSB_INSC_IiEEEEPS5_SI_SI_NS9_4lessIiEEEE10hipError_tPvRmT0_T1_T2_T3_T4_T5_mmT6_P12ihipStream_tbEUlT_E0_NS1_11comp_targetILNS1_3genE2ELNS1_11target_archE906ELNS1_3gpuE6ELNS1_3repE0EEENS1_30default_config_static_selectorELNS0_4arch9wavefront6targetE1EEEvSP_,"axG",@progbits,_ZN7rocprim17ROCPRIM_400000_NS6detail17trampoline_kernelINS0_14default_configENS1_21merge_config_selectorIiNS0_10empty_typeEEEZNS1_10merge_implIS3_N6thrust23THRUST_200600_302600_NS6detail15normal_iteratorINS9_10device_ptrIKiEEEESF_NSB_INSC_IiEEEEPS5_SI_SI_NS9_4lessIiEEEE10hipError_tPvRmT0_T1_T2_T3_T4_T5_mmT6_P12ihipStream_tbEUlT_E0_NS1_11comp_targetILNS1_3genE2ELNS1_11target_archE906ELNS1_3gpuE6ELNS1_3repE0EEENS1_30default_config_static_selectorELNS0_4arch9wavefront6targetE1EEEvSP_,comdat
.Lfunc_end256:
	.size	_ZN7rocprim17ROCPRIM_400000_NS6detail17trampoline_kernelINS0_14default_configENS1_21merge_config_selectorIiNS0_10empty_typeEEEZNS1_10merge_implIS3_N6thrust23THRUST_200600_302600_NS6detail15normal_iteratorINS9_10device_ptrIKiEEEESF_NSB_INSC_IiEEEEPS5_SI_SI_NS9_4lessIiEEEE10hipError_tPvRmT0_T1_T2_T3_T4_T5_mmT6_P12ihipStream_tbEUlT_E0_NS1_11comp_targetILNS1_3genE2ELNS1_11target_archE906ELNS1_3gpuE6ELNS1_3repE0EEENS1_30default_config_static_selectorELNS0_4arch9wavefront6targetE1EEEvSP_, .Lfunc_end256-_ZN7rocprim17ROCPRIM_400000_NS6detail17trampoline_kernelINS0_14default_configENS1_21merge_config_selectorIiNS0_10empty_typeEEEZNS1_10merge_implIS3_N6thrust23THRUST_200600_302600_NS6detail15normal_iteratorINS9_10device_ptrIKiEEEESF_NSB_INSC_IiEEEEPS5_SI_SI_NS9_4lessIiEEEE10hipError_tPvRmT0_T1_T2_T3_T4_T5_mmT6_P12ihipStream_tbEUlT_E0_NS1_11comp_targetILNS1_3genE2ELNS1_11target_archE906ELNS1_3gpuE6ELNS1_3repE0EEENS1_30default_config_static_selectorELNS0_4arch9wavefront6targetE1EEEvSP_
                                        ; -- End function
	.section	.AMDGPU.csdata,"",@progbits
; Kernel info:
; codeLenInByte = 0
; NumSgprs: 4
; NumVgprs: 0
; NumAgprs: 0
; TotalNumVgprs: 0
; ScratchSize: 0
; MemoryBound: 0
; FloatMode: 240
; IeeeMode: 1
; LDSByteSize: 0 bytes/workgroup (compile time only)
; SGPRBlocks: 0
; VGPRBlocks: 0
; NumSGPRsForWavesPerEU: 4
; NumVGPRsForWavesPerEU: 1
; AccumOffset: 4
; Occupancy: 8
; WaveLimiterHint : 0
; COMPUTE_PGM_RSRC2:SCRATCH_EN: 0
; COMPUTE_PGM_RSRC2:USER_SGPR: 6
; COMPUTE_PGM_RSRC2:TRAP_HANDLER: 0
; COMPUTE_PGM_RSRC2:TGID_X_EN: 1
; COMPUTE_PGM_RSRC2:TGID_Y_EN: 0
; COMPUTE_PGM_RSRC2:TGID_Z_EN: 0
; COMPUTE_PGM_RSRC2:TIDIG_COMP_CNT: 0
; COMPUTE_PGM_RSRC3_GFX90A:ACCUM_OFFSET: 0
; COMPUTE_PGM_RSRC3_GFX90A:TG_SPLIT: 0
	.section	.text._ZN7rocprim17ROCPRIM_400000_NS6detail17trampoline_kernelINS0_14default_configENS1_21merge_config_selectorIiNS0_10empty_typeEEEZNS1_10merge_implIS3_N6thrust23THRUST_200600_302600_NS6detail15normal_iteratorINS9_10device_ptrIKiEEEESF_NSB_INSC_IiEEEEPS5_SI_SI_NS9_4lessIiEEEE10hipError_tPvRmT0_T1_T2_T3_T4_T5_mmT6_P12ihipStream_tbEUlT_E0_NS1_11comp_targetILNS1_3genE10ELNS1_11target_archE1201ELNS1_3gpuE5ELNS1_3repE0EEENS1_30default_config_static_selectorELNS0_4arch9wavefront6targetE1EEEvSP_,"axG",@progbits,_ZN7rocprim17ROCPRIM_400000_NS6detail17trampoline_kernelINS0_14default_configENS1_21merge_config_selectorIiNS0_10empty_typeEEEZNS1_10merge_implIS3_N6thrust23THRUST_200600_302600_NS6detail15normal_iteratorINS9_10device_ptrIKiEEEESF_NSB_INSC_IiEEEEPS5_SI_SI_NS9_4lessIiEEEE10hipError_tPvRmT0_T1_T2_T3_T4_T5_mmT6_P12ihipStream_tbEUlT_E0_NS1_11comp_targetILNS1_3genE10ELNS1_11target_archE1201ELNS1_3gpuE5ELNS1_3repE0EEENS1_30default_config_static_selectorELNS0_4arch9wavefront6targetE1EEEvSP_,comdat
	.protected	_ZN7rocprim17ROCPRIM_400000_NS6detail17trampoline_kernelINS0_14default_configENS1_21merge_config_selectorIiNS0_10empty_typeEEEZNS1_10merge_implIS3_N6thrust23THRUST_200600_302600_NS6detail15normal_iteratorINS9_10device_ptrIKiEEEESF_NSB_INSC_IiEEEEPS5_SI_SI_NS9_4lessIiEEEE10hipError_tPvRmT0_T1_T2_T3_T4_T5_mmT6_P12ihipStream_tbEUlT_E0_NS1_11comp_targetILNS1_3genE10ELNS1_11target_archE1201ELNS1_3gpuE5ELNS1_3repE0EEENS1_30default_config_static_selectorELNS0_4arch9wavefront6targetE1EEEvSP_ ; -- Begin function _ZN7rocprim17ROCPRIM_400000_NS6detail17trampoline_kernelINS0_14default_configENS1_21merge_config_selectorIiNS0_10empty_typeEEEZNS1_10merge_implIS3_N6thrust23THRUST_200600_302600_NS6detail15normal_iteratorINS9_10device_ptrIKiEEEESF_NSB_INSC_IiEEEEPS5_SI_SI_NS9_4lessIiEEEE10hipError_tPvRmT0_T1_T2_T3_T4_T5_mmT6_P12ihipStream_tbEUlT_E0_NS1_11comp_targetILNS1_3genE10ELNS1_11target_archE1201ELNS1_3gpuE5ELNS1_3repE0EEENS1_30default_config_static_selectorELNS0_4arch9wavefront6targetE1EEEvSP_
	.globl	_ZN7rocprim17ROCPRIM_400000_NS6detail17trampoline_kernelINS0_14default_configENS1_21merge_config_selectorIiNS0_10empty_typeEEEZNS1_10merge_implIS3_N6thrust23THRUST_200600_302600_NS6detail15normal_iteratorINS9_10device_ptrIKiEEEESF_NSB_INSC_IiEEEEPS5_SI_SI_NS9_4lessIiEEEE10hipError_tPvRmT0_T1_T2_T3_T4_T5_mmT6_P12ihipStream_tbEUlT_E0_NS1_11comp_targetILNS1_3genE10ELNS1_11target_archE1201ELNS1_3gpuE5ELNS1_3repE0EEENS1_30default_config_static_selectorELNS0_4arch9wavefront6targetE1EEEvSP_
	.p2align	8
	.type	_ZN7rocprim17ROCPRIM_400000_NS6detail17trampoline_kernelINS0_14default_configENS1_21merge_config_selectorIiNS0_10empty_typeEEEZNS1_10merge_implIS3_N6thrust23THRUST_200600_302600_NS6detail15normal_iteratorINS9_10device_ptrIKiEEEESF_NSB_INSC_IiEEEEPS5_SI_SI_NS9_4lessIiEEEE10hipError_tPvRmT0_T1_T2_T3_T4_T5_mmT6_P12ihipStream_tbEUlT_E0_NS1_11comp_targetILNS1_3genE10ELNS1_11target_archE1201ELNS1_3gpuE5ELNS1_3repE0EEENS1_30default_config_static_selectorELNS0_4arch9wavefront6targetE1EEEvSP_,@function
_ZN7rocprim17ROCPRIM_400000_NS6detail17trampoline_kernelINS0_14default_configENS1_21merge_config_selectorIiNS0_10empty_typeEEEZNS1_10merge_implIS3_N6thrust23THRUST_200600_302600_NS6detail15normal_iteratorINS9_10device_ptrIKiEEEESF_NSB_INSC_IiEEEEPS5_SI_SI_NS9_4lessIiEEEE10hipError_tPvRmT0_T1_T2_T3_T4_T5_mmT6_P12ihipStream_tbEUlT_E0_NS1_11comp_targetILNS1_3genE10ELNS1_11target_archE1201ELNS1_3gpuE5ELNS1_3repE0EEENS1_30default_config_static_selectorELNS0_4arch9wavefront6targetE1EEEvSP_: ; @_ZN7rocprim17ROCPRIM_400000_NS6detail17trampoline_kernelINS0_14default_configENS1_21merge_config_selectorIiNS0_10empty_typeEEEZNS1_10merge_implIS3_N6thrust23THRUST_200600_302600_NS6detail15normal_iteratorINS9_10device_ptrIKiEEEESF_NSB_INSC_IiEEEEPS5_SI_SI_NS9_4lessIiEEEE10hipError_tPvRmT0_T1_T2_T3_T4_T5_mmT6_P12ihipStream_tbEUlT_E0_NS1_11comp_targetILNS1_3genE10ELNS1_11target_archE1201ELNS1_3gpuE5ELNS1_3repE0EEENS1_30default_config_static_selectorELNS0_4arch9wavefront6targetE1EEEvSP_
; %bb.0:
	.section	.rodata,"a",@progbits
	.p2align	6, 0x0
	.amdhsa_kernel _ZN7rocprim17ROCPRIM_400000_NS6detail17trampoline_kernelINS0_14default_configENS1_21merge_config_selectorIiNS0_10empty_typeEEEZNS1_10merge_implIS3_N6thrust23THRUST_200600_302600_NS6detail15normal_iteratorINS9_10device_ptrIKiEEEESF_NSB_INSC_IiEEEEPS5_SI_SI_NS9_4lessIiEEEE10hipError_tPvRmT0_T1_T2_T3_T4_T5_mmT6_P12ihipStream_tbEUlT_E0_NS1_11comp_targetILNS1_3genE10ELNS1_11target_archE1201ELNS1_3gpuE5ELNS1_3repE0EEENS1_30default_config_static_selectorELNS0_4arch9wavefront6targetE1EEEvSP_
		.amdhsa_group_segment_fixed_size 0
		.amdhsa_private_segment_fixed_size 0
		.amdhsa_kernarg_size 88
		.amdhsa_user_sgpr_count 6
		.amdhsa_user_sgpr_private_segment_buffer 1
		.amdhsa_user_sgpr_dispatch_ptr 0
		.amdhsa_user_sgpr_queue_ptr 0
		.amdhsa_user_sgpr_kernarg_segment_ptr 1
		.amdhsa_user_sgpr_dispatch_id 0
		.amdhsa_user_sgpr_flat_scratch_init 0
		.amdhsa_user_sgpr_kernarg_preload_length 0
		.amdhsa_user_sgpr_kernarg_preload_offset 0
		.amdhsa_user_sgpr_private_segment_size 0
		.amdhsa_uses_dynamic_stack 0
		.amdhsa_system_sgpr_private_segment_wavefront_offset 0
		.amdhsa_system_sgpr_workgroup_id_x 1
		.amdhsa_system_sgpr_workgroup_id_y 0
		.amdhsa_system_sgpr_workgroup_id_z 0
		.amdhsa_system_sgpr_workgroup_info 0
		.amdhsa_system_vgpr_workitem_id 0
		.amdhsa_next_free_vgpr 1
		.amdhsa_next_free_sgpr 0
		.amdhsa_accum_offset 4
		.amdhsa_reserve_vcc 0
		.amdhsa_reserve_flat_scratch 0
		.amdhsa_float_round_mode_32 0
		.amdhsa_float_round_mode_16_64 0
		.amdhsa_float_denorm_mode_32 3
		.amdhsa_float_denorm_mode_16_64 3
		.amdhsa_dx10_clamp 1
		.amdhsa_ieee_mode 1
		.amdhsa_fp16_overflow 0
		.amdhsa_tg_split 0
		.amdhsa_exception_fp_ieee_invalid_op 0
		.amdhsa_exception_fp_denorm_src 0
		.amdhsa_exception_fp_ieee_div_zero 0
		.amdhsa_exception_fp_ieee_overflow 0
		.amdhsa_exception_fp_ieee_underflow 0
		.amdhsa_exception_fp_ieee_inexact 0
		.amdhsa_exception_int_div_zero 0
	.end_amdhsa_kernel
	.section	.text._ZN7rocprim17ROCPRIM_400000_NS6detail17trampoline_kernelINS0_14default_configENS1_21merge_config_selectorIiNS0_10empty_typeEEEZNS1_10merge_implIS3_N6thrust23THRUST_200600_302600_NS6detail15normal_iteratorINS9_10device_ptrIKiEEEESF_NSB_INSC_IiEEEEPS5_SI_SI_NS9_4lessIiEEEE10hipError_tPvRmT0_T1_T2_T3_T4_T5_mmT6_P12ihipStream_tbEUlT_E0_NS1_11comp_targetILNS1_3genE10ELNS1_11target_archE1201ELNS1_3gpuE5ELNS1_3repE0EEENS1_30default_config_static_selectorELNS0_4arch9wavefront6targetE1EEEvSP_,"axG",@progbits,_ZN7rocprim17ROCPRIM_400000_NS6detail17trampoline_kernelINS0_14default_configENS1_21merge_config_selectorIiNS0_10empty_typeEEEZNS1_10merge_implIS3_N6thrust23THRUST_200600_302600_NS6detail15normal_iteratorINS9_10device_ptrIKiEEEESF_NSB_INSC_IiEEEEPS5_SI_SI_NS9_4lessIiEEEE10hipError_tPvRmT0_T1_T2_T3_T4_T5_mmT6_P12ihipStream_tbEUlT_E0_NS1_11comp_targetILNS1_3genE10ELNS1_11target_archE1201ELNS1_3gpuE5ELNS1_3repE0EEENS1_30default_config_static_selectorELNS0_4arch9wavefront6targetE1EEEvSP_,comdat
.Lfunc_end257:
	.size	_ZN7rocprim17ROCPRIM_400000_NS6detail17trampoline_kernelINS0_14default_configENS1_21merge_config_selectorIiNS0_10empty_typeEEEZNS1_10merge_implIS3_N6thrust23THRUST_200600_302600_NS6detail15normal_iteratorINS9_10device_ptrIKiEEEESF_NSB_INSC_IiEEEEPS5_SI_SI_NS9_4lessIiEEEE10hipError_tPvRmT0_T1_T2_T3_T4_T5_mmT6_P12ihipStream_tbEUlT_E0_NS1_11comp_targetILNS1_3genE10ELNS1_11target_archE1201ELNS1_3gpuE5ELNS1_3repE0EEENS1_30default_config_static_selectorELNS0_4arch9wavefront6targetE1EEEvSP_, .Lfunc_end257-_ZN7rocprim17ROCPRIM_400000_NS6detail17trampoline_kernelINS0_14default_configENS1_21merge_config_selectorIiNS0_10empty_typeEEEZNS1_10merge_implIS3_N6thrust23THRUST_200600_302600_NS6detail15normal_iteratorINS9_10device_ptrIKiEEEESF_NSB_INSC_IiEEEEPS5_SI_SI_NS9_4lessIiEEEE10hipError_tPvRmT0_T1_T2_T3_T4_T5_mmT6_P12ihipStream_tbEUlT_E0_NS1_11comp_targetILNS1_3genE10ELNS1_11target_archE1201ELNS1_3gpuE5ELNS1_3repE0EEENS1_30default_config_static_selectorELNS0_4arch9wavefront6targetE1EEEvSP_
                                        ; -- End function
	.section	.AMDGPU.csdata,"",@progbits
; Kernel info:
; codeLenInByte = 0
; NumSgprs: 4
; NumVgprs: 0
; NumAgprs: 0
; TotalNumVgprs: 0
; ScratchSize: 0
; MemoryBound: 0
; FloatMode: 240
; IeeeMode: 1
; LDSByteSize: 0 bytes/workgroup (compile time only)
; SGPRBlocks: 0
; VGPRBlocks: 0
; NumSGPRsForWavesPerEU: 4
; NumVGPRsForWavesPerEU: 1
; AccumOffset: 4
; Occupancy: 8
; WaveLimiterHint : 0
; COMPUTE_PGM_RSRC2:SCRATCH_EN: 0
; COMPUTE_PGM_RSRC2:USER_SGPR: 6
; COMPUTE_PGM_RSRC2:TRAP_HANDLER: 0
; COMPUTE_PGM_RSRC2:TGID_X_EN: 1
; COMPUTE_PGM_RSRC2:TGID_Y_EN: 0
; COMPUTE_PGM_RSRC2:TGID_Z_EN: 0
; COMPUTE_PGM_RSRC2:TIDIG_COMP_CNT: 0
; COMPUTE_PGM_RSRC3_GFX90A:ACCUM_OFFSET: 0
; COMPUTE_PGM_RSRC3_GFX90A:TG_SPLIT: 0
	.section	.text._ZN7rocprim17ROCPRIM_400000_NS6detail17trampoline_kernelINS0_14default_configENS1_21merge_config_selectorIiNS0_10empty_typeEEEZNS1_10merge_implIS3_N6thrust23THRUST_200600_302600_NS6detail15normal_iteratorINS9_10device_ptrIKiEEEESF_NSB_INSC_IiEEEEPS5_SI_SI_NS9_4lessIiEEEE10hipError_tPvRmT0_T1_T2_T3_T4_T5_mmT6_P12ihipStream_tbEUlT_E0_NS1_11comp_targetILNS1_3genE10ELNS1_11target_archE1200ELNS1_3gpuE4ELNS1_3repE0EEENS1_30default_config_static_selectorELNS0_4arch9wavefront6targetE1EEEvSP_,"axG",@progbits,_ZN7rocprim17ROCPRIM_400000_NS6detail17trampoline_kernelINS0_14default_configENS1_21merge_config_selectorIiNS0_10empty_typeEEEZNS1_10merge_implIS3_N6thrust23THRUST_200600_302600_NS6detail15normal_iteratorINS9_10device_ptrIKiEEEESF_NSB_INSC_IiEEEEPS5_SI_SI_NS9_4lessIiEEEE10hipError_tPvRmT0_T1_T2_T3_T4_T5_mmT6_P12ihipStream_tbEUlT_E0_NS1_11comp_targetILNS1_3genE10ELNS1_11target_archE1200ELNS1_3gpuE4ELNS1_3repE0EEENS1_30default_config_static_selectorELNS0_4arch9wavefront6targetE1EEEvSP_,comdat
	.protected	_ZN7rocprim17ROCPRIM_400000_NS6detail17trampoline_kernelINS0_14default_configENS1_21merge_config_selectorIiNS0_10empty_typeEEEZNS1_10merge_implIS3_N6thrust23THRUST_200600_302600_NS6detail15normal_iteratorINS9_10device_ptrIKiEEEESF_NSB_INSC_IiEEEEPS5_SI_SI_NS9_4lessIiEEEE10hipError_tPvRmT0_T1_T2_T3_T4_T5_mmT6_P12ihipStream_tbEUlT_E0_NS1_11comp_targetILNS1_3genE10ELNS1_11target_archE1200ELNS1_3gpuE4ELNS1_3repE0EEENS1_30default_config_static_selectorELNS0_4arch9wavefront6targetE1EEEvSP_ ; -- Begin function _ZN7rocprim17ROCPRIM_400000_NS6detail17trampoline_kernelINS0_14default_configENS1_21merge_config_selectorIiNS0_10empty_typeEEEZNS1_10merge_implIS3_N6thrust23THRUST_200600_302600_NS6detail15normal_iteratorINS9_10device_ptrIKiEEEESF_NSB_INSC_IiEEEEPS5_SI_SI_NS9_4lessIiEEEE10hipError_tPvRmT0_T1_T2_T3_T4_T5_mmT6_P12ihipStream_tbEUlT_E0_NS1_11comp_targetILNS1_3genE10ELNS1_11target_archE1200ELNS1_3gpuE4ELNS1_3repE0EEENS1_30default_config_static_selectorELNS0_4arch9wavefront6targetE1EEEvSP_
	.globl	_ZN7rocprim17ROCPRIM_400000_NS6detail17trampoline_kernelINS0_14default_configENS1_21merge_config_selectorIiNS0_10empty_typeEEEZNS1_10merge_implIS3_N6thrust23THRUST_200600_302600_NS6detail15normal_iteratorINS9_10device_ptrIKiEEEESF_NSB_INSC_IiEEEEPS5_SI_SI_NS9_4lessIiEEEE10hipError_tPvRmT0_T1_T2_T3_T4_T5_mmT6_P12ihipStream_tbEUlT_E0_NS1_11comp_targetILNS1_3genE10ELNS1_11target_archE1200ELNS1_3gpuE4ELNS1_3repE0EEENS1_30default_config_static_selectorELNS0_4arch9wavefront6targetE1EEEvSP_
	.p2align	8
	.type	_ZN7rocprim17ROCPRIM_400000_NS6detail17trampoline_kernelINS0_14default_configENS1_21merge_config_selectorIiNS0_10empty_typeEEEZNS1_10merge_implIS3_N6thrust23THRUST_200600_302600_NS6detail15normal_iteratorINS9_10device_ptrIKiEEEESF_NSB_INSC_IiEEEEPS5_SI_SI_NS9_4lessIiEEEE10hipError_tPvRmT0_T1_T2_T3_T4_T5_mmT6_P12ihipStream_tbEUlT_E0_NS1_11comp_targetILNS1_3genE10ELNS1_11target_archE1200ELNS1_3gpuE4ELNS1_3repE0EEENS1_30default_config_static_selectorELNS0_4arch9wavefront6targetE1EEEvSP_,@function
_ZN7rocprim17ROCPRIM_400000_NS6detail17trampoline_kernelINS0_14default_configENS1_21merge_config_selectorIiNS0_10empty_typeEEEZNS1_10merge_implIS3_N6thrust23THRUST_200600_302600_NS6detail15normal_iteratorINS9_10device_ptrIKiEEEESF_NSB_INSC_IiEEEEPS5_SI_SI_NS9_4lessIiEEEE10hipError_tPvRmT0_T1_T2_T3_T4_T5_mmT6_P12ihipStream_tbEUlT_E0_NS1_11comp_targetILNS1_3genE10ELNS1_11target_archE1200ELNS1_3gpuE4ELNS1_3repE0EEENS1_30default_config_static_selectorELNS0_4arch9wavefront6targetE1EEEvSP_: ; @_ZN7rocprim17ROCPRIM_400000_NS6detail17trampoline_kernelINS0_14default_configENS1_21merge_config_selectorIiNS0_10empty_typeEEEZNS1_10merge_implIS3_N6thrust23THRUST_200600_302600_NS6detail15normal_iteratorINS9_10device_ptrIKiEEEESF_NSB_INSC_IiEEEEPS5_SI_SI_NS9_4lessIiEEEE10hipError_tPvRmT0_T1_T2_T3_T4_T5_mmT6_P12ihipStream_tbEUlT_E0_NS1_11comp_targetILNS1_3genE10ELNS1_11target_archE1200ELNS1_3gpuE4ELNS1_3repE0EEENS1_30default_config_static_selectorELNS0_4arch9wavefront6targetE1EEEvSP_
; %bb.0:
	.section	.rodata,"a",@progbits
	.p2align	6, 0x0
	.amdhsa_kernel _ZN7rocprim17ROCPRIM_400000_NS6detail17trampoline_kernelINS0_14default_configENS1_21merge_config_selectorIiNS0_10empty_typeEEEZNS1_10merge_implIS3_N6thrust23THRUST_200600_302600_NS6detail15normal_iteratorINS9_10device_ptrIKiEEEESF_NSB_INSC_IiEEEEPS5_SI_SI_NS9_4lessIiEEEE10hipError_tPvRmT0_T1_T2_T3_T4_T5_mmT6_P12ihipStream_tbEUlT_E0_NS1_11comp_targetILNS1_3genE10ELNS1_11target_archE1200ELNS1_3gpuE4ELNS1_3repE0EEENS1_30default_config_static_selectorELNS0_4arch9wavefront6targetE1EEEvSP_
		.amdhsa_group_segment_fixed_size 0
		.amdhsa_private_segment_fixed_size 0
		.amdhsa_kernarg_size 88
		.amdhsa_user_sgpr_count 6
		.amdhsa_user_sgpr_private_segment_buffer 1
		.amdhsa_user_sgpr_dispatch_ptr 0
		.amdhsa_user_sgpr_queue_ptr 0
		.amdhsa_user_sgpr_kernarg_segment_ptr 1
		.amdhsa_user_sgpr_dispatch_id 0
		.amdhsa_user_sgpr_flat_scratch_init 0
		.amdhsa_user_sgpr_kernarg_preload_length 0
		.amdhsa_user_sgpr_kernarg_preload_offset 0
		.amdhsa_user_sgpr_private_segment_size 0
		.amdhsa_uses_dynamic_stack 0
		.amdhsa_system_sgpr_private_segment_wavefront_offset 0
		.amdhsa_system_sgpr_workgroup_id_x 1
		.amdhsa_system_sgpr_workgroup_id_y 0
		.amdhsa_system_sgpr_workgroup_id_z 0
		.amdhsa_system_sgpr_workgroup_info 0
		.amdhsa_system_vgpr_workitem_id 0
		.amdhsa_next_free_vgpr 1
		.amdhsa_next_free_sgpr 0
		.amdhsa_accum_offset 4
		.amdhsa_reserve_vcc 0
		.amdhsa_reserve_flat_scratch 0
		.amdhsa_float_round_mode_32 0
		.amdhsa_float_round_mode_16_64 0
		.amdhsa_float_denorm_mode_32 3
		.amdhsa_float_denorm_mode_16_64 3
		.amdhsa_dx10_clamp 1
		.amdhsa_ieee_mode 1
		.amdhsa_fp16_overflow 0
		.amdhsa_tg_split 0
		.amdhsa_exception_fp_ieee_invalid_op 0
		.amdhsa_exception_fp_denorm_src 0
		.amdhsa_exception_fp_ieee_div_zero 0
		.amdhsa_exception_fp_ieee_overflow 0
		.amdhsa_exception_fp_ieee_underflow 0
		.amdhsa_exception_fp_ieee_inexact 0
		.amdhsa_exception_int_div_zero 0
	.end_amdhsa_kernel
	.section	.text._ZN7rocprim17ROCPRIM_400000_NS6detail17trampoline_kernelINS0_14default_configENS1_21merge_config_selectorIiNS0_10empty_typeEEEZNS1_10merge_implIS3_N6thrust23THRUST_200600_302600_NS6detail15normal_iteratorINS9_10device_ptrIKiEEEESF_NSB_INSC_IiEEEEPS5_SI_SI_NS9_4lessIiEEEE10hipError_tPvRmT0_T1_T2_T3_T4_T5_mmT6_P12ihipStream_tbEUlT_E0_NS1_11comp_targetILNS1_3genE10ELNS1_11target_archE1200ELNS1_3gpuE4ELNS1_3repE0EEENS1_30default_config_static_selectorELNS0_4arch9wavefront6targetE1EEEvSP_,"axG",@progbits,_ZN7rocprim17ROCPRIM_400000_NS6detail17trampoline_kernelINS0_14default_configENS1_21merge_config_selectorIiNS0_10empty_typeEEEZNS1_10merge_implIS3_N6thrust23THRUST_200600_302600_NS6detail15normal_iteratorINS9_10device_ptrIKiEEEESF_NSB_INSC_IiEEEEPS5_SI_SI_NS9_4lessIiEEEE10hipError_tPvRmT0_T1_T2_T3_T4_T5_mmT6_P12ihipStream_tbEUlT_E0_NS1_11comp_targetILNS1_3genE10ELNS1_11target_archE1200ELNS1_3gpuE4ELNS1_3repE0EEENS1_30default_config_static_selectorELNS0_4arch9wavefront6targetE1EEEvSP_,comdat
.Lfunc_end258:
	.size	_ZN7rocprim17ROCPRIM_400000_NS6detail17trampoline_kernelINS0_14default_configENS1_21merge_config_selectorIiNS0_10empty_typeEEEZNS1_10merge_implIS3_N6thrust23THRUST_200600_302600_NS6detail15normal_iteratorINS9_10device_ptrIKiEEEESF_NSB_INSC_IiEEEEPS5_SI_SI_NS9_4lessIiEEEE10hipError_tPvRmT0_T1_T2_T3_T4_T5_mmT6_P12ihipStream_tbEUlT_E0_NS1_11comp_targetILNS1_3genE10ELNS1_11target_archE1200ELNS1_3gpuE4ELNS1_3repE0EEENS1_30default_config_static_selectorELNS0_4arch9wavefront6targetE1EEEvSP_, .Lfunc_end258-_ZN7rocprim17ROCPRIM_400000_NS6detail17trampoline_kernelINS0_14default_configENS1_21merge_config_selectorIiNS0_10empty_typeEEEZNS1_10merge_implIS3_N6thrust23THRUST_200600_302600_NS6detail15normal_iteratorINS9_10device_ptrIKiEEEESF_NSB_INSC_IiEEEEPS5_SI_SI_NS9_4lessIiEEEE10hipError_tPvRmT0_T1_T2_T3_T4_T5_mmT6_P12ihipStream_tbEUlT_E0_NS1_11comp_targetILNS1_3genE10ELNS1_11target_archE1200ELNS1_3gpuE4ELNS1_3repE0EEENS1_30default_config_static_selectorELNS0_4arch9wavefront6targetE1EEEvSP_
                                        ; -- End function
	.section	.AMDGPU.csdata,"",@progbits
; Kernel info:
; codeLenInByte = 0
; NumSgprs: 4
; NumVgprs: 0
; NumAgprs: 0
; TotalNumVgprs: 0
; ScratchSize: 0
; MemoryBound: 0
; FloatMode: 240
; IeeeMode: 1
; LDSByteSize: 0 bytes/workgroup (compile time only)
; SGPRBlocks: 0
; VGPRBlocks: 0
; NumSGPRsForWavesPerEU: 4
; NumVGPRsForWavesPerEU: 1
; AccumOffset: 4
; Occupancy: 8
; WaveLimiterHint : 0
; COMPUTE_PGM_RSRC2:SCRATCH_EN: 0
; COMPUTE_PGM_RSRC2:USER_SGPR: 6
; COMPUTE_PGM_RSRC2:TRAP_HANDLER: 0
; COMPUTE_PGM_RSRC2:TGID_X_EN: 1
; COMPUTE_PGM_RSRC2:TGID_Y_EN: 0
; COMPUTE_PGM_RSRC2:TGID_Z_EN: 0
; COMPUTE_PGM_RSRC2:TIDIG_COMP_CNT: 0
; COMPUTE_PGM_RSRC3_GFX90A:ACCUM_OFFSET: 0
; COMPUTE_PGM_RSRC3_GFX90A:TG_SPLIT: 0
	.section	.text._ZN7rocprim17ROCPRIM_400000_NS6detail17trampoline_kernelINS0_14default_configENS1_21merge_config_selectorIiNS0_10empty_typeEEEZNS1_10merge_implIS3_N6thrust23THRUST_200600_302600_NS6detail15normal_iteratorINS9_10device_ptrIKiEEEESF_NSB_INSC_IiEEEEPS5_SI_SI_NS9_4lessIiEEEE10hipError_tPvRmT0_T1_T2_T3_T4_T5_mmT6_P12ihipStream_tbEUlT_E0_NS1_11comp_targetILNS1_3genE9ELNS1_11target_archE1100ELNS1_3gpuE3ELNS1_3repE0EEENS1_30default_config_static_selectorELNS0_4arch9wavefront6targetE1EEEvSP_,"axG",@progbits,_ZN7rocprim17ROCPRIM_400000_NS6detail17trampoline_kernelINS0_14default_configENS1_21merge_config_selectorIiNS0_10empty_typeEEEZNS1_10merge_implIS3_N6thrust23THRUST_200600_302600_NS6detail15normal_iteratorINS9_10device_ptrIKiEEEESF_NSB_INSC_IiEEEEPS5_SI_SI_NS9_4lessIiEEEE10hipError_tPvRmT0_T1_T2_T3_T4_T5_mmT6_P12ihipStream_tbEUlT_E0_NS1_11comp_targetILNS1_3genE9ELNS1_11target_archE1100ELNS1_3gpuE3ELNS1_3repE0EEENS1_30default_config_static_selectorELNS0_4arch9wavefront6targetE1EEEvSP_,comdat
	.protected	_ZN7rocprim17ROCPRIM_400000_NS6detail17trampoline_kernelINS0_14default_configENS1_21merge_config_selectorIiNS0_10empty_typeEEEZNS1_10merge_implIS3_N6thrust23THRUST_200600_302600_NS6detail15normal_iteratorINS9_10device_ptrIKiEEEESF_NSB_INSC_IiEEEEPS5_SI_SI_NS9_4lessIiEEEE10hipError_tPvRmT0_T1_T2_T3_T4_T5_mmT6_P12ihipStream_tbEUlT_E0_NS1_11comp_targetILNS1_3genE9ELNS1_11target_archE1100ELNS1_3gpuE3ELNS1_3repE0EEENS1_30default_config_static_selectorELNS0_4arch9wavefront6targetE1EEEvSP_ ; -- Begin function _ZN7rocprim17ROCPRIM_400000_NS6detail17trampoline_kernelINS0_14default_configENS1_21merge_config_selectorIiNS0_10empty_typeEEEZNS1_10merge_implIS3_N6thrust23THRUST_200600_302600_NS6detail15normal_iteratorINS9_10device_ptrIKiEEEESF_NSB_INSC_IiEEEEPS5_SI_SI_NS9_4lessIiEEEE10hipError_tPvRmT0_T1_T2_T3_T4_T5_mmT6_P12ihipStream_tbEUlT_E0_NS1_11comp_targetILNS1_3genE9ELNS1_11target_archE1100ELNS1_3gpuE3ELNS1_3repE0EEENS1_30default_config_static_selectorELNS0_4arch9wavefront6targetE1EEEvSP_
	.globl	_ZN7rocprim17ROCPRIM_400000_NS6detail17trampoline_kernelINS0_14default_configENS1_21merge_config_selectorIiNS0_10empty_typeEEEZNS1_10merge_implIS3_N6thrust23THRUST_200600_302600_NS6detail15normal_iteratorINS9_10device_ptrIKiEEEESF_NSB_INSC_IiEEEEPS5_SI_SI_NS9_4lessIiEEEE10hipError_tPvRmT0_T1_T2_T3_T4_T5_mmT6_P12ihipStream_tbEUlT_E0_NS1_11comp_targetILNS1_3genE9ELNS1_11target_archE1100ELNS1_3gpuE3ELNS1_3repE0EEENS1_30default_config_static_selectorELNS0_4arch9wavefront6targetE1EEEvSP_
	.p2align	8
	.type	_ZN7rocprim17ROCPRIM_400000_NS6detail17trampoline_kernelINS0_14default_configENS1_21merge_config_selectorIiNS0_10empty_typeEEEZNS1_10merge_implIS3_N6thrust23THRUST_200600_302600_NS6detail15normal_iteratorINS9_10device_ptrIKiEEEESF_NSB_INSC_IiEEEEPS5_SI_SI_NS9_4lessIiEEEE10hipError_tPvRmT0_T1_T2_T3_T4_T5_mmT6_P12ihipStream_tbEUlT_E0_NS1_11comp_targetILNS1_3genE9ELNS1_11target_archE1100ELNS1_3gpuE3ELNS1_3repE0EEENS1_30default_config_static_selectorELNS0_4arch9wavefront6targetE1EEEvSP_,@function
_ZN7rocprim17ROCPRIM_400000_NS6detail17trampoline_kernelINS0_14default_configENS1_21merge_config_selectorIiNS0_10empty_typeEEEZNS1_10merge_implIS3_N6thrust23THRUST_200600_302600_NS6detail15normal_iteratorINS9_10device_ptrIKiEEEESF_NSB_INSC_IiEEEEPS5_SI_SI_NS9_4lessIiEEEE10hipError_tPvRmT0_T1_T2_T3_T4_T5_mmT6_P12ihipStream_tbEUlT_E0_NS1_11comp_targetILNS1_3genE9ELNS1_11target_archE1100ELNS1_3gpuE3ELNS1_3repE0EEENS1_30default_config_static_selectorELNS0_4arch9wavefront6targetE1EEEvSP_: ; @_ZN7rocprim17ROCPRIM_400000_NS6detail17trampoline_kernelINS0_14default_configENS1_21merge_config_selectorIiNS0_10empty_typeEEEZNS1_10merge_implIS3_N6thrust23THRUST_200600_302600_NS6detail15normal_iteratorINS9_10device_ptrIKiEEEESF_NSB_INSC_IiEEEEPS5_SI_SI_NS9_4lessIiEEEE10hipError_tPvRmT0_T1_T2_T3_T4_T5_mmT6_P12ihipStream_tbEUlT_E0_NS1_11comp_targetILNS1_3genE9ELNS1_11target_archE1100ELNS1_3gpuE3ELNS1_3repE0EEENS1_30default_config_static_selectorELNS0_4arch9wavefront6targetE1EEEvSP_
; %bb.0:
	.section	.rodata,"a",@progbits
	.p2align	6, 0x0
	.amdhsa_kernel _ZN7rocprim17ROCPRIM_400000_NS6detail17trampoline_kernelINS0_14default_configENS1_21merge_config_selectorIiNS0_10empty_typeEEEZNS1_10merge_implIS3_N6thrust23THRUST_200600_302600_NS6detail15normal_iteratorINS9_10device_ptrIKiEEEESF_NSB_INSC_IiEEEEPS5_SI_SI_NS9_4lessIiEEEE10hipError_tPvRmT0_T1_T2_T3_T4_T5_mmT6_P12ihipStream_tbEUlT_E0_NS1_11comp_targetILNS1_3genE9ELNS1_11target_archE1100ELNS1_3gpuE3ELNS1_3repE0EEENS1_30default_config_static_selectorELNS0_4arch9wavefront6targetE1EEEvSP_
		.amdhsa_group_segment_fixed_size 0
		.amdhsa_private_segment_fixed_size 0
		.amdhsa_kernarg_size 88
		.amdhsa_user_sgpr_count 6
		.amdhsa_user_sgpr_private_segment_buffer 1
		.amdhsa_user_sgpr_dispatch_ptr 0
		.amdhsa_user_sgpr_queue_ptr 0
		.amdhsa_user_sgpr_kernarg_segment_ptr 1
		.amdhsa_user_sgpr_dispatch_id 0
		.amdhsa_user_sgpr_flat_scratch_init 0
		.amdhsa_user_sgpr_kernarg_preload_length 0
		.amdhsa_user_sgpr_kernarg_preload_offset 0
		.amdhsa_user_sgpr_private_segment_size 0
		.amdhsa_uses_dynamic_stack 0
		.amdhsa_system_sgpr_private_segment_wavefront_offset 0
		.amdhsa_system_sgpr_workgroup_id_x 1
		.amdhsa_system_sgpr_workgroup_id_y 0
		.amdhsa_system_sgpr_workgroup_id_z 0
		.amdhsa_system_sgpr_workgroup_info 0
		.amdhsa_system_vgpr_workitem_id 0
		.amdhsa_next_free_vgpr 1
		.amdhsa_next_free_sgpr 0
		.amdhsa_accum_offset 4
		.amdhsa_reserve_vcc 0
		.amdhsa_reserve_flat_scratch 0
		.amdhsa_float_round_mode_32 0
		.amdhsa_float_round_mode_16_64 0
		.amdhsa_float_denorm_mode_32 3
		.amdhsa_float_denorm_mode_16_64 3
		.amdhsa_dx10_clamp 1
		.amdhsa_ieee_mode 1
		.amdhsa_fp16_overflow 0
		.amdhsa_tg_split 0
		.amdhsa_exception_fp_ieee_invalid_op 0
		.amdhsa_exception_fp_denorm_src 0
		.amdhsa_exception_fp_ieee_div_zero 0
		.amdhsa_exception_fp_ieee_overflow 0
		.amdhsa_exception_fp_ieee_underflow 0
		.amdhsa_exception_fp_ieee_inexact 0
		.amdhsa_exception_int_div_zero 0
	.end_amdhsa_kernel
	.section	.text._ZN7rocprim17ROCPRIM_400000_NS6detail17trampoline_kernelINS0_14default_configENS1_21merge_config_selectorIiNS0_10empty_typeEEEZNS1_10merge_implIS3_N6thrust23THRUST_200600_302600_NS6detail15normal_iteratorINS9_10device_ptrIKiEEEESF_NSB_INSC_IiEEEEPS5_SI_SI_NS9_4lessIiEEEE10hipError_tPvRmT0_T1_T2_T3_T4_T5_mmT6_P12ihipStream_tbEUlT_E0_NS1_11comp_targetILNS1_3genE9ELNS1_11target_archE1100ELNS1_3gpuE3ELNS1_3repE0EEENS1_30default_config_static_selectorELNS0_4arch9wavefront6targetE1EEEvSP_,"axG",@progbits,_ZN7rocprim17ROCPRIM_400000_NS6detail17trampoline_kernelINS0_14default_configENS1_21merge_config_selectorIiNS0_10empty_typeEEEZNS1_10merge_implIS3_N6thrust23THRUST_200600_302600_NS6detail15normal_iteratorINS9_10device_ptrIKiEEEESF_NSB_INSC_IiEEEEPS5_SI_SI_NS9_4lessIiEEEE10hipError_tPvRmT0_T1_T2_T3_T4_T5_mmT6_P12ihipStream_tbEUlT_E0_NS1_11comp_targetILNS1_3genE9ELNS1_11target_archE1100ELNS1_3gpuE3ELNS1_3repE0EEENS1_30default_config_static_selectorELNS0_4arch9wavefront6targetE1EEEvSP_,comdat
.Lfunc_end259:
	.size	_ZN7rocprim17ROCPRIM_400000_NS6detail17trampoline_kernelINS0_14default_configENS1_21merge_config_selectorIiNS0_10empty_typeEEEZNS1_10merge_implIS3_N6thrust23THRUST_200600_302600_NS6detail15normal_iteratorINS9_10device_ptrIKiEEEESF_NSB_INSC_IiEEEEPS5_SI_SI_NS9_4lessIiEEEE10hipError_tPvRmT0_T1_T2_T3_T4_T5_mmT6_P12ihipStream_tbEUlT_E0_NS1_11comp_targetILNS1_3genE9ELNS1_11target_archE1100ELNS1_3gpuE3ELNS1_3repE0EEENS1_30default_config_static_selectorELNS0_4arch9wavefront6targetE1EEEvSP_, .Lfunc_end259-_ZN7rocprim17ROCPRIM_400000_NS6detail17trampoline_kernelINS0_14default_configENS1_21merge_config_selectorIiNS0_10empty_typeEEEZNS1_10merge_implIS3_N6thrust23THRUST_200600_302600_NS6detail15normal_iteratorINS9_10device_ptrIKiEEEESF_NSB_INSC_IiEEEEPS5_SI_SI_NS9_4lessIiEEEE10hipError_tPvRmT0_T1_T2_T3_T4_T5_mmT6_P12ihipStream_tbEUlT_E0_NS1_11comp_targetILNS1_3genE9ELNS1_11target_archE1100ELNS1_3gpuE3ELNS1_3repE0EEENS1_30default_config_static_selectorELNS0_4arch9wavefront6targetE1EEEvSP_
                                        ; -- End function
	.section	.AMDGPU.csdata,"",@progbits
; Kernel info:
; codeLenInByte = 0
; NumSgprs: 4
; NumVgprs: 0
; NumAgprs: 0
; TotalNumVgprs: 0
; ScratchSize: 0
; MemoryBound: 0
; FloatMode: 240
; IeeeMode: 1
; LDSByteSize: 0 bytes/workgroup (compile time only)
; SGPRBlocks: 0
; VGPRBlocks: 0
; NumSGPRsForWavesPerEU: 4
; NumVGPRsForWavesPerEU: 1
; AccumOffset: 4
; Occupancy: 8
; WaveLimiterHint : 0
; COMPUTE_PGM_RSRC2:SCRATCH_EN: 0
; COMPUTE_PGM_RSRC2:USER_SGPR: 6
; COMPUTE_PGM_RSRC2:TRAP_HANDLER: 0
; COMPUTE_PGM_RSRC2:TGID_X_EN: 1
; COMPUTE_PGM_RSRC2:TGID_Y_EN: 0
; COMPUTE_PGM_RSRC2:TGID_Z_EN: 0
; COMPUTE_PGM_RSRC2:TIDIG_COMP_CNT: 0
; COMPUTE_PGM_RSRC3_GFX90A:ACCUM_OFFSET: 0
; COMPUTE_PGM_RSRC3_GFX90A:TG_SPLIT: 0
	.section	.text._ZN7rocprim17ROCPRIM_400000_NS6detail17trampoline_kernelINS0_14default_configENS1_21merge_config_selectorIiNS0_10empty_typeEEEZNS1_10merge_implIS3_N6thrust23THRUST_200600_302600_NS6detail15normal_iteratorINS9_10device_ptrIKiEEEESF_NSB_INSC_IiEEEEPS5_SI_SI_NS9_4lessIiEEEE10hipError_tPvRmT0_T1_T2_T3_T4_T5_mmT6_P12ihipStream_tbEUlT_E0_NS1_11comp_targetILNS1_3genE8ELNS1_11target_archE1030ELNS1_3gpuE2ELNS1_3repE0EEENS1_30default_config_static_selectorELNS0_4arch9wavefront6targetE1EEEvSP_,"axG",@progbits,_ZN7rocprim17ROCPRIM_400000_NS6detail17trampoline_kernelINS0_14default_configENS1_21merge_config_selectorIiNS0_10empty_typeEEEZNS1_10merge_implIS3_N6thrust23THRUST_200600_302600_NS6detail15normal_iteratorINS9_10device_ptrIKiEEEESF_NSB_INSC_IiEEEEPS5_SI_SI_NS9_4lessIiEEEE10hipError_tPvRmT0_T1_T2_T3_T4_T5_mmT6_P12ihipStream_tbEUlT_E0_NS1_11comp_targetILNS1_3genE8ELNS1_11target_archE1030ELNS1_3gpuE2ELNS1_3repE0EEENS1_30default_config_static_selectorELNS0_4arch9wavefront6targetE1EEEvSP_,comdat
	.protected	_ZN7rocprim17ROCPRIM_400000_NS6detail17trampoline_kernelINS0_14default_configENS1_21merge_config_selectorIiNS0_10empty_typeEEEZNS1_10merge_implIS3_N6thrust23THRUST_200600_302600_NS6detail15normal_iteratorINS9_10device_ptrIKiEEEESF_NSB_INSC_IiEEEEPS5_SI_SI_NS9_4lessIiEEEE10hipError_tPvRmT0_T1_T2_T3_T4_T5_mmT6_P12ihipStream_tbEUlT_E0_NS1_11comp_targetILNS1_3genE8ELNS1_11target_archE1030ELNS1_3gpuE2ELNS1_3repE0EEENS1_30default_config_static_selectorELNS0_4arch9wavefront6targetE1EEEvSP_ ; -- Begin function _ZN7rocprim17ROCPRIM_400000_NS6detail17trampoline_kernelINS0_14default_configENS1_21merge_config_selectorIiNS0_10empty_typeEEEZNS1_10merge_implIS3_N6thrust23THRUST_200600_302600_NS6detail15normal_iteratorINS9_10device_ptrIKiEEEESF_NSB_INSC_IiEEEEPS5_SI_SI_NS9_4lessIiEEEE10hipError_tPvRmT0_T1_T2_T3_T4_T5_mmT6_P12ihipStream_tbEUlT_E0_NS1_11comp_targetILNS1_3genE8ELNS1_11target_archE1030ELNS1_3gpuE2ELNS1_3repE0EEENS1_30default_config_static_selectorELNS0_4arch9wavefront6targetE1EEEvSP_
	.globl	_ZN7rocprim17ROCPRIM_400000_NS6detail17trampoline_kernelINS0_14default_configENS1_21merge_config_selectorIiNS0_10empty_typeEEEZNS1_10merge_implIS3_N6thrust23THRUST_200600_302600_NS6detail15normal_iteratorINS9_10device_ptrIKiEEEESF_NSB_INSC_IiEEEEPS5_SI_SI_NS9_4lessIiEEEE10hipError_tPvRmT0_T1_T2_T3_T4_T5_mmT6_P12ihipStream_tbEUlT_E0_NS1_11comp_targetILNS1_3genE8ELNS1_11target_archE1030ELNS1_3gpuE2ELNS1_3repE0EEENS1_30default_config_static_selectorELNS0_4arch9wavefront6targetE1EEEvSP_
	.p2align	8
	.type	_ZN7rocprim17ROCPRIM_400000_NS6detail17trampoline_kernelINS0_14default_configENS1_21merge_config_selectorIiNS0_10empty_typeEEEZNS1_10merge_implIS3_N6thrust23THRUST_200600_302600_NS6detail15normal_iteratorINS9_10device_ptrIKiEEEESF_NSB_INSC_IiEEEEPS5_SI_SI_NS9_4lessIiEEEE10hipError_tPvRmT0_T1_T2_T3_T4_T5_mmT6_P12ihipStream_tbEUlT_E0_NS1_11comp_targetILNS1_3genE8ELNS1_11target_archE1030ELNS1_3gpuE2ELNS1_3repE0EEENS1_30default_config_static_selectorELNS0_4arch9wavefront6targetE1EEEvSP_,@function
_ZN7rocprim17ROCPRIM_400000_NS6detail17trampoline_kernelINS0_14default_configENS1_21merge_config_selectorIiNS0_10empty_typeEEEZNS1_10merge_implIS3_N6thrust23THRUST_200600_302600_NS6detail15normal_iteratorINS9_10device_ptrIKiEEEESF_NSB_INSC_IiEEEEPS5_SI_SI_NS9_4lessIiEEEE10hipError_tPvRmT0_T1_T2_T3_T4_T5_mmT6_P12ihipStream_tbEUlT_E0_NS1_11comp_targetILNS1_3genE8ELNS1_11target_archE1030ELNS1_3gpuE2ELNS1_3repE0EEENS1_30default_config_static_selectorELNS0_4arch9wavefront6targetE1EEEvSP_: ; @_ZN7rocprim17ROCPRIM_400000_NS6detail17trampoline_kernelINS0_14default_configENS1_21merge_config_selectorIiNS0_10empty_typeEEEZNS1_10merge_implIS3_N6thrust23THRUST_200600_302600_NS6detail15normal_iteratorINS9_10device_ptrIKiEEEESF_NSB_INSC_IiEEEEPS5_SI_SI_NS9_4lessIiEEEE10hipError_tPvRmT0_T1_T2_T3_T4_T5_mmT6_P12ihipStream_tbEUlT_E0_NS1_11comp_targetILNS1_3genE8ELNS1_11target_archE1030ELNS1_3gpuE2ELNS1_3repE0EEENS1_30default_config_static_selectorELNS0_4arch9wavefront6targetE1EEEvSP_
; %bb.0:
	.section	.rodata,"a",@progbits
	.p2align	6, 0x0
	.amdhsa_kernel _ZN7rocprim17ROCPRIM_400000_NS6detail17trampoline_kernelINS0_14default_configENS1_21merge_config_selectorIiNS0_10empty_typeEEEZNS1_10merge_implIS3_N6thrust23THRUST_200600_302600_NS6detail15normal_iteratorINS9_10device_ptrIKiEEEESF_NSB_INSC_IiEEEEPS5_SI_SI_NS9_4lessIiEEEE10hipError_tPvRmT0_T1_T2_T3_T4_T5_mmT6_P12ihipStream_tbEUlT_E0_NS1_11comp_targetILNS1_3genE8ELNS1_11target_archE1030ELNS1_3gpuE2ELNS1_3repE0EEENS1_30default_config_static_selectorELNS0_4arch9wavefront6targetE1EEEvSP_
		.amdhsa_group_segment_fixed_size 0
		.amdhsa_private_segment_fixed_size 0
		.amdhsa_kernarg_size 88
		.amdhsa_user_sgpr_count 6
		.amdhsa_user_sgpr_private_segment_buffer 1
		.amdhsa_user_sgpr_dispatch_ptr 0
		.amdhsa_user_sgpr_queue_ptr 0
		.amdhsa_user_sgpr_kernarg_segment_ptr 1
		.amdhsa_user_sgpr_dispatch_id 0
		.amdhsa_user_sgpr_flat_scratch_init 0
		.amdhsa_user_sgpr_kernarg_preload_length 0
		.amdhsa_user_sgpr_kernarg_preload_offset 0
		.amdhsa_user_sgpr_private_segment_size 0
		.amdhsa_uses_dynamic_stack 0
		.amdhsa_system_sgpr_private_segment_wavefront_offset 0
		.amdhsa_system_sgpr_workgroup_id_x 1
		.amdhsa_system_sgpr_workgroup_id_y 0
		.amdhsa_system_sgpr_workgroup_id_z 0
		.amdhsa_system_sgpr_workgroup_info 0
		.amdhsa_system_vgpr_workitem_id 0
		.amdhsa_next_free_vgpr 1
		.amdhsa_next_free_sgpr 0
		.amdhsa_accum_offset 4
		.amdhsa_reserve_vcc 0
		.amdhsa_reserve_flat_scratch 0
		.amdhsa_float_round_mode_32 0
		.amdhsa_float_round_mode_16_64 0
		.amdhsa_float_denorm_mode_32 3
		.amdhsa_float_denorm_mode_16_64 3
		.amdhsa_dx10_clamp 1
		.amdhsa_ieee_mode 1
		.amdhsa_fp16_overflow 0
		.amdhsa_tg_split 0
		.amdhsa_exception_fp_ieee_invalid_op 0
		.amdhsa_exception_fp_denorm_src 0
		.amdhsa_exception_fp_ieee_div_zero 0
		.amdhsa_exception_fp_ieee_overflow 0
		.amdhsa_exception_fp_ieee_underflow 0
		.amdhsa_exception_fp_ieee_inexact 0
		.amdhsa_exception_int_div_zero 0
	.end_amdhsa_kernel
	.section	.text._ZN7rocprim17ROCPRIM_400000_NS6detail17trampoline_kernelINS0_14default_configENS1_21merge_config_selectorIiNS0_10empty_typeEEEZNS1_10merge_implIS3_N6thrust23THRUST_200600_302600_NS6detail15normal_iteratorINS9_10device_ptrIKiEEEESF_NSB_INSC_IiEEEEPS5_SI_SI_NS9_4lessIiEEEE10hipError_tPvRmT0_T1_T2_T3_T4_T5_mmT6_P12ihipStream_tbEUlT_E0_NS1_11comp_targetILNS1_3genE8ELNS1_11target_archE1030ELNS1_3gpuE2ELNS1_3repE0EEENS1_30default_config_static_selectorELNS0_4arch9wavefront6targetE1EEEvSP_,"axG",@progbits,_ZN7rocprim17ROCPRIM_400000_NS6detail17trampoline_kernelINS0_14default_configENS1_21merge_config_selectorIiNS0_10empty_typeEEEZNS1_10merge_implIS3_N6thrust23THRUST_200600_302600_NS6detail15normal_iteratorINS9_10device_ptrIKiEEEESF_NSB_INSC_IiEEEEPS5_SI_SI_NS9_4lessIiEEEE10hipError_tPvRmT0_T1_T2_T3_T4_T5_mmT6_P12ihipStream_tbEUlT_E0_NS1_11comp_targetILNS1_3genE8ELNS1_11target_archE1030ELNS1_3gpuE2ELNS1_3repE0EEENS1_30default_config_static_selectorELNS0_4arch9wavefront6targetE1EEEvSP_,comdat
.Lfunc_end260:
	.size	_ZN7rocprim17ROCPRIM_400000_NS6detail17trampoline_kernelINS0_14default_configENS1_21merge_config_selectorIiNS0_10empty_typeEEEZNS1_10merge_implIS3_N6thrust23THRUST_200600_302600_NS6detail15normal_iteratorINS9_10device_ptrIKiEEEESF_NSB_INSC_IiEEEEPS5_SI_SI_NS9_4lessIiEEEE10hipError_tPvRmT0_T1_T2_T3_T4_T5_mmT6_P12ihipStream_tbEUlT_E0_NS1_11comp_targetILNS1_3genE8ELNS1_11target_archE1030ELNS1_3gpuE2ELNS1_3repE0EEENS1_30default_config_static_selectorELNS0_4arch9wavefront6targetE1EEEvSP_, .Lfunc_end260-_ZN7rocprim17ROCPRIM_400000_NS6detail17trampoline_kernelINS0_14default_configENS1_21merge_config_selectorIiNS0_10empty_typeEEEZNS1_10merge_implIS3_N6thrust23THRUST_200600_302600_NS6detail15normal_iteratorINS9_10device_ptrIKiEEEESF_NSB_INSC_IiEEEEPS5_SI_SI_NS9_4lessIiEEEE10hipError_tPvRmT0_T1_T2_T3_T4_T5_mmT6_P12ihipStream_tbEUlT_E0_NS1_11comp_targetILNS1_3genE8ELNS1_11target_archE1030ELNS1_3gpuE2ELNS1_3repE0EEENS1_30default_config_static_selectorELNS0_4arch9wavefront6targetE1EEEvSP_
                                        ; -- End function
	.section	.AMDGPU.csdata,"",@progbits
; Kernel info:
; codeLenInByte = 0
; NumSgprs: 4
; NumVgprs: 0
; NumAgprs: 0
; TotalNumVgprs: 0
; ScratchSize: 0
; MemoryBound: 0
; FloatMode: 240
; IeeeMode: 1
; LDSByteSize: 0 bytes/workgroup (compile time only)
; SGPRBlocks: 0
; VGPRBlocks: 0
; NumSGPRsForWavesPerEU: 4
; NumVGPRsForWavesPerEU: 1
; AccumOffset: 4
; Occupancy: 8
; WaveLimiterHint : 0
; COMPUTE_PGM_RSRC2:SCRATCH_EN: 0
; COMPUTE_PGM_RSRC2:USER_SGPR: 6
; COMPUTE_PGM_RSRC2:TRAP_HANDLER: 0
; COMPUTE_PGM_RSRC2:TGID_X_EN: 1
; COMPUTE_PGM_RSRC2:TGID_Y_EN: 0
; COMPUTE_PGM_RSRC2:TGID_Z_EN: 0
; COMPUTE_PGM_RSRC2:TIDIG_COMP_CNT: 0
; COMPUTE_PGM_RSRC3_GFX90A:ACCUM_OFFSET: 0
; COMPUTE_PGM_RSRC3_GFX90A:TG_SPLIT: 0
	.section	.text._ZN7rocprim17ROCPRIM_400000_NS6detail17trampoline_kernelINS0_14default_configENS1_22reduce_config_selectorIN6thrust23THRUST_200600_302600_NS5tupleIblNS6_9null_typeES8_S8_S8_S8_S8_S8_S8_EEEEZNS1_11reduce_implILb1ES3_NS6_12zip_iteratorINS7_INS6_11hip_rocprim26transform_input_iterator_tIbNSD_35transform_pair_of_input_iterators_tIbNS6_6detail15normal_iteratorINS6_10device_ptrIKiEEEESL_NS6_8equal_toIiEEEENSG_9not_fun_tINSD_8identityEEEEENSD_19counting_iterator_tIlEES8_S8_S8_S8_S8_S8_S8_S8_EEEEPS9_S9_NSD_9__find_if7functorIS9_EEEE10hipError_tPvRmT1_T2_T3_mT4_P12ihipStream_tbEUlT_E0_NS1_11comp_targetILNS1_3genE0ELNS1_11target_archE4294967295ELNS1_3gpuE0ELNS1_3repE0EEENS1_30default_config_static_selectorELNS0_4arch9wavefront6targetE1EEEvS14_,"axG",@progbits,_ZN7rocprim17ROCPRIM_400000_NS6detail17trampoline_kernelINS0_14default_configENS1_22reduce_config_selectorIN6thrust23THRUST_200600_302600_NS5tupleIblNS6_9null_typeES8_S8_S8_S8_S8_S8_S8_EEEEZNS1_11reduce_implILb1ES3_NS6_12zip_iteratorINS7_INS6_11hip_rocprim26transform_input_iterator_tIbNSD_35transform_pair_of_input_iterators_tIbNS6_6detail15normal_iteratorINS6_10device_ptrIKiEEEESL_NS6_8equal_toIiEEEENSG_9not_fun_tINSD_8identityEEEEENSD_19counting_iterator_tIlEES8_S8_S8_S8_S8_S8_S8_S8_EEEEPS9_S9_NSD_9__find_if7functorIS9_EEEE10hipError_tPvRmT1_T2_T3_mT4_P12ihipStream_tbEUlT_E0_NS1_11comp_targetILNS1_3genE0ELNS1_11target_archE4294967295ELNS1_3gpuE0ELNS1_3repE0EEENS1_30default_config_static_selectorELNS0_4arch9wavefront6targetE1EEEvS14_,comdat
	.protected	_ZN7rocprim17ROCPRIM_400000_NS6detail17trampoline_kernelINS0_14default_configENS1_22reduce_config_selectorIN6thrust23THRUST_200600_302600_NS5tupleIblNS6_9null_typeES8_S8_S8_S8_S8_S8_S8_EEEEZNS1_11reduce_implILb1ES3_NS6_12zip_iteratorINS7_INS6_11hip_rocprim26transform_input_iterator_tIbNSD_35transform_pair_of_input_iterators_tIbNS6_6detail15normal_iteratorINS6_10device_ptrIKiEEEESL_NS6_8equal_toIiEEEENSG_9not_fun_tINSD_8identityEEEEENSD_19counting_iterator_tIlEES8_S8_S8_S8_S8_S8_S8_S8_EEEEPS9_S9_NSD_9__find_if7functorIS9_EEEE10hipError_tPvRmT1_T2_T3_mT4_P12ihipStream_tbEUlT_E0_NS1_11comp_targetILNS1_3genE0ELNS1_11target_archE4294967295ELNS1_3gpuE0ELNS1_3repE0EEENS1_30default_config_static_selectorELNS0_4arch9wavefront6targetE1EEEvS14_ ; -- Begin function _ZN7rocprim17ROCPRIM_400000_NS6detail17trampoline_kernelINS0_14default_configENS1_22reduce_config_selectorIN6thrust23THRUST_200600_302600_NS5tupleIblNS6_9null_typeES8_S8_S8_S8_S8_S8_S8_EEEEZNS1_11reduce_implILb1ES3_NS6_12zip_iteratorINS7_INS6_11hip_rocprim26transform_input_iterator_tIbNSD_35transform_pair_of_input_iterators_tIbNS6_6detail15normal_iteratorINS6_10device_ptrIKiEEEESL_NS6_8equal_toIiEEEENSG_9not_fun_tINSD_8identityEEEEENSD_19counting_iterator_tIlEES8_S8_S8_S8_S8_S8_S8_S8_EEEEPS9_S9_NSD_9__find_if7functorIS9_EEEE10hipError_tPvRmT1_T2_T3_mT4_P12ihipStream_tbEUlT_E0_NS1_11comp_targetILNS1_3genE0ELNS1_11target_archE4294967295ELNS1_3gpuE0ELNS1_3repE0EEENS1_30default_config_static_selectorELNS0_4arch9wavefront6targetE1EEEvS14_
	.globl	_ZN7rocprim17ROCPRIM_400000_NS6detail17trampoline_kernelINS0_14default_configENS1_22reduce_config_selectorIN6thrust23THRUST_200600_302600_NS5tupleIblNS6_9null_typeES8_S8_S8_S8_S8_S8_S8_EEEEZNS1_11reduce_implILb1ES3_NS6_12zip_iteratorINS7_INS6_11hip_rocprim26transform_input_iterator_tIbNSD_35transform_pair_of_input_iterators_tIbNS6_6detail15normal_iteratorINS6_10device_ptrIKiEEEESL_NS6_8equal_toIiEEEENSG_9not_fun_tINSD_8identityEEEEENSD_19counting_iterator_tIlEES8_S8_S8_S8_S8_S8_S8_S8_EEEEPS9_S9_NSD_9__find_if7functorIS9_EEEE10hipError_tPvRmT1_T2_T3_mT4_P12ihipStream_tbEUlT_E0_NS1_11comp_targetILNS1_3genE0ELNS1_11target_archE4294967295ELNS1_3gpuE0ELNS1_3repE0EEENS1_30default_config_static_selectorELNS0_4arch9wavefront6targetE1EEEvS14_
	.p2align	8
	.type	_ZN7rocprim17ROCPRIM_400000_NS6detail17trampoline_kernelINS0_14default_configENS1_22reduce_config_selectorIN6thrust23THRUST_200600_302600_NS5tupleIblNS6_9null_typeES8_S8_S8_S8_S8_S8_S8_EEEEZNS1_11reduce_implILb1ES3_NS6_12zip_iteratorINS7_INS6_11hip_rocprim26transform_input_iterator_tIbNSD_35transform_pair_of_input_iterators_tIbNS6_6detail15normal_iteratorINS6_10device_ptrIKiEEEESL_NS6_8equal_toIiEEEENSG_9not_fun_tINSD_8identityEEEEENSD_19counting_iterator_tIlEES8_S8_S8_S8_S8_S8_S8_S8_EEEEPS9_S9_NSD_9__find_if7functorIS9_EEEE10hipError_tPvRmT1_T2_T3_mT4_P12ihipStream_tbEUlT_E0_NS1_11comp_targetILNS1_3genE0ELNS1_11target_archE4294967295ELNS1_3gpuE0ELNS1_3repE0EEENS1_30default_config_static_selectorELNS0_4arch9wavefront6targetE1EEEvS14_,@function
_ZN7rocprim17ROCPRIM_400000_NS6detail17trampoline_kernelINS0_14default_configENS1_22reduce_config_selectorIN6thrust23THRUST_200600_302600_NS5tupleIblNS6_9null_typeES8_S8_S8_S8_S8_S8_S8_EEEEZNS1_11reduce_implILb1ES3_NS6_12zip_iteratorINS7_INS6_11hip_rocprim26transform_input_iterator_tIbNSD_35transform_pair_of_input_iterators_tIbNS6_6detail15normal_iteratorINS6_10device_ptrIKiEEEESL_NS6_8equal_toIiEEEENSG_9not_fun_tINSD_8identityEEEEENSD_19counting_iterator_tIlEES8_S8_S8_S8_S8_S8_S8_S8_EEEEPS9_S9_NSD_9__find_if7functorIS9_EEEE10hipError_tPvRmT1_T2_T3_mT4_P12ihipStream_tbEUlT_E0_NS1_11comp_targetILNS1_3genE0ELNS1_11target_archE4294967295ELNS1_3gpuE0ELNS1_3repE0EEENS1_30default_config_static_selectorELNS0_4arch9wavefront6targetE1EEEvS14_: ; @_ZN7rocprim17ROCPRIM_400000_NS6detail17trampoline_kernelINS0_14default_configENS1_22reduce_config_selectorIN6thrust23THRUST_200600_302600_NS5tupleIblNS6_9null_typeES8_S8_S8_S8_S8_S8_S8_EEEEZNS1_11reduce_implILb1ES3_NS6_12zip_iteratorINS7_INS6_11hip_rocprim26transform_input_iterator_tIbNSD_35transform_pair_of_input_iterators_tIbNS6_6detail15normal_iteratorINS6_10device_ptrIKiEEEESL_NS6_8equal_toIiEEEENSG_9not_fun_tINSD_8identityEEEEENSD_19counting_iterator_tIlEES8_S8_S8_S8_S8_S8_S8_S8_EEEEPS9_S9_NSD_9__find_if7functorIS9_EEEE10hipError_tPvRmT1_T2_T3_mT4_P12ihipStream_tbEUlT_E0_NS1_11comp_targetILNS1_3genE0ELNS1_11target_archE4294967295ELNS1_3gpuE0ELNS1_3repE0EEENS1_30default_config_static_selectorELNS0_4arch9wavefront6targetE1EEEvS14_
; %bb.0:
	.section	.rodata,"a",@progbits
	.p2align	6, 0x0
	.amdhsa_kernel _ZN7rocprim17ROCPRIM_400000_NS6detail17trampoline_kernelINS0_14default_configENS1_22reduce_config_selectorIN6thrust23THRUST_200600_302600_NS5tupleIblNS6_9null_typeES8_S8_S8_S8_S8_S8_S8_EEEEZNS1_11reduce_implILb1ES3_NS6_12zip_iteratorINS7_INS6_11hip_rocprim26transform_input_iterator_tIbNSD_35transform_pair_of_input_iterators_tIbNS6_6detail15normal_iteratorINS6_10device_ptrIKiEEEESL_NS6_8equal_toIiEEEENSG_9not_fun_tINSD_8identityEEEEENSD_19counting_iterator_tIlEES8_S8_S8_S8_S8_S8_S8_S8_EEEEPS9_S9_NSD_9__find_if7functorIS9_EEEE10hipError_tPvRmT1_T2_T3_mT4_P12ihipStream_tbEUlT_E0_NS1_11comp_targetILNS1_3genE0ELNS1_11target_archE4294967295ELNS1_3gpuE0ELNS1_3repE0EEENS1_30default_config_static_selectorELNS0_4arch9wavefront6targetE1EEEvS14_
		.amdhsa_group_segment_fixed_size 0
		.amdhsa_private_segment_fixed_size 0
		.amdhsa_kernarg_size 104
		.amdhsa_user_sgpr_count 6
		.amdhsa_user_sgpr_private_segment_buffer 1
		.amdhsa_user_sgpr_dispatch_ptr 0
		.amdhsa_user_sgpr_queue_ptr 0
		.amdhsa_user_sgpr_kernarg_segment_ptr 1
		.amdhsa_user_sgpr_dispatch_id 0
		.amdhsa_user_sgpr_flat_scratch_init 0
		.amdhsa_user_sgpr_kernarg_preload_length 0
		.amdhsa_user_sgpr_kernarg_preload_offset 0
		.amdhsa_user_sgpr_private_segment_size 0
		.amdhsa_uses_dynamic_stack 0
		.amdhsa_system_sgpr_private_segment_wavefront_offset 0
		.amdhsa_system_sgpr_workgroup_id_x 1
		.amdhsa_system_sgpr_workgroup_id_y 0
		.amdhsa_system_sgpr_workgroup_id_z 0
		.amdhsa_system_sgpr_workgroup_info 0
		.amdhsa_system_vgpr_workitem_id 0
		.amdhsa_next_free_vgpr 1
		.amdhsa_next_free_sgpr 0
		.amdhsa_accum_offset 4
		.amdhsa_reserve_vcc 0
		.amdhsa_reserve_flat_scratch 0
		.amdhsa_float_round_mode_32 0
		.amdhsa_float_round_mode_16_64 0
		.amdhsa_float_denorm_mode_32 3
		.amdhsa_float_denorm_mode_16_64 3
		.amdhsa_dx10_clamp 1
		.amdhsa_ieee_mode 1
		.amdhsa_fp16_overflow 0
		.amdhsa_tg_split 0
		.amdhsa_exception_fp_ieee_invalid_op 0
		.amdhsa_exception_fp_denorm_src 0
		.amdhsa_exception_fp_ieee_div_zero 0
		.amdhsa_exception_fp_ieee_overflow 0
		.amdhsa_exception_fp_ieee_underflow 0
		.amdhsa_exception_fp_ieee_inexact 0
		.amdhsa_exception_int_div_zero 0
	.end_amdhsa_kernel
	.section	.text._ZN7rocprim17ROCPRIM_400000_NS6detail17trampoline_kernelINS0_14default_configENS1_22reduce_config_selectorIN6thrust23THRUST_200600_302600_NS5tupleIblNS6_9null_typeES8_S8_S8_S8_S8_S8_S8_EEEEZNS1_11reduce_implILb1ES3_NS6_12zip_iteratorINS7_INS6_11hip_rocprim26transform_input_iterator_tIbNSD_35transform_pair_of_input_iterators_tIbNS6_6detail15normal_iteratorINS6_10device_ptrIKiEEEESL_NS6_8equal_toIiEEEENSG_9not_fun_tINSD_8identityEEEEENSD_19counting_iterator_tIlEES8_S8_S8_S8_S8_S8_S8_S8_EEEEPS9_S9_NSD_9__find_if7functorIS9_EEEE10hipError_tPvRmT1_T2_T3_mT4_P12ihipStream_tbEUlT_E0_NS1_11comp_targetILNS1_3genE0ELNS1_11target_archE4294967295ELNS1_3gpuE0ELNS1_3repE0EEENS1_30default_config_static_selectorELNS0_4arch9wavefront6targetE1EEEvS14_,"axG",@progbits,_ZN7rocprim17ROCPRIM_400000_NS6detail17trampoline_kernelINS0_14default_configENS1_22reduce_config_selectorIN6thrust23THRUST_200600_302600_NS5tupleIblNS6_9null_typeES8_S8_S8_S8_S8_S8_S8_EEEEZNS1_11reduce_implILb1ES3_NS6_12zip_iteratorINS7_INS6_11hip_rocprim26transform_input_iterator_tIbNSD_35transform_pair_of_input_iterators_tIbNS6_6detail15normal_iteratorINS6_10device_ptrIKiEEEESL_NS6_8equal_toIiEEEENSG_9not_fun_tINSD_8identityEEEEENSD_19counting_iterator_tIlEES8_S8_S8_S8_S8_S8_S8_S8_EEEEPS9_S9_NSD_9__find_if7functorIS9_EEEE10hipError_tPvRmT1_T2_T3_mT4_P12ihipStream_tbEUlT_E0_NS1_11comp_targetILNS1_3genE0ELNS1_11target_archE4294967295ELNS1_3gpuE0ELNS1_3repE0EEENS1_30default_config_static_selectorELNS0_4arch9wavefront6targetE1EEEvS14_,comdat
.Lfunc_end261:
	.size	_ZN7rocprim17ROCPRIM_400000_NS6detail17trampoline_kernelINS0_14default_configENS1_22reduce_config_selectorIN6thrust23THRUST_200600_302600_NS5tupleIblNS6_9null_typeES8_S8_S8_S8_S8_S8_S8_EEEEZNS1_11reduce_implILb1ES3_NS6_12zip_iteratorINS7_INS6_11hip_rocprim26transform_input_iterator_tIbNSD_35transform_pair_of_input_iterators_tIbNS6_6detail15normal_iteratorINS6_10device_ptrIKiEEEESL_NS6_8equal_toIiEEEENSG_9not_fun_tINSD_8identityEEEEENSD_19counting_iterator_tIlEES8_S8_S8_S8_S8_S8_S8_S8_EEEEPS9_S9_NSD_9__find_if7functorIS9_EEEE10hipError_tPvRmT1_T2_T3_mT4_P12ihipStream_tbEUlT_E0_NS1_11comp_targetILNS1_3genE0ELNS1_11target_archE4294967295ELNS1_3gpuE0ELNS1_3repE0EEENS1_30default_config_static_selectorELNS0_4arch9wavefront6targetE1EEEvS14_, .Lfunc_end261-_ZN7rocprim17ROCPRIM_400000_NS6detail17trampoline_kernelINS0_14default_configENS1_22reduce_config_selectorIN6thrust23THRUST_200600_302600_NS5tupleIblNS6_9null_typeES8_S8_S8_S8_S8_S8_S8_EEEEZNS1_11reduce_implILb1ES3_NS6_12zip_iteratorINS7_INS6_11hip_rocprim26transform_input_iterator_tIbNSD_35transform_pair_of_input_iterators_tIbNS6_6detail15normal_iteratorINS6_10device_ptrIKiEEEESL_NS6_8equal_toIiEEEENSG_9not_fun_tINSD_8identityEEEEENSD_19counting_iterator_tIlEES8_S8_S8_S8_S8_S8_S8_S8_EEEEPS9_S9_NSD_9__find_if7functorIS9_EEEE10hipError_tPvRmT1_T2_T3_mT4_P12ihipStream_tbEUlT_E0_NS1_11comp_targetILNS1_3genE0ELNS1_11target_archE4294967295ELNS1_3gpuE0ELNS1_3repE0EEENS1_30default_config_static_selectorELNS0_4arch9wavefront6targetE1EEEvS14_
                                        ; -- End function
	.section	.AMDGPU.csdata,"",@progbits
; Kernel info:
; codeLenInByte = 0
; NumSgprs: 4
; NumVgprs: 0
; NumAgprs: 0
; TotalNumVgprs: 0
; ScratchSize: 0
; MemoryBound: 0
; FloatMode: 240
; IeeeMode: 1
; LDSByteSize: 0 bytes/workgroup (compile time only)
; SGPRBlocks: 0
; VGPRBlocks: 0
; NumSGPRsForWavesPerEU: 4
; NumVGPRsForWavesPerEU: 1
; AccumOffset: 4
; Occupancy: 8
; WaveLimiterHint : 0
; COMPUTE_PGM_RSRC2:SCRATCH_EN: 0
; COMPUTE_PGM_RSRC2:USER_SGPR: 6
; COMPUTE_PGM_RSRC2:TRAP_HANDLER: 0
; COMPUTE_PGM_RSRC2:TGID_X_EN: 1
; COMPUTE_PGM_RSRC2:TGID_Y_EN: 0
; COMPUTE_PGM_RSRC2:TGID_Z_EN: 0
; COMPUTE_PGM_RSRC2:TIDIG_COMP_CNT: 0
; COMPUTE_PGM_RSRC3_GFX90A:ACCUM_OFFSET: 0
; COMPUTE_PGM_RSRC3_GFX90A:TG_SPLIT: 0
	.section	.text._ZN7rocprim17ROCPRIM_400000_NS6detail17trampoline_kernelINS0_14default_configENS1_22reduce_config_selectorIN6thrust23THRUST_200600_302600_NS5tupleIblNS6_9null_typeES8_S8_S8_S8_S8_S8_S8_EEEEZNS1_11reduce_implILb1ES3_NS6_12zip_iteratorINS7_INS6_11hip_rocprim26transform_input_iterator_tIbNSD_35transform_pair_of_input_iterators_tIbNS6_6detail15normal_iteratorINS6_10device_ptrIKiEEEESL_NS6_8equal_toIiEEEENSG_9not_fun_tINSD_8identityEEEEENSD_19counting_iterator_tIlEES8_S8_S8_S8_S8_S8_S8_S8_EEEEPS9_S9_NSD_9__find_if7functorIS9_EEEE10hipError_tPvRmT1_T2_T3_mT4_P12ihipStream_tbEUlT_E0_NS1_11comp_targetILNS1_3genE5ELNS1_11target_archE942ELNS1_3gpuE9ELNS1_3repE0EEENS1_30default_config_static_selectorELNS0_4arch9wavefront6targetE1EEEvS14_,"axG",@progbits,_ZN7rocprim17ROCPRIM_400000_NS6detail17trampoline_kernelINS0_14default_configENS1_22reduce_config_selectorIN6thrust23THRUST_200600_302600_NS5tupleIblNS6_9null_typeES8_S8_S8_S8_S8_S8_S8_EEEEZNS1_11reduce_implILb1ES3_NS6_12zip_iteratorINS7_INS6_11hip_rocprim26transform_input_iterator_tIbNSD_35transform_pair_of_input_iterators_tIbNS6_6detail15normal_iteratorINS6_10device_ptrIKiEEEESL_NS6_8equal_toIiEEEENSG_9not_fun_tINSD_8identityEEEEENSD_19counting_iterator_tIlEES8_S8_S8_S8_S8_S8_S8_S8_EEEEPS9_S9_NSD_9__find_if7functorIS9_EEEE10hipError_tPvRmT1_T2_T3_mT4_P12ihipStream_tbEUlT_E0_NS1_11comp_targetILNS1_3genE5ELNS1_11target_archE942ELNS1_3gpuE9ELNS1_3repE0EEENS1_30default_config_static_selectorELNS0_4arch9wavefront6targetE1EEEvS14_,comdat
	.protected	_ZN7rocprim17ROCPRIM_400000_NS6detail17trampoline_kernelINS0_14default_configENS1_22reduce_config_selectorIN6thrust23THRUST_200600_302600_NS5tupleIblNS6_9null_typeES8_S8_S8_S8_S8_S8_S8_EEEEZNS1_11reduce_implILb1ES3_NS6_12zip_iteratorINS7_INS6_11hip_rocprim26transform_input_iterator_tIbNSD_35transform_pair_of_input_iterators_tIbNS6_6detail15normal_iteratorINS6_10device_ptrIKiEEEESL_NS6_8equal_toIiEEEENSG_9not_fun_tINSD_8identityEEEEENSD_19counting_iterator_tIlEES8_S8_S8_S8_S8_S8_S8_S8_EEEEPS9_S9_NSD_9__find_if7functorIS9_EEEE10hipError_tPvRmT1_T2_T3_mT4_P12ihipStream_tbEUlT_E0_NS1_11comp_targetILNS1_3genE5ELNS1_11target_archE942ELNS1_3gpuE9ELNS1_3repE0EEENS1_30default_config_static_selectorELNS0_4arch9wavefront6targetE1EEEvS14_ ; -- Begin function _ZN7rocprim17ROCPRIM_400000_NS6detail17trampoline_kernelINS0_14default_configENS1_22reduce_config_selectorIN6thrust23THRUST_200600_302600_NS5tupleIblNS6_9null_typeES8_S8_S8_S8_S8_S8_S8_EEEEZNS1_11reduce_implILb1ES3_NS6_12zip_iteratorINS7_INS6_11hip_rocprim26transform_input_iterator_tIbNSD_35transform_pair_of_input_iterators_tIbNS6_6detail15normal_iteratorINS6_10device_ptrIKiEEEESL_NS6_8equal_toIiEEEENSG_9not_fun_tINSD_8identityEEEEENSD_19counting_iterator_tIlEES8_S8_S8_S8_S8_S8_S8_S8_EEEEPS9_S9_NSD_9__find_if7functorIS9_EEEE10hipError_tPvRmT1_T2_T3_mT4_P12ihipStream_tbEUlT_E0_NS1_11comp_targetILNS1_3genE5ELNS1_11target_archE942ELNS1_3gpuE9ELNS1_3repE0EEENS1_30default_config_static_selectorELNS0_4arch9wavefront6targetE1EEEvS14_
	.globl	_ZN7rocprim17ROCPRIM_400000_NS6detail17trampoline_kernelINS0_14default_configENS1_22reduce_config_selectorIN6thrust23THRUST_200600_302600_NS5tupleIblNS6_9null_typeES8_S8_S8_S8_S8_S8_S8_EEEEZNS1_11reduce_implILb1ES3_NS6_12zip_iteratorINS7_INS6_11hip_rocprim26transform_input_iterator_tIbNSD_35transform_pair_of_input_iterators_tIbNS6_6detail15normal_iteratorINS6_10device_ptrIKiEEEESL_NS6_8equal_toIiEEEENSG_9not_fun_tINSD_8identityEEEEENSD_19counting_iterator_tIlEES8_S8_S8_S8_S8_S8_S8_S8_EEEEPS9_S9_NSD_9__find_if7functorIS9_EEEE10hipError_tPvRmT1_T2_T3_mT4_P12ihipStream_tbEUlT_E0_NS1_11comp_targetILNS1_3genE5ELNS1_11target_archE942ELNS1_3gpuE9ELNS1_3repE0EEENS1_30default_config_static_selectorELNS0_4arch9wavefront6targetE1EEEvS14_
	.p2align	8
	.type	_ZN7rocprim17ROCPRIM_400000_NS6detail17trampoline_kernelINS0_14default_configENS1_22reduce_config_selectorIN6thrust23THRUST_200600_302600_NS5tupleIblNS6_9null_typeES8_S8_S8_S8_S8_S8_S8_EEEEZNS1_11reduce_implILb1ES3_NS6_12zip_iteratorINS7_INS6_11hip_rocprim26transform_input_iterator_tIbNSD_35transform_pair_of_input_iterators_tIbNS6_6detail15normal_iteratorINS6_10device_ptrIKiEEEESL_NS6_8equal_toIiEEEENSG_9not_fun_tINSD_8identityEEEEENSD_19counting_iterator_tIlEES8_S8_S8_S8_S8_S8_S8_S8_EEEEPS9_S9_NSD_9__find_if7functorIS9_EEEE10hipError_tPvRmT1_T2_T3_mT4_P12ihipStream_tbEUlT_E0_NS1_11comp_targetILNS1_3genE5ELNS1_11target_archE942ELNS1_3gpuE9ELNS1_3repE0EEENS1_30default_config_static_selectorELNS0_4arch9wavefront6targetE1EEEvS14_,@function
_ZN7rocprim17ROCPRIM_400000_NS6detail17trampoline_kernelINS0_14default_configENS1_22reduce_config_selectorIN6thrust23THRUST_200600_302600_NS5tupleIblNS6_9null_typeES8_S8_S8_S8_S8_S8_S8_EEEEZNS1_11reduce_implILb1ES3_NS6_12zip_iteratorINS7_INS6_11hip_rocprim26transform_input_iterator_tIbNSD_35transform_pair_of_input_iterators_tIbNS6_6detail15normal_iteratorINS6_10device_ptrIKiEEEESL_NS6_8equal_toIiEEEENSG_9not_fun_tINSD_8identityEEEEENSD_19counting_iterator_tIlEES8_S8_S8_S8_S8_S8_S8_S8_EEEEPS9_S9_NSD_9__find_if7functorIS9_EEEE10hipError_tPvRmT1_T2_T3_mT4_P12ihipStream_tbEUlT_E0_NS1_11comp_targetILNS1_3genE5ELNS1_11target_archE942ELNS1_3gpuE9ELNS1_3repE0EEENS1_30default_config_static_selectorELNS0_4arch9wavefront6targetE1EEEvS14_: ; @_ZN7rocprim17ROCPRIM_400000_NS6detail17trampoline_kernelINS0_14default_configENS1_22reduce_config_selectorIN6thrust23THRUST_200600_302600_NS5tupleIblNS6_9null_typeES8_S8_S8_S8_S8_S8_S8_EEEEZNS1_11reduce_implILb1ES3_NS6_12zip_iteratorINS7_INS6_11hip_rocprim26transform_input_iterator_tIbNSD_35transform_pair_of_input_iterators_tIbNS6_6detail15normal_iteratorINS6_10device_ptrIKiEEEESL_NS6_8equal_toIiEEEENSG_9not_fun_tINSD_8identityEEEEENSD_19counting_iterator_tIlEES8_S8_S8_S8_S8_S8_S8_S8_EEEEPS9_S9_NSD_9__find_if7functorIS9_EEEE10hipError_tPvRmT1_T2_T3_mT4_P12ihipStream_tbEUlT_E0_NS1_11comp_targetILNS1_3genE5ELNS1_11target_archE942ELNS1_3gpuE9ELNS1_3repE0EEENS1_30default_config_static_selectorELNS0_4arch9wavefront6targetE1EEEvS14_
; %bb.0:
	.section	.rodata,"a",@progbits
	.p2align	6, 0x0
	.amdhsa_kernel _ZN7rocprim17ROCPRIM_400000_NS6detail17trampoline_kernelINS0_14default_configENS1_22reduce_config_selectorIN6thrust23THRUST_200600_302600_NS5tupleIblNS6_9null_typeES8_S8_S8_S8_S8_S8_S8_EEEEZNS1_11reduce_implILb1ES3_NS6_12zip_iteratorINS7_INS6_11hip_rocprim26transform_input_iterator_tIbNSD_35transform_pair_of_input_iterators_tIbNS6_6detail15normal_iteratorINS6_10device_ptrIKiEEEESL_NS6_8equal_toIiEEEENSG_9not_fun_tINSD_8identityEEEEENSD_19counting_iterator_tIlEES8_S8_S8_S8_S8_S8_S8_S8_EEEEPS9_S9_NSD_9__find_if7functorIS9_EEEE10hipError_tPvRmT1_T2_T3_mT4_P12ihipStream_tbEUlT_E0_NS1_11comp_targetILNS1_3genE5ELNS1_11target_archE942ELNS1_3gpuE9ELNS1_3repE0EEENS1_30default_config_static_selectorELNS0_4arch9wavefront6targetE1EEEvS14_
		.amdhsa_group_segment_fixed_size 0
		.amdhsa_private_segment_fixed_size 0
		.amdhsa_kernarg_size 104
		.amdhsa_user_sgpr_count 6
		.amdhsa_user_sgpr_private_segment_buffer 1
		.amdhsa_user_sgpr_dispatch_ptr 0
		.amdhsa_user_sgpr_queue_ptr 0
		.amdhsa_user_sgpr_kernarg_segment_ptr 1
		.amdhsa_user_sgpr_dispatch_id 0
		.amdhsa_user_sgpr_flat_scratch_init 0
		.amdhsa_user_sgpr_kernarg_preload_length 0
		.amdhsa_user_sgpr_kernarg_preload_offset 0
		.amdhsa_user_sgpr_private_segment_size 0
		.amdhsa_uses_dynamic_stack 0
		.amdhsa_system_sgpr_private_segment_wavefront_offset 0
		.amdhsa_system_sgpr_workgroup_id_x 1
		.amdhsa_system_sgpr_workgroup_id_y 0
		.amdhsa_system_sgpr_workgroup_id_z 0
		.amdhsa_system_sgpr_workgroup_info 0
		.amdhsa_system_vgpr_workitem_id 0
		.amdhsa_next_free_vgpr 1
		.amdhsa_next_free_sgpr 0
		.amdhsa_accum_offset 4
		.amdhsa_reserve_vcc 0
		.amdhsa_reserve_flat_scratch 0
		.amdhsa_float_round_mode_32 0
		.amdhsa_float_round_mode_16_64 0
		.amdhsa_float_denorm_mode_32 3
		.amdhsa_float_denorm_mode_16_64 3
		.amdhsa_dx10_clamp 1
		.amdhsa_ieee_mode 1
		.amdhsa_fp16_overflow 0
		.amdhsa_tg_split 0
		.amdhsa_exception_fp_ieee_invalid_op 0
		.amdhsa_exception_fp_denorm_src 0
		.amdhsa_exception_fp_ieee_div_zero 0
		.amdhsa_exception_fp_ieee_overflow 0
		.amdhsa_exception_fp_ieee_underflow 0
		.amdhsa_exception_fp_ieee_inexact 0
		.amdhsa_exception_int_div_zero 0
	.end_amdhsa_kernel
	.section	.text._ZN7rocprim17ROCPRIM_400000_NS6detail17trampoline_kernelINS0_14default_configENS1_22reduce_config_selectorIN6thrust23THRUST_200600_302600_NS5tupleIblNS6_9null_typeES8_S8_S8_S8_S8_S8_S8_EEEEZNS1_11reduce_implILb1ES3_NS6_12zip_iteratorINS7_INS6_11hip_rocprim26transform_input_iterator_tIbNSD_35transform_pair_of_input_iterators_tIbNS6_6detail15normal_iteratorINS6_10device_ptrIKiEEEESL_NS6_8equal_toIiEEEENSG_9not_fun_tINSD_8identityEEEEENSD_19counting_iterator_tIlEES8_S8_S8_S8_S8_S8_S8_S8_EEEEPS9_S9_NSD_9__find_if7functorIS9_EEEE10hipError_tPvRmT1_T2_T3_mT4_P12ihipStream_tbEUlT_E0_NS1_11comp_targetILNS1_3genE5ELNS1_11target_archE942ELNS1_3gpuE9ELNS1_3repE0EEENS1_30default_config_static_selectorELNS0_4arch9wavefront6targetE1EEEvS14_,"axG",@progbits,_ZN7rocprim17ROCPRIM_400000_NS6detail17trampoline_kernelINS0_14default_configENS1_22reduce_config_selectorIN6thrust23THRUST_200600_302600_NS5tupleIblNS6_9null_typeES8_S8_S8_S8_S8_S8_S8_EEEEZNS1_11reduce_implILb1ES3_NS6_12zip_iteratorINS7_INS6_11hip_rocprim26transform_input_iterator_tIbNSD_35transform_pair_of_input_iterators_tIbNS6_6detail15normal_iteratorINS6_10device_ptrIKiEEEESL_NS6_8equal_toIiEEEENSG_9not_fun_tINSD_8identityEEEEENSD_19counting_iterator_tIlEES8_S8_S8_S8_S8_S8_S8_S8_EEEEPS9_S9_NSD_9__find_if7functorIS9_EEEE10hipError_tPvRmT1_T2_T3_mT4_P12ihipStream_tbEUlT_E0_NS1_11comp_targetILNS1_3genE5ELNS1_11target_archE942ELNS1_3gpuE9ELNS1_3repE0EEENS1_30default_config_static_selectorELNS0_4arch9wavefront6targetE1EEEvS14_,comdat
.Lfunc_end262:
	.size	_ZN7rocprim17ROCPRIM_400000_NS6detail17trampoline_kernelINS0_14default_configENS1_22reduce_config_selectorIN6thrust23THRUST_200600_302600_NS5tupleIblNS6_9null_typeES8_S8_S8_S8_S8_S8_S8_EEEEZNS1_11reduce_implILb1ES3_NS6_12zip_iteratorINS7_INS6_11hip_rocprim26transform_input_iterator_tIbNSD_35transform_pair_of_input_iterators_tIbNS6_6detail15normal_iteratorINS6_10device_ptrIKiEEEESL_NS6_8equal_toIiEEEENSG_9not_fun_tINSD_8identityEEEEENSD_19counting_iterator_tIlEES8_S8_S8_S8_S8_S8_S8_S8_EEEEPS9_S9_NSD_9__find_if7functorIS9_EEEE10hipError_tPvRmT1_T2_T3_mT4_P12ihipStream_tbEUlT_E0_NS1_11comp_targetILNS1_3genE5ELNS1_11target_archE942ELNS1_3gpuE9ELNS1_3repE0EEENS1_30default_config_static_selectorELNS0_4arch9wavefront6targetE1EEEvS14_, .Lfunc_end262-_ZN7rocprim17ROCPRIM_400000_NS6detail17trampoline_kernelINS0_14default_configENS1_22reduce_config_selectorIN6thrust23THRUST_200600_302600_NS5tupleIblNS6_9null_typeES8_S8_S8_S8_S8_S8_S8_EEEEZNS1_11reduce_implILb1ES3_NS6_12zip_iteratorINS7_INS6_11hip_rocprim26transform_input_iterator_tIbNSD_35transform_pair_of_input_iterators_tIbNS6_6detail15normal_iteratorINS6_10device_ptrIKiEEEESL_NS6_8equal_toIiEEEENSG_9not_fun_tINSD_8identityEEEEENSD_19counting_iterator_tIlEES8_S8_S8_S8_S8_S8_S8_S8_EEEEPS9_S9_NSD_9__find_if7functorIS9_EEEE10hipError_tPvRmT1_T2_T3_mT4_P12ihipStream_tbEUlT_E0_NS1_11comp_targetILNS1_3genE5ELNS1_11target_archE942ELNS1_3gpuE9ELNS1_3repE0EEENS1_30default_config_static_selectorELNS0_4arch9wavefront6targetE1EEEvS14_
                                        ; -- End function
	.section	.AMDGPU.csdata,"",@progbits
; Kernel info:
; codeLenInByte = 0
; NumSgprs: 4
; NumVgprs: 0
; NumAgprs: 0
; TotalNumVgprs: 0
; ScratchSize: 0
; MemoryBound: 0
; FloatMode: 240
; IeeeMode: 1
; LDSByteSize: 0 bytes/workgroup (compile time only)
; SGPRBlocks: 0
; VGPRBlocks: 0
; NumSGPRsForWavesPerEU: 4
; NumVGPRsForWavesPerEU: 1
; AccumOffset: 4
; Occupancy: 8
; WaveLimiterHint : 0
; COMPUTE_PGM_RSRC2:SCRATCH_EN: 0
; COMPUTE_PGM_RSRC2:USER_SGPR: 6
; COMPUTE_PGM_RSRC2:TRAP_HANDLER: 0
; COMPUTE_PGM_RSRC2:TGID_X_EN: 1
; COMPUTE_PGM_RSRC2:TGID_Y_EN: 0
; COMPUTE_PGM_RSRC2:TGID_Z_EN: 0
; COMPUTE_PGM_RSRC2:TIDIG_COMP_CNT: 0
; COMPUTE_PGM_RSRC3_GFX90A:ACCUM_OFFSET: 0
; COMPUTE_PGM_RSRC3_GFX90A:TG_SPLIT: 0
	.section	.text._ZN7rocprim17ROCPRIM_400000_NS6detail17trampoline_kernelINS0_14default_configENS1_22reduce_config_selectorIN6thrust23THRUST_200600_302600_NS5tupleIblNS6_9null_typeES8_S8_S8_S8_S8_S8_S8_EEEEZNS1_11reduce_implILb1ES3_NS6_12zip_iteratorINS7_INS6_11hip_rocprim26transform_input_iterator_tIbNSD_35transform_pair_of_input_iterators_tIbNS6_6detail15normal_iteratorINS6_10device_ptrIKiEEEESL_NS6_8equal_toIiEEEENSG_9not_fun_tINSD_8identityEEEEENSD_19counting_iterator_tIlEES8_S8_S8_S8_S8_S8_S8_S8_EEEEPS9_S9_NSD_9__find_if7functorIS9_EEEE10hipError_tPvRmT1_T2_T3_mT4_P12ihipStream_tbEUlT_E0_NS1_11comp_targetILNS1_3genE4ELNS1_11target_archE910ELNS1_3gpuE8ELNS1_3repE0EEENS1_30default_config_static_selectorELNS0_4arch9wavefront6targetE1EEEvS14_,"axG",@progbits,_ZN7rocprim17ROCPRIM_400000_NS6detail17trampoline_kernelINS0_14default_configENS1_22reduce_config_selectorIN6thrust23THRUST_200600_302600_NS5tupleIblNS6_9null_typeES8_S8_S8_S8_S8_S8_S8_EEEEZNS1_11reduce_implILb1ES3_NS6_12zip_iteratorINS7_INS6_11hip_rocprim26transform_input_iterator_tIbNSD_35transform_pair_of_input_iterators_tIbNS6_6detail15normal_iteratorINS6_10device_ptrIKiEEEESL_NS6_8equal_toIiEEEENSG_9not_fun_tINSD_8identityEEEEENSD_19counting_iterator_tIlEES8_S8_S8_S8_S8_S8_S8_S8_EEEEPS9_S9_NSD_9__find_if7functorIS9_EEEE10hipError_tPvRmT1_T2_T3_mT4_P12ihipStream_tbEUlT_E0_NS1_11comp_targetILNS1_3genE4ELNS1_11target_archE910ELNS1_3gpuE8ELNS1_3repE0EEENS1_30default_config_static_selectorELNS0_4arch9wavefront6targetE1EEEvS14_,comdat
	.protected	_ZN7rocprim17ROCPRIM_400000_NS6detail17trampoline_kernelINS0_14default_configENS1_22reduce_config_selectorIN6thrust23THRUST_200600_302600_NS5tupleIblNS6_9null_typeES8_S8_S8_S8_S8_S8_S8_EEEEZNS1_11reduce_implILb1ES3_NS6_12zip_iteratorINS7_INS6_11hip_rocprim26transform_input_iterator_tIbNSD_35transform_pair_of_input_iterators_tIbNS6_6detail15normal_iteratorINS6_10device_ptrIKiEEEESL_NS6_8equal_toIiEEEENSG_9not_fun_tINSD_8identityEEEEENSD_19counting_iterator_tIlEES8_S8_S8_S8_S8_S8_S8_S8_EEEEPS9_S9_NSD_9__find_if7functorIS9_EEEE10hipError_tPvRmT1_T2_T3_mT4_P12ihipStream_tbEUlT_E0_NS1_11comp_targetILNS1_3genE4ELNS1_11target_archE910ELNS1_3gpuE8ELNS1_3repE0EEENS1_30default_config_static_selectorELNS0_4arch9wavefront6targetE1EEEvS14_ ; -- Begin function _ZN7rocprim17ROCPRIM_400000_NS6detail17trampoline_kernelINS0_14default_configENS1_22reduce_config_selectorIN6thrust23THRUST_200600_302600_NS5tupleIblNS6_9null_typeES8_S8_S8_S8_S8_S8_S8_EEEEZNS1_11reduce_implILb1ES3_NS6_12zip_iteratorINS7_INS6_11hip_rocprim26transform_input_iterator_tIbNSD_35transform_pair_of_input_iterators_tIbNS6_6detail15normal_iteratorINS6_10device_ptrIKiEEEESL_NS6_8equal_toIiEEEENSG_9not_fun_tINSD_8identityEEEEENSD_19counting_iterator_tIlEES8_S8_S8_S8_S8_S8_S8_S8_EEEEPS9_S9_NSD_9__find_if7functorIS9_EEEE10hipError_tPvRmT1_T2_T3_mT4_P12ihipStream_tbEUlT_E0_NS1_11comp_targetILNS1_3genE4ELNS1_11target_archE910ELNS1_3gpuE8ELNS1_3repE0EEENS1_30default_config_static_selectorELNS0_4arch9wavefront6targetE1EEEvS14_
	.globl	_ZN7rocprim17ROCPRIM_400000_NS6detail17trampoline_kernelINS0_14default_configENS1_22reduce_config_selectorIN6thrust23THRUST_200600_302600_NS5tupleIblNS6_9null_typeES8_S8_S8_S8_S8_S8_S8_EEEEZNS1_11reduce_implILb1ES3_NS6_12zip_iteratorINS7_INS6_11hip_rocprim26transform_input_iterator_tIbNSD_35transform_pair_of_input_iterators_tIbNS6_6detail15normal_iteratorINS6_10device_ptrIKiEEEESL_NS6_8equal_toIiEEEENSG_9not_fun_tINSD_8identityEEEEENSD_19counting_iterator_tIlEES8_S8_S8_S8_S8_S8_S8_S8_EEEEPS9_S9_NSD_9__find_if7functorIS9_EEEE10hipError_tPvRmT1_T2_T3_mT4_P12ihipStream_tbEUlT_E0_NS1_11comp_targetILNS1_3genE4ELNS1_11target_archE910ELNS1_3gpuE8ELNS1_3repE0EEENS1_30default_config_static_selectorELNS0_4arch9wavefront6targetE1EEEvS14_
	.p2align	8
	.type	_ZN7rocprim17ROCPRIM_400000_NS6detail17trampoline_kernelINS0_14default_configENS1_22reduce_config_selectorIN6thrust23THRUST_200600_302600_NS5tupleIblNS6_9null_typeES8_S8_S8_S8_S8_S8_S8_EEEEZNS1_11reduce_implILb1ES3_NS6_12zip_iteratorINS7_INS6_11hip_rocprim26transform_input_iterator_tIbNSD_35transform_pair_of_input_iterators_tIbNS6_6detail15normal_iteratorINS6_10device_ptrIKiEEEESL_NS6_8equal_toIiEEEENSG_9not_fun_tINSD_8identityEEEEENSD_19counting_iterator_tIlEES8_S8_S8_S8_S8_S8_S8_S8_EEEEPS9_S9_NSD_9__find_if7functorIS9_EEEE10hipError_tPvRmT1_T2_T3_mT4_P12ihipStream_tbEUlT_E0_NS1_11comp_targetILNS1_3genE4ELNS1_11target_archE910ELNS1_3gpuE8ELNS1_3repE0EEENS1_30default_config_static_selectorELNS0_4arch9wavefront6targetE1EEEvS14_,@function
_ZN7rocprim17ROCPRIM_400000_NS6detail17trampoline_kernelINS0_14default_configENS1_22reduce_config_selectorIN6thrust23THRUST_200600_302600_NS5tupleIblNS6_9null_typeES8_S8_S8_S8_S8_S8_S8_EEEEZNS1_11reduce_implILb1ES3_NS6_12zip_iteratorINS7_INS6_11hip_rocprim26transform_input_iterator_tIbNSD_35transform_pair_of_input_iterators_tIbNS6_6detail15normal_iteratorINS6_10device_ptrIKiEEEESL_NS6_8equal_toIiEEEENSG_9not_fun_tINSD_8identityEEEEENSD_19counting_iterator_tIlEES8_S8_S8_S8_S8_S8_S8_S8_EEEEPS9_S9_NSD_9__find_if7functorIS9_EEEE10hipError_tPvRmT1_T2_T3_mT4_P12ihipStream_tbEUlT_E0_NS1_11comp_targetILNS1_3genE4ELNS1_11target_archE910ELNS1_3gpuE8ELNS1_3repE0EEENS1_30default_config_static_selectorELNS0_4arch9wavefront6targetE1EEEvS14_: ; @_ZN7rocprim17ROCPRIM_400000_NS6detail17trampoline_kernelINS0_14default_configENS1_22reduce_config_selectorIN6thrust23THRUST_200600_302600_NS5tupleIblNS6_9null_typeES8_S8_S8_S8_S8_S8_S8_EEEEZNS1_11reduce_implILb1ES3_NS6_12zip_iteratorINS7_INS6_11hip_rocprim26transform_input_iterator_tIbNSD_35transform_pair_of_input_iterators_tIbNS6_6detail15normal_iteratorINS6_10device_ptrIKiEEEESL_NS6_8equal_toIiEEEENSG_9not_fun_tINSD_8identityEEEEENSD_19counting_iterator_tIlEES8_S8_S8_S8_S8_S8_S8_S8_EEEEPS9_S9_NSD_9__find_if7functorIS9_EEEE10hipError_tPvRmT1_T2_T3_mT4_P12ihipStream_tbEUlT_E0_NS1_11comp_targetILNS1_3genE4ELNS1_11target_archE910ELNS1_3gpuE8ELNS1_3repE0EEENS1_30default_config_static_selectorELNS0_4arch9wavefront6targetE1EEEvS14_
; %bb.0:
	s_load_dwordx8 s[8:15], s[4:5], 0x20
	s_load_dwordx4 s[0:3], s[4:5], 0x0
	s_load_dwordx4 s[16:19], s[4:5], 0x40
	s_mov_b32 s25, 0
	s_mov_b32 s7, s25
	s_waitcnt lgkmcnt(0)
	s_lshl_b64 s[20:21], s[10:11], 2
	s_add_u32 s22, s0, s20
	s_addc_u32 s23, s1, s21
	s_add_u32 s26, s2, s20
	s_addc_u32 s27, s3, s21
	s_lshl_b32 s24, s6, 9
	s_lshr_b64 s[0:1], s[12:13], 9
	s_lshl_b64 s[2:3], s[24:25], 2
	s_add_u32 s20, s22, s2
	s_addc_u32 s21, s23, s3
	s_add_u32 s22, s26, s2
	s_addc_u32 s23, s27, s3
	;; [unrolled: 2-line block ×4, first 2 shown]
	s_cmp_lg_u64 s[0:1], s[6:7]
	v_lshlrev_b32_e32 v1, 2, v0
	s_cbranch_scc0 .LBB263_18
; %bb.1:
	global_load_dword v2, v1, s[22:23] offset:1024
	global_load_dword v3, v1, s[22:23]
	global_load_dword v4, v1, s[20:21] offset:1024
	global_load_dword v5, v1, s[20:21]
	v_mov_b32_e32 v6, s9
	v_add_co_u32_e32 v7, vcc, s8, v0
	v_addc_co_u32_e32 v6, vcc, 0, v6, vcc
	v_add_co_u32_e32 v8, vcc, 0x100, v7
	v_addc_co_u32_e32 v9, vcc, 0, v6, vcc
	s_waitcnt vmcnt(1)
	v_cmp_ne_u32_e32 vcc, v4, v2
	s_waitcnt vmcnt(0)
	v_cmp_ne_u32_e64 s[0:1], v5, v3
	v_cndmask_b32_e64 v3, v9, v6, s[0:1]
	v_cndmask_b32_e64 v2, v8, v7, s[0:1]
	s_or_b64 s[0:1], s[0:1], vcc
	v_cndmask_b32_e64 v6, 0, 1, s[0:1]
	v_mov_b32_dpp v4, v2 quad_perm:[1,0,3,2] row_mask:0xf bank_mask:0xf bound_ctrl:1
	v_mov_b32_dpp v5, v3 quad_perm:[1,0,3,2] row_mask:0xf bank_mask:0xf bound_ctrl:1
	;; [unrolled: 1-line block ×3, first 2 shown]
	v_and_b32_e32 v8, 1, v7
	v_cmp_eq_u32_e32 vcc, 1, v8
	s_and_saveexec_b64 s[2:3], vcc
; %bb.2:
	v_cmp_lt_i64_e32 vcc, v[2:3], v[4:5]
	v_cndmask_b32_e64 v7, v7, 1, s[0:1]
	s_and_b64 vcc, s[0:1], vcc
	v_cndmask_b32_e32 v2, v4, v2, vcc
	v_and_b32_e32 v4, 1, v7
	v_cndmask_b32_e32 v3, v5, v3, vcc
	v_cmp_eq_u32_e32 vcc, 1, v4
	s_andn2_b64 s[0:1], s[0:1], exec
	s_and_b64 s[10:11], vcc, exec
	v_and_b32_e32 v6, 0xff, v7
	s_or_b64 s[0:1], s[0:1], s[10:11]
; %bb.3:
	s_or_b64 exec, exec, s[2:3]
	v_mov_b32_dpp v7, v6 quad_perm:[2,3,0,1] row_mask:0xf bank_mask:0xf bound_ctrl:1
	v_and_b32_e32 v8, 1, v7
	v_mov_b32_dpp v4, v2 quad_perm:[2,3,0,1] row_mask:0xf bank_mask:0xf bound_ctrl:1
	v_mov_b32_dpp v5, v3 quad_perm:[2,3,0,1] row_mask:0xf bank_mask:0xf bound_ctrl:1
	v_cmp_eq_u32_e32 vcc, 1, v8
	s_and_saveexec_b64 s[2:3], vcc
; %bb.4:
	v_cmp_lt_i64_e32 vcc, v[2:3], v[4:5]
	v_cndmask_b32_e64 v7, v7, 1, s[0:1]
	s_and_b64 vcc, s[0:1], vcc
	v_cndmask_b32_e32 v2, v4, v2, vcc
	v_and_b32_e32 v4, 1, v7
	v_cndmask_b32_e32 v3, v5, v3, vcc
	v_cmp_eq_u32_e32 vcc, 1, v4
	s_andn2_b64 s[0:1], s[0:1], exec
	s_and_b64 s[10:11], vcc, exec
	v_and_b32_e32 v6, 0xff, v7
	s_or_b64 s[0:1], s[0:1], s[10:11]
; %bb.5:
	s_or_b64 exec, exec, s[2:3]
	v_mov_b32_dpp v7, v6 row_ror:4 row_mask:0xf bank_mask:0xf bound_ctrl:1
	v_and_b32_e32 v8, 1, v7
	v_mov_b32_dpp v4, v2 row_ror:4 row_mask:0xf bank_mask:0xf bound_ctrl:1
	v_mov_b32_dpp v5, v3 row_ror:4 row_mask:0xf bank_mask:0xf bound_ctrl:1
	v_cmp_eq_u32_e32 vcc, 1, v8
	s_and_saveexec_b64 s[2:3], vcc
; %bb.6:
	v_cmp_lt_i64_e32 vcc, v[2:3], v[4:5]
	v_cndmask_b32_e64 v7, v7, 1, s[0:1]
	s_and_b64 vcc, s[0:1], vcc
	v_cndmask_b32_e32 v2, v4, v2, vcc
	v_and_b32_e32 v4, 1, v7
	v_cndmask_b32_e32 v3, v5, v3, vcc
	v_cmp_eq_u32_e32 vcc, 1, v4
	s_andn2_b64 s[0:1], s[0:1], exec
	s_and_b64 s[10:11], vcc, exec
	v_and_b32_e32 v6, 0xff, v7
	s_or_b64 s[0:1], s[0:1], s[10:11]
; %bb.7:
	s_or_b64 exec, exec, s[2:3]
	v_mov_b32_dpp v7, v6 row_ror:8 row_mask:0xf bank_mask:0xf bound_ctrl:1
	v_and_b32_e32 v8, 1, v7
	v_mov_b32_dpp v4, v2 row_ror:8 row_mask:0xf bank_mask:0xf bound_ctrl:1
	v_mov_b32_dpp v5, v3 row_ror:8 row_mask:0xf bank_mask:0xf bound_ctrl:1
	v_cmp_eq_u32_e32 vcc, 1, v8
	s_and_saveexec_b64 s[2:3], vcc
; %bb.8:
	v_cmp_lt_i64_e32 vcc, v[2:3], v[4:5]
	v_cndmask_b32_e64 v7, v7, 1, s[0:1]
	s_and_b64 vcc, s[0:1], vcc
	v_cndmask_b32_e32 v2, v4, v2, vcc
	v_and_b32_e32 v4, 1, v7
	v_cndmask_b32_e32 v3, v5, v3, vcc
	v_cmp_eq_u32_e32 vcc, 1, v4
	s_andn2_b64 s[0:1], s[0:1], exec
	s_and_b64 s[10:11], vcc, exec
	v_and_b32_e32 v6, 0xff, v7
	s_or_b64 s[0:1], s[0:1], s[10:11]
; %bb.9:
	s_or_b64 exec, exec, s[2:3]
	v_mov_b32_dpp v7, v6 row_bcast:15 row_mask:0xf bank_mask:0xf bound_ctrl:1
	v_and_b32_e32 v8, 1, v7
	v_mov_b32_dpp v4, v2 row_bcast:15 row_mask:0xf bank_mask:0xf bound_ctrl:1
	v_mov_b32_dpp v5, v3 row_bcast:15 row_mask:0xf bank_mask:0xf bound_ctrl:1
	v_cmp_eq_u32_e32 vcc, 1, v8
	s_and_saveexec_b64 s[2:3], vcc
; %bb.10:
	v_cmp_lt_i64_e32 vcc, v[2:3], v[4:5]
	v_cndmask_b32_e64 v7, v7, 1, s[0:1]
	s_and_b64 vcc, s[0:1], vcc
	v_cndmask_b32_e32 v2, v4, v2, vcc
	v_and_b32_e32 v4, 1, v7
	v_cndmask_b32_e32 v3, v5, v3, vcc
	v_cmp_eq_u32_e32 vcc, 1, v4
	s_andn2_b64 s[0:1], s[0:1], exec
	s_and_b64 s[10:11], vcc, exec
	v_and_b32_e32 v6, 0xff, v7
	s_or_b64 s[0:1], s[0:1], s[10:11]
; %bb.11:
	s_or_b64 exec, exec, s[2:3]
	v_mov_b32_dpp v7, v6 row_bcast:31 row_mask:0xf bank_mask:0xf bound_ctrl:1
	v_and_b32_e32 v8, 1, v7
	v_mov_b32_dpp v4, v2 row_bcast:31 row_mask:0xf bank_mask:0xf bound_ctrl:1
	v_mov_b32_dpp v5, v3 row_bcast:31 row_mask:0xf bank_mask:0xf bound_ctrl:1
	v_cmp_eq_u32_e32 vcc, 1, v8
	s_and_saveexec_b64 s[2:3], vcc
; %bb.12:
	v_cmp_lt_i64_e32 vcc, v[2:3], v[4:5]
	v_and_b32_e32 v6, 0xff, v7
	s_and_b64 vcc, s[0:1], vcc
	v_cndmask_b32_e32 v2, v4, v2, vcc
	v_cndmask_b32_e32 v3, v5, v3, vcc
	v_cndmask_b32_e64 v6, v6, 1, s[0:1]
; %bb.13:
	s_or_b64 exec, exec, s[2:3]
	v_mbcnt_lo_u32_b32 v4, -1, 0
	v_mbcnt_hi_u32_b32 v4, -1, v4
	v_bfrev_b32_e32 v5, 0.5
	v_lshl_or_b32 v5, v4, 2, v5
	ds_bpermute_b32 v6, v5, v6
	ds_bpermute_b32 v2, v5, v2
	ds_bpermute_b32 v3, v5, v3
	v_cmp_eq_u32_e32 vcc, 0, v4
	s_and_saveexec_b64 s[0:1], vcc
	s_cbranch_execz .LBB263_15
; %bb.14:
	v_lshrrev_b32_e32 v5, 2, v0
	v_and_b32_e32 v5, 48, v5
	s_waitcnt lgkmcnt(2)
	ds_write_b8 v5, v6
	s_waitcnt lgkmcnt(1)
	ds_write_b64 v5, v[2:3] offset:8
.LBB263_15:
	s_or_b64 exec, exec, s[0:1]
	v_cmp_gt_u32_e32 vcc, 64, v0
	s_waitcnt lgkmcnt(0)
	s_barrier
	s_and_saveexec_b64 s[2:3], vcc
	s_cbranch_execz .LBB263_17
; %bb.16:
	v_and_b32_e32 v5, 3, v4
	v_lshlrev_b32_e32 v2, 4, v5
	ds_read_u8 v8, v2
	ds_read_b64 v[2:3], v2 offset:8
	v_cmp_ne_u32_e32 vcc, 3, v5
	v_addc_co_u32_e32 v6, vcc, 0, v4, vcc
	s_waitcnt lgkmcnt(1)
	v_and_b32_e32 v7, 0xff, v8
	v_lshlrev_b32_e32 v9, 2, v6
	ds_bpermute_b32 v10, v9, v7
	s_waitcnt lgkmcnt(1)
	ds_bpermute_b32 v6, v9, v2
	ds_bpermute_b32 v7, v9, v3
	v_and_b32_e32 v9, 1, v8
	s_waitcnt lgkmcnt(2)
	v_and_b32_e32 v11, 1, v10
	v_cmp_eq_u32_e64 s[0:1], 1, v11
	s_waitcnt lgkmcnt(0)
	v_cmp_lt_i64_e32 vcc, v[6:7], v[2:3]
	s_and_b64 vcc, s[0:1], vcc
	v_cndmask_b32_e64 v8, v8, 1, s[0:1]
	v_cndmask_b32_e32 v2, v2, v6, vcc
	v_cndmask_b32_e32 v3, v3, v7, vcc
	v_cmp_eq_u32_e32 vcc, 1, v9
	v_cndmask_b32_e32 v8, v10, v8, vcc
	v_cndmask_b32_e32 v3, v7, v3, vcc
	;; [unrolled: 1-line block ×3, first 2 shown]
	v_cmp_gt_u32_e32 vcc, 2, v5
	v_cndmask_b32_e64 v5, 0, 1, vcc
	v_lshlrev_b32_e32 v5, 1, v5
	v_and_b32_e32 v6, 0xff, v8
	v_add_lshl_u32 v5, v5, v4, 2
	ds_bpermute_b32 v6, v5, v6
	ds_bpermute_b32 v4, v5, v2
	ds_bpermute_b32 v5, v5, v3
	v_and_b32_e32 v7, 1, v8
	s_waitcnt lgkmcnt(2)
	v_and_b32_e32 v9, 1, v6
	v_cmp_eq_u32_e64 s[0:1], 1, v9
	s_waitcnt lgkmcnt(0)
	v_cmp_lt_i64_e32 vcc, v[4:5], v[2:3]
	s_and_b64 vcc, s[0:1], vcc
	v_cndmask_b32_e64 v8, v8, 1, s[0:1]
	v_cndmask_b32_e32 v2, v2, v4, vcc
	v_cndmask_b32_e32 v3, v3, v5, vcc
	v_cmp_eq_u32_e32 vcc, 1, v7
	v_cndmask_b32_e32 v6, v6, v8, vcc
	v_cndmask_b32_e32 v3, v5, v3, vcc
	;; [unrolled: 1-line block ×3, first 2 shown]
	v_and_b32_e32 v6, 0xff, v6
.LBB263_17:
	s_or_b64 exec, exec, s[2:3]
	s_load_dword s10, s[4:5], 0x50
	s_load_dwordx2 s[2:3], s[4:5], 0x58
	s_branch .LBB263_46
.LBB263_18:
                                        ; implicit-def: $vgpr2_vgpr3
                                        ; implicit-def: $vgpr6
	s_load_dword s10, s[4:5], 0x50
	s_load_dwordx2 s[2:3], s[4:5], 0x58
	s_cbranch_execz .LBB263_46
; %bb.19:
	s_sub_i32 s11, s12, s24
	v_pk_mov_b32 v[4:5], 0, 0
	v_cmp_gt_u32_e32 vcc, s11, v0
	v_mov_b32_e32 v6, 0
	v_pk_mov_b32 v[2:3], v[4:5], v[4:5] op_sel:[0,1]
	v_mov_b32_e32 v7, 0
	s_and_saveexec_b64 s[0:1], vcc
	s_cbranch_execz .LBB263_21
; %bb.20:
	global_load_dword v7, v1, s[20:21]
	global_load_dword v8, v1, s[22:23]
	v_mov_b32_e32 v3, s9
	v_add_co_u32_e32 v2, vcc, s8, v0
	v_addc_co_u32_e32 v3, vcc, 0, v3, vcc
	s_waitcnt vmcnt(0)
	v_cmp_ne_u32_e32 vcc, v7, v8
	v_cndmask_b32_e64 v7, 0, 1, vcc
.LBB263_21:
	s_or_b64 exec, exec, s[0:1]
	v_or_b32_e32 v8, 0x100, v0
	v_cmp_gt_u32_e32 vcc, s11, v8
	s_and_saveexec_b64 s[4:5], vcc
	s_cbranch_execz .LBB263_23
; %bb.22:
	global_load_dword v6, v1, s[20:21] offset:1024
	global_load_dword v9, v1, s[22:23] offset:1024
	v_mov_b32_e32 v1, s9
	v_add_co_u32_e64 v4, s[0:1], s8, v8
	v_addc_co_u32_e64 v5, s[0:1], 0, v1, s[0:1]
	s_waitcnt vmcnt(0)
	v_cmp_ne_u32_e64 s[0:1], v6, v9
	v_cndmask_b32_e64 v6, 0, 1, s[0:1]
.LBB263_23:
	s_or_b64 exec, exec, s[4:5]
	s_and_saveexec_b64 s[4:5], vcc
	s_cbranch_execz .LBB263_25
; %bb.24:
	v_and_b32_e32 v8, 1, v6
	v_cmp_lt_i64_e32 vcc, v[4:5], v[2:3]
	v_cmp_eq_u32_e64 s[0:1], 1, v8
	v_and_b32_e32 v1, 1, v7
	s_and_b64 vcc, s[0:1], vcc
	v_cndmask_b32_e64 v7, v7, 1, s[0:1]
	v_cndmask_b32_e32 v2, v2, v4, vcc
	v_cndmask_b32_e32 v3, v3, v5, vcc
	v_cmp_eq_u32_e32 vcc, 1, v1
	v_cndmask_b32_e32 v7, v6, v7, vcc
	v_cndmask_b32_e32 v3, v5, v3, vcc
	;; [unrolled: 1-line block ×3, first 2 shown]
.LBB263_25:
	s_or_b64 exec, exec, s[4:5]
	v_mbcnt_lo_u32_b32 v1, -1, 0
	v_mbcnt_hi_u32_b32 v1, -1, v1
	v_and_b32_e32 v8, 63, v1
	v_cmp_ne_u32_e32 vcc, 63, v8
	v_addc_co_u32_e32 v4, vcc, 0, v1, vcc
	v_and_b32_e32 v6, 0xffff, v7
	v_lshlrev_b32_e32 v5, 2, v4
	ds_bpermute_b32 v10, v5, v6
	ds_bpermute_b32 v4, v5, v2
	;; [unrolled: 1-line block ×3, first 2 shown]
	s_min_u32 s8, s11, 0x100
	v_and_b32_e32 v9, 0xc0, v0
	v_sub_u32_e64 v9, s8, v9 clamp
	v_add_u32_e32 v11, 1, v8
	v_cmp_lt_u32_e32 vcc, v11, v9
	s_and_saveexec_b64 s[4:5], vcc
	s_cbranch_execz .LBB263_27
; %bb.26:
	s_waitcnt lgkmcnt(0)
	v_and_b32_e32 v11, 1, v10
	v_cmp_lt_i64_e32 vcc, v[4:5], v[2:3]
	v_cmp_eq_u32_e64 s[0:1], 1, v11
	v_and_b32_e32 v6, 1, v7
	s_and_b64 vcc, s[0:1], vcc
	v_cndmask_b32_e64 v7, v7, 1, s[0:1]
	v_cndmask_b32_e32 v2, v2, v4, vcc
	v_cndmask_b32_e32 v3, v3, v5, vcc
	v_cmp_eq_u32_e32 vcc, 1, v6
	v_cndmask_b32_e32 v7, v10, v7, vcc
	v_cndmask_b32_e32 v3, v5, v3, vcc
	;; [unrolled: 1-line block ×3, first 2 shown]
	v_and_b32_e32 v6, 0xff, v7
.LBB263_27:
	s_or_b64 exec, exec, s[4:5]
	v_cmp_gt_u32_e32 vcc, 62, v8
	s_waitcnt lgkmcnt(0)
	v_cndmask_b32_e64 v4, 0, 1, vcc
	v_lshlrev_b32_e32 v4, 1, v4
	v_add_lshl_u32 v5, v4, v1, 2
	ds_bpermute_b32 v10, v5, v6
	ds_bpermute_b32 v4, v5, v2
	ds_bpermute_b32 v5, v5, v3
	v_add_u32_e32 v11, 2, v8
	v_cmp_lt_u32_e32 vcc, v11, v9
	s_and_saveexec_b64 s[4:5], vcc
	s_cbranch_execz .LBB263_29
; %bb.28:
	s_waitcnt lgkmcnt(2)
	v_and_b32_e32 v11, 1, v10
	s_waitcnt lgkmcnt(0)
	v_cmp_lt_i64_e32 vcc, v[4:5], v[2:3]
	v_cmp_eq_u32_e64 s[0:1], 1, v11
	v_and_b32_e32 v6, 1, v7
	s_and_b64 vcc, s[0:1], vcc
	v_cndmask_b32_e64 v7, v7, 1, s[0:1]
	v_cndmask_b32_e32 v2, v2, v4, vcc
	v_cndmask_b32_e32 v3, v3, v5, vcc
	v_cmp_eq_u32_e32 vcc, 1, v6
	v_cndmask_b32_e32 v7, v10, v7, vcc
	v_cndmask_b32_e32 v3, v5, v3, vcc
	v_cndmask_b32_e32 v2, v4, v2, vcc
	v_and_b32_e32 v6, 0xff, v7
.LBB263_29:
	s_or_b64 exec, exec, s[4:5]
	v_cmp_gt_u32_e32 vcc, 60, v8
	s_waitcnt lgkmcnt(1)
	v_cndmask_b32_e64 v4, 0, 1, vcc
	v_lshlrev_b32_e32 v4, 2, v4
	s_waitcnt lgkmcnt(0)
	v_add_lshl_u32 v5, v4, v1, 2
	ds_bpermute_b32 v10, v5, v6
	ds_bpermute_b32 v4, v5, v2
	ds_bpermute_b32 v5, v5, v3
	v_add_u32_e32 v11, 4, v8
	v_cmp_lt_u32_e32 vcc, v11, v9
	s_and_saveexec_b64 s[4:5], vcc
	s_cbranch_execz .LBB263_31
; %bb.30:
	s_waitcnt lgkmcnt(2)
	v_and_b32_e32 v11, 1, v10
	s_waitcnt lgkmcnt(0)
	v_cmp_lt_i64_e32 vcc, v[4:5], v[2:3]
	v_cmp_eq_u32_e64 s[0:1], 1, v11
	v_and_b32_e32 v6, 1, v7
	s_and_b64 vcc, s[0:1], vcc
	v_cndmask_b32_e64 v7, v7, 1, s[0:1]
	v_cndmask_b32_e32 v2, v2, v4, vcc
	v_cndmask_b32_e32 v3, v3, v5, vcc
	v_cmp_eq_u32_e32 vcc, 1, v6
	v_cndmask_b32_e32 v7, v10, v7, vcc
	v_cndmask_b32_e32 v3, v5, v3, vcc
	v_cndmask_b32_e32 v2, v4, v2, vcc
	v_and_b32_e32 v6, 0xff, v7
.LBB263_31:
	s_or_b64 exec, exec, s[4:5]
	v_cmp_gt_u32_e32 vcc, 56, v8
	s_waitcnt lgkmcnt(1)
	v_cndmask_b32_e64 v4, 0, 1, vcc
	v_lshlrev_b32_e32 v4, 3, v4
	s_waitcnt lgkmcnt(0)
	;; [unrolled: 31-line block ×4, first 2 shown]
	v_add_lshl_u32 v5, v4, v1, 2
	ds_bpermute_b32 v10, v5, v6
	ds_bpermute_b32 v4, v5, v2
	;; [unrolled: 1-line block ×3, first 2 shown]
	v_add_u32_e32 v8, 32, v8
	v_cmp_lt_u32_e32 vcc, v8, v9
	s_and_saveexec_b64 s[4:5], vcc
	s_cbranch_execz .LBB263_37
; %bb.36:
	s_waitcnt lgkmcnt(2)
	v_and_b32_e32 v8, 1, v10
	s_waitcnt lgkmcnt(0)
	v_cmp_lt_i64_e32 vcc, v[4:5], v[2:3]
	v_cmp_eq_u32_e64 s[0:1], 1, v8
	v_and_b32_e32 v6, 1, v7
	s_and_b64 vcc, s[0:1], vcc
	v_cndmask_b32_e64 v7, v7, 1, s[0:1]
	v_cndmask_b32_e32 v2, v2, v4, vcc
	v_cndmask_b32_e32 v3, v3, v5, vcc
	v_cmp_eq_u32_e32 vcc, 1, v6
	v_cndmask_b32_e32 v7, v10, v7, vcc
	v_cndmask_b32_e32 v3, v5, v3, vcc
	;; [unrolled: 1-line block ×3, first 2 shown]
	v_and_b32_e32 v6, 0xff, v7
.LBB263_37:
	s_or_b64 exec, exec, s[4:5]
	v_cmp_eq_u32_e32 vcc, 0, v1
	s_and_saveexec_b64 s[0:1], vcc
	s_cbranch_execz .LBB263_39
; %bb.38:
	s_waitcnt lgkmcnt(1)
	v_lshrrev_b32_e32 v4, 2, v0
	v_and_b32_e32 v4, 48, v4
	ds_write_b8 v4, v7 offset:64
	ds_write_b64 v4, v[2:3] offset:72
.LBB263_39:
	s_or_b64 exec, exec, s[0:1]
	v_cmp_gt_u32_e32 vcc, 4, v0
	s_waitcnt lgkmcnt(0)
	s_barrier
	s_and_saveexec_b64 s[4:5], vcc
	s_cbranch_execz .LBB263_45
; %bb.40:
	v_lshlrev_b32_e32 v2, 4, v1
	ds_read_u8 v7, v2 offset:64
	ds_read_b64 v[2:3], v2 offset:72
	v_and_b32_e32 v8, 3, v1
	v_cmp_ne_u32_e32 vcc, 3, v8
	v_addc_co_u32_e32 v4, vcc, 0, v1, vcc
	s_waitcnt lgkmcnt(1)
	v_and_b32_e32 v6, 0xff, v7
	v_lshlrev_b32_e32 v5, 2, v4
	ds_bpermute_b32 v9, v5, v6
	s_waitcnt lgkmcnt(1)
	ds_bpermute_b32 v4, v5, v2
	ds_bpermute_b32 v5, v5, v3
	s_add_i32 s8, s8, 63
	s_lshr_b32 s11, s8, 6
	v_add_u32_e32 v10, 1, v8
	v_cmp_gt_u32_e32 vcc, s11, v10
	s_and_saveexec_b64 s[8:9], vcc
	s_cbranch_execz .LBB263_42
; %bb.41:
	s_waitcnt lgkmcnt(2)
	v_and_b32_e32 v10, 1, v9
	s_waitcnt lgkmcnt(0)
	v_cmp_lt_i64_e32 vcc, v[4:5], v[2:3]
	v_cmp_eq_u32_e64 s[0:1], 1, v10
	v_and_b32_e32 v6, 1, v7
	s_and_b64 vcc, s[0:1], vcc
	v_cndmask_b32_e64 v7, v7, 1, s[0:1]
	v_cndmask_b32_e32 v2, v2, v4, vcc
	v_cndmask_b32_e32 v3, v3, v5, vcc
	v_cmp_eq_u32_e32 vcc, 1, v6
	v_cndmask_b32_e32 v7, v9, v7, vcc
	v_cndmask_b32_e32 v3, v5, v3, vcc
	;; [unrolled: 1-line block ×3, first 2 shown]
	v_and_b32_e32 v6, 0xff, v7
.LBB263_42:
	s_or_b64 exec, exec, s[8:9]
	v_cmp_gt_u32_e32 vcc, 2, v8
	s_waitcnt lgkmcnt(1)
	v_cndmask_b32_e64 v4, 0, 1, vcc
	v_lshlrev_b32_e32 v4, 1, v4
	s_waitcnt lgkmcnt(0)
	v_add_lshl_u32 v5, v4, v1, 2
	ds_bpermute_b32 v1, v5, v6
	ds_bpermute_b32 v4, v5, v2
	;; [unrolled: 1-line block ×3, first 2 shown]
	v_add_u32_e32 v8, 2, v8
	v_cmp_gt_u32_e32 vcc, s11, v8
	s_and_saveexec_b64 s[8:9], vcc
	s_cbranch_execz .LBB263_44
; %bb.43:
	s_waitcnt lgkmcnt(2)
	v_and_b32_e32 v8, 1, v1
	s_waitcnt lgkmcnt(0)
	v_cmp_lt_i64_e32 vcc, v[4:5], v[2:3]
	v_cmp_eq_u32_e64 s[0:1], 1, v8
	v_and_b32_e32 v6, 1, v7
	s_and_b64 vcc, s[0:1], vcc
	v_cndmask_b32_e64 v7, v7, 1, s[0:1]
	v_cndmask_b32_e32 v2, v2, v4, vcc
	v_cndmask_b32_e32 v3, v3, v5, vcc
	v_cmp_eq_u32_e32 vcc, 1, v6
	v_cndmask_b32_e32 v1, v1, v7, vcc
	v_cndmask_b32_e32 v3, v5, v3, vcc
	;; [unrolled: 1-line block ×3, first 2 shown]
	v_and_b32_e32 v6, 0xff, v1
.LBB263_44:
	s_or_b64 exec, exec, s[8:9]
.LBB263_45:
	s_or_b64 exec, exec, s[4:5]
.LBB263_46:
	v_cmp_eq_u32_e32 vcc, 0, v0
	s_and_saveexec_b64 s[0:1], vcc
	s_cbranch_execnz .LBB263_48
; %bb.47:
	s_endpgm
.LBB263_48:
	s_mul_i32 s0, s18, s17
	s_mul_hi_u32 s1, s18, s16
	s_add_i32 s0, s1, s0
	s_mul_i32 s1, s19, s16
	s_add_i32 s1, s0, s1
	s_mul_i32 s0, s18, s16
	s_lshl_b64 s[0:1], s[0:1], 4
	s_add_u32 s4, s14, s0
	s_addc_u32 s5, s15, s1
	s_cmp_eq_u64 s[12:13], 0
	s_waitcnt lgkmcnt(0)
	v_mov_b32_e32 v0, s3
	s_cselect_b64 vcc, -1, 0
	v_cndmask_b32_e32 v1, v3, v0, vcc
	v_mov_b32_e32 v0, s2
	s_lshl_b64 s[0:1], s[6:7], 4
	v_cndmask_b32_e32 v0, v2, v0, vcc
	v_mov_b32_e32 v2, s10
	s_add_u32 s0, s4, s0
	v_cndmask_b32_e32 v2, v6, v2, vcc
	s_addc_u32 s1, s5, s1
	v_mov_b32_e32 v3, 0
	global_store_byte v3, v2, s[0:1]
	global_store_dwordx2 v3, v[0:1], s[0:1] offset:8
	s_endpgm
	.section	.rodata,"a",@progbits
	.p2align	6, 0x0
	.amdhsa_kernel _ZN7rocprim17ROCPRIM_400000_NS6detail17trampoline_kernelINS0_14default_configENS1_22reduce_config_selectorIN6thrust23THRUST_200600_302600_NS5tupleIblNS6_9null_typeES8_S8_S8_S8_S8_S8_S8_EEEEZNS1_11reduce_implILb1ES3_NS6_12zip_iteratorINS7_INS6_11hip_rocprim26transform_input_iterator_tIbNSD_35transform_pair_of_input_iterators_tIbNS6_6detail15normal_iteratorINS6_10device_ptrIKiEEEESL_NS6_8equal_toIiEEEENSG_9not_fun_tINSD_8identityEEEEENSD_19counting_iterator_tIlEES8_S8_S8_S8_S8_S8_S8_S8_EEEEPS9_S9_NSD_9__find_if7functorIS9_EEEE10hipError_tPvRmT1_T2_T3_mT4_P12ihipStream_tbEUlT_E0_NS1_11comp_targetILNS1_3genE4ELNS1_11target_archE910ELNS1_3gpuE8ELNS1_3repE0EEENS1_30default_config_static_selectorELNS0_4arch9wavefront6targetE1EEEvS14_
		.amdhsa_group_segment_fixed_size 128
		.amdhsa_private_segment_fixed_size 0
		.amdhsa_kernarg_size 104
		.amdhsa_user_sgpr_count 6
		.amdhsa_user_sgpr_private_segment_buffer 1
		.amdhsa_user_sgpr_dispatch_ptr 0
		.amdhsa_user_sgpr_queue_ptr 0
		.amdhsa_user_sgpr_kernarg_segment_ptr 1
		.amdhsa_user_sgpr_dispatch_id 0
		.amdhsa_user_sgpr_flat_scratch_init 0
		.amdhsa_user_sgpr_kernarg_preload_length 0
		.amdhsa_user_sgpr_kernarg_preload_offset 0
		.amdhsa_user_sgpr_private_segment_size 0
		.amdhsa_uses_dynamic_stack 0
		.amdhsa_system_sgpr_private_segment_wavefront_offset 0
		.amdhsa_system_sgpr_workgroup_id_x 1
		.amdhsa_system_sgpr_workgroup_id_y 0
		.amdhsa_system_sgpr_workgroup_id_z 0
		.amdhsa_system_sgpr_workgroup_info 0
		.amdhsa_system_vgpr_workitem_id 0
		.amdhsa_next_free_vgpr 12
		.amdhsa_next_free_sgpr 28
		.amdhsa_accum_offset 12
		.amdhsa_reserve_vcc 1
		.amdhsa_reserve_flat_scratch 0
		.amdhsa_float_round_mode_32 0
		.amdhsa_float_round_mode_16_64 0
		.amdhsa_float_denorm_mode_32 3
		.amdhsa_float_denorm_mode_16_64 3
		.amdhsa_dx10_clamp 1
		.amdhsa_ieee_mode 1
		.amdhsa_fp16_overflow 0
		.amdhsa_tg_split 0
		.amdhsa_exception_fp_ieee_invalid_op 0
		.amdhsa_exception_fp_denorm_src 0
		.amdhsa_exception_fp_ieee_div_zero 0
		.amdhsa_exception_fp_ieee_overflow 0
		.amdhsa_exception_fp_ieee_underflow 0
		.amdhsa_exception_fp_ieee_inexact 0
		.amdhsa_exception_int_div_zero 0
	.end_amdhsa_kernel
	.section	.text._ZN7rocprim17ROCPRIM_400000_NS6detail17trampoline_kernelINS0_14default_configENS1_22reduce_config_selectorIN6thrust23THRUST_200600_302600_NS5tupleIblNS6_9null_typeES8_S8_S8_S8_S8_S8_S8_EEEEZNS1_11reduce_implILb1ES3_NS6_12zip_iteratorINS7_INS6_11hip_rocprim26transform_input_iterator_tIbNSD_35transform_pair_of_input_iterators_tIbNS6_6detail15normal_iteratorINS6_10device_ptrIKiEEEESL_NS6_8equal_toIiEEEENSG_9not_fun_tINSD_8identityEEEEENSD_19counting_iterator_tIlEES8_S8_S8_S8_S8_S8_S8_S8_EEEEPS9_S9_NSD_9__find_if7functorIS9_EEEE10hipError_tPvRmT1_T2_T3_mT4_P12ihipStream_tbEUlT_E0_NS1_11comp_targetILNS1_3genE4ELNS1_11target_archE910ELNS1_3gpuE8ELNS1_3repE0EEENS1_30default_config_static_selectorELNS0_4arch9wavefront6targetE1EEEvS14_,"axG",@progbits,_ZN7rocprim17ROCPRIM_400000_NS6detail17trampoline_kernelINS0_14default_configENS1_22reduce_config_selectorIN6thrust23THRUST_200600_302600_NS5tupleIblNS6_9null_typeES8_S8_S8_S8_S8_S8_S8_EEEEZNS1_11reduce_implILb1ES3_NS6_12zip_iteratorINS7_INS6_11hip_rocprim26transform_input_iterator_tIbNSD_35transform_pair_of_input_iterators_tIbNS6_6detail15normal_iteratorINS6_10device_ptrIKiEEEESL_NS6_8equal_toIiEEEENSG_9not_fun_tINSD_8identityEEEEENSD_19counting_iterator_tIlEES8_S8_S8_S8_S8_S8_S8_S8_EEEEPS9_S9_NSD_9__find_if7functorIS9_EEEE10hipError_tPvRmT1_T2_T3_mT4_P12ihipStream_tbEUlT_E0_NS1_11comp_targetILNS1_3genE4ELNS1_11target_archE910ELNS1_3gpuE8ELNS1_3repE0EEENS1_30default_config_static_selectorELNS0_4arch9wavefront6targetE1EEEvS14_,comdat
.Lfunc_end263:
	.size	_ZN7rocprim17ROCPRIM_400000_NS6detail17trampoline_kernelINS0_14default_configENS1_22reduce_config_selectorIN6thrust23THRUST_200600_302600_NS5tupleIblNS6_9null_typeES8_S8_S8_S8_S8_S8_S8_EEEEZNS1_11reduce_implILb1ES3_NS6_12zip_iteratorINS7_INS6_11hip_rocprim26transform_input_iterator_tIbNSD_35transform_pair_of_input_iterators_tIbNS6_6detail15normal_iteratorINS6_10device_ptrIKiEEEESL_NS6_8equal_toIiEEEENSG_9not_fun_tINSD_8identityEEEEENSD_19counting_iterator_tIlEES8_S8_S8_S8_S8_S8_S8_S8_EEEEPS9_S9_NSD_9__find_if7functorIS9_EEEE10hipError_tPvRmT1_T2_T3_mT4_P12ihipStream_tbEUlT_E0_NS1_11comp_targetILNS1_3genE4ELNS1_11target_archE910ELNS1_3gpuE8ELNS1_3repE0EEENS1_30default_config_static_selectorELNS0_4arch9wavefront6targetE1EEEvS14_, .Lfunc_end263-_ZN7rocprim17ROCPRIM_400000_NS6detail17trampoline_kernelINS0_14default_configENS1_22reduce_config_selectorIN6thrust23THRUST_200600_302600_NS5tupleIblNS6_9null_typeES8_S8_S8_S8_S8_S8_S8_EEEEZNS1_11reduce_implILb1ES3_NS6_12zip_iteratorINS7_INS6_11hip_rocprim26transform_input_iterator_tIbNSD_35transform_pair_of_input_iterators_tIbNS6_6detail15normal_iteratorINS6_10device_ptrIKiEEEESL_NS6_8equal_toIiEEEENSG_9not_fun_tINSD_8identityEEEEENSD_19counting_iterator_tIlEES8_S8_S8_S8_S8_S8_S8_S8_EEEEPS9_S9_NSD_9__find_if7functorIS9_EEEE10hipError_tPvRmT1_T2_T3_mT4_P12ihipStream_tbEUlT_E0_NS1_11comp_targetILNS1_3genE4ELNS1_11target_archE910ELNS1_3gpuE8ELNS1_3repE0EEENS1_30default_config_static_selectorELNS0_4arch9wavefront6targetE1EEEvS14_
                                        ; -- End function
	.section	.AMDGPU.csdata,"",@progbits
; Kernel info:
; codeLenInByte = 2844
; NumSgprs: 32
; NumVgprs: 12
; NumAgprs: 0
; TotalNumVgprs: 12
; ScratchSize: 0
; MemoryBound: 0
; FloatMode: 240
; IeeeMode: 1
; LDSByteSize: 128 bytes/workgroup (compile time only)
; SGPRBlocks: 3
; VGPRBlocks: 1
; NumSGPRsForWavesPerEU: 32
; NumVGPRsForWavesPerEU: 12
; AccumOffset: 12
; Occupancy: 8
; WaveLimiterHint : 0
; COMPUTE_PGM_RSRC2:SCRATCH_EN: 0
; COMPUTE_PGM_RSRC2:USER_SGPR: 6
; COMPUTE_PGM_RSRC2:TRAP_HANDLER: 0
; COMPUTE_PGM_RSRC2:TGID_X_EN: 1
; COMPUTE_PGM_RSRC2:TGID_Y_EN: 0
; COMPUTE_PGM_RSRC2:TGID_Z_EN: 0
; COMPUTE_PGM_RSRC2:TIDIG_COMP_CNT: 0
; COMPUTE_PGM_RSRC3_GFX90A:ACCUM_OFFSET: 2
; COMPUTE_PGM_RSRC3_GFX90A:TG_SPLIT: 0
	.section	.text._ZN7rocprim17ROCPRIM_400000_NS6detail17trampoline_kernelINS0_14default_configENS1_22reduce_config_selectorIN6thrust23THRUST_200600_302600_NS5tupleIblNS6_9null_typeES8_S8_S8_S8_S8_S8_S8_EEEEZNS1_11reduce_implILb1ES3_NS6_12zip_iteratorINS7_INS6_11hip_rocprim26transform_input_iterator_tIbNSD_35transform_pair_of_input_iterators_tIbNS6_6detail15normal_iteratorINS6_10device_ptrIKiEEEESL_NS6_8equal_toIiEEEENSG_9not_fun_tINSD_8identityEEEEENSD_19counting_iterator_tIlEES8_S8_S8_S8_S8_S8_S8_S8_EEEEPS9_S9_NSD_9__find_if7functorIS9_EEEE10hipError_tPvRmT1_T2_T3_mT4_P12ihipStream_tbEUlT_E0_NS1_11comp_targetILNS1_3genE3ELNS1_11target_archE908ELNS1_3gpuE7ELNS1_3repE0EEENS1_30default_config_static_selectorELNS0_4arch9wavefront6targetE1EEEvS14_,"axG",@progbits,_ZN7rocprim17ROCPRIM_400000_NS6detail17trampoline_kernelINS0_14default_configENS1_22reduce_config_selectorIN6thrust23THRUST_200600_302600_NS5tupleIblNS6_9null_typeES8_S8_S8_S8_S8_S8_S8_EEEEZNS1_11reduce_implILb1ES3_NS6_12zip_iteratorINS7_INS6_11hip_rocprim26transform_input_iterator_tIbNSD_35transform_pair_of_input_iterators_tIbNS6_6detail15normal_iteratorINS6_10device_ptrIKiEEEESL_NS6_8equal_toIiEEEENSG_9not_fun_tINSD_8identityEEEEENSD_19counting_iterator_tIlEES8_S8_S8_S8_S8_S8_S8_S8_EEEEPS9_S9_NSD_9__find_if7functorIS9_EEEE10hipError_tPvRmT1_T2_T3_mT4_P12ihipStream_tbEUlT_E0_NS1_11comp_targetILNS1_3genE3ELNS1_11target_archE908ELNS1_3gpuE7ELNS1_3repE0EEENS1_30default_config_static_selectorELNS0_4arch9wavefront6targetE1EEEvS14_,comdat
	.protected	_ZN7rocprim17ROCPRIM_400000_NS6detail17trampoline_kernelINS0_14default_configENS1_22reduce_config_selectorIN6thrust23THRUST_200600_302600_NS5tupleIblNS6_9null_typeES8_S8_S8_S8_S8_S8_S8_EEEEZNS1_11reduce_implILb1ES3_NS6_12zip_iteratorINS7_INS6_11hip_rocprim26transform_input_iterator_tIbNSD_35transform_pair_of_input_iterators_tIbNS6_6detail15normal_iteratorINS6_10device_ptrIKiEEEESL_NS6_8equal_toIiEEEENSG_9not_fun_tINSD_8identityEEEEENSD_19counting_iterator_tIlEES8_S8_S8_S8_S8_S8_S8_S8_EEEEPS9_S9_NSD_9__find_if7functorIS9_EEEE10hipError_tPvRmT1_T2_T3_mT4_P12ihipStream_tbEUlT_E0_NS1_11comp_targetILNS1_3genE3ELNS1_11target_archE908ELNS1_3gpuE7ELNS1_3repE0EEENS1_30default_config_static_selectorELNS0_4arch9wavefront6targetE1EEEvS14_ ; -- Begin function _ZN7rocprim17ROCPRIM_400000_NS6detail17trampoline_kernelINS0_14default_configENS1_22reduce_config_selectorIN6thrust23THRUST_200600_302600_NS5tupleIblNS6_9null_typeES8_S8_S8_S8_S8_S8_S8_EEEEZNS1_11reduce_implILb1ES3_NS6_12zip_iteratorINS7_INS6_11hip_rocprim26transform_input_iterator_tIbNSD_35transform_pair_of_input_iterators_tIbNS6_6detail15normal_iteratorINS6_10device_ptrIKiEEEESL_NS6_8equal_toIiEEEENSG_9not_fun_tINSD_8identityEEEEENSD_19counting_iterator_tIlEES8_S8_S8_S8_S8_S8_S8_S8_EEEEPS9_S9_NSD_9__find_if7functorIS9_EEEE10hipError_tPvRmT1_T2_T3_mT4_P12ihipStream_tbEUlT_E0_NS1_11comp_targetILNS1_3genE3ELNS1_11target_archE908ELNS1_3gpuE7ELNS1_3repE0EEENS1_30default_config_static_selectorELNS0_4arch9wavefront6targetE1EEEvS14_
	.globl	_ZN7rocprim17ROCPRIM_400000_NS6detail17trampoline_kernelINS0_14default_configENS1_22reduce_config_selectorIN6thrust23THRUST_200600_302600_NS5tupleIblNS6_9null_typeES8_S8_S8_S8_S8_S8_S8_EEEEZNS1_11reduce_implILb1ES3_NS6_12zip_iteratorINS7_INS6_11hip_rocprim26transform_input_iterator_tIbNSD_35transform_pair_of_input_iterators_tIbNS6_6detail15normal_iteratorINS6_10device_ptrIKiEEEESL_NS6_8equal_toIiEEEENSG_9not_fun_tINSD_8identityEEEEENSD_19counting_iterator_tIlEES8_S8_S8_S8_S8_S8_S8_S8_EEEEPS9_S9_NSD_9__find_if7functorIS9_EEEE10hipError_tPvRmT1_T2_T3_mT4_P12ihipStream_tbEUlT_E0_NS1_11comp_targetILNS1_3genE3ELNS1_11target_archE908ELNS1_3gpuE7ELNS1_3repE0EEENS1_30default_config_static_selectorELNS0_4arch9wavefront6targetE1EEEvS14_
	.p2align	8
	.type	_ZN7rocprim17ROCPRIM_400000_NS6detail17trampoline_kernelINS0_14default_configENS1_22reduce_config_selectorIN6thrust23THRUST_200600_302600_NS5tupleIblNS6_9null_typeES8_S8_S8_S8_S8_S8_S8_EEEEZNS1_11reduce_implILb1ES3_NS6_12zip_iteratorINS7_INS6_11hip_rocprim26transform_input_iterator_tIbNSD_35transform_pair_of_input_iterators_tIbNS6_6detail15normal_iteratorINS6_10device_ptrIKiEEEESL_NS6_8equal_toIiEEEENSG_9not_fun_tINSD_8identityEEEEENSD_19counting_iterator_tIlEES8_S8_S8_S8_S8_S8_S8_S8_EEEEPS9_S9_NSD_9__find_if7functorIS9_EEEE10hipError_tPvRmT1_T2_T3_mT4_P12ihipStream_tbEUlT_E0_NS1_11comp_targetILNS1_3genE3ELNS1_11target_archE908ELNS1_3gpuE7ELNS1_3repE0EEENS1_30default_config_static_selectorELNS0_4arch9wavefront6targetE1EEEvS14_,@function
_ZN7rocprim17ROCPRIM_400000_NS6detail17trampoline_kernelINS0_14default_configENS1_22reduce_config_selectorIN6thrust23THRUST_200600_302600_NS5tupleIblNS6_9null_typeES8_S8_S8_S8_S8_S8_S8_EEEEZNS1_11reduce_implILb1ES3_NS6_12zip_iteratorINS7_INS6_11hip_rocprim26transform_input_iterator_tIbNSD_35transform_pair_of_input_iterators_tIbNS6_6detail15normal_iteratorINS6_10device_ptrIKiEEEESL_NS6_8equal_toIiEEEENSG_9not_fun_tINSD_8identityEEEEENSD_19counting_iterator_tIlEES8_S8_S8_S8_S8_S8_S8_S8_EEEEPS9_S9_NSD_9__find_if7functorIS9_EEEE10hipError_tPvRmT1_T2_T3_mT4_P12ihipStream_tbEUlT_E0_NS1_11comp_targetILNS1_3genE3ELNS1_11target_archE908ELNS1_3gpuE7ELNS1_3repE0EEENS1_30default_config_static_selectorELNS0_4arch9wavefront6targetE1EEEvS14_: ; @_ZN7rocprim17ROCPRIM_400000_NS6detail17trampoline_kernelINS0_14default_configENS1_22reduce_config_selectorIN6thrust23THRUST_200600_302600_NS5tupleIblNS6_9null_typeES8_S8_S8_S8_S8_S8_S8_EEEEZNS1_11reduce_implILb1ES3_NS6_12zip_iteratorINS7_INS6_11hip_rocprim26transform_input_iterator_tIbNSD_35transform_pair_of_input_iterators_tIbNS6_6detail15normal_iteratorINS6_10device_ptrIKiEEEESL_NS6_8equal_toIiEEEENSG_9not_fun_tINSD_8identityEEEEENSD_19counting_iterator_tIlEES8_S8_S8_S8_S8_S8_S8_S8_EEEEPS9_S9_NSD_9__find_if7functorIS9_EEEE10hipError_tPvRmT1_T2_T3_mT4_P12ihipStream_tbEUlT_E0_NS1_11comp_targetILNS1_3genE3ELNS1_11target_archE908ELNS1_3gpuE7ELNS1_3repE0EEENS1_30default_config_static_selectorELNS0_4arch9wavefront6targetE1EEEvS14_
; %bb.0:
	.section	.rodata,"a",@progbits
	.p2align	6, 0x0
	.amdhsa_kernel _ZN7rocprim17ROCPRIM_400000_NS6detail17trampoline_kernelINS0_14default_configENS1_22reduce_config_selectorIN6thrust23THRUST_200600_302600_NS5tupleIblNS6_9null_typeES8_S8_S8_S8_S8_S8_S8_EEEEZNS1_11reduce_implILb1ES3_NS6_12zip_iteratorINS7_INS6_11hip_rocprim26transform_input_iterator_tIbNSD_35transform_pair_of_input_iterators_tIbNS6_6detail15normal_iteratorINS6_10device_ptrIKiEEEESL_NS6_8equal_toIiEEEENSG_9not_fun_tINSD_8identityEEEEENSD_19counting_iterator_tIlEES8_S8_S8_S8_S8_S8_S8_S8_EEEEPS9_S9_NSD_9__find_if7functorIS9_EEEE10hipError_tPvRmT1_T2_T3_mT4_P12ihipStream_tbEUlT_E0_NS1_11comp_targetILNS1_3genE3ELNS1_11target_archE908ELNS1_3gpuE7ELNS1_3repE0EEENS1_30default_config_static_selectorELNS0_4arch9wavefront6targetE1EEEvS14_
		.amdhsa_group_segment_fixed_size 0
		.amdhsa_private_segment_fixed_size 0
		.amdhsa_kernarg_size 104
		.amdhsa_user_sgpr_count 6
		.amdhsa_user_sgpr_private_segment_buffer 1
		.amdhsa_user_sgpr_dispatch_ptr 0
		.amdhsa_user_sgpr_queue_ptr 0
		.amdhsa_user_sgpr_kernarg_segment_ptr 1
		.amdhsa_user_sgpr_dispatch_id 0
		.amdhsa_user_sgpr_flat_scratch_init 0
		.amdhsa_user_sgpr_kernarg_preload_length 0
		.amdhsa_user_sgpr_kernarg_preload_offset 0
		.amdhsa_user_sgpr_private_segment_size 0
		.amdhsa_uses_dynamic_stack 0
		.amdhsa_system_sgpr_private_segment_wavefront_offset 0
		.amdhsa_system_sgpr_workgroup_id_x 1
		.amdhsa_system_sgpr_workgroup_id_y 0
		.amdhsa_system_sgpr_workgroup_id_z 0
		.amdhsa_system_sgpr_workgroup_info 0
		.amdhsa_system_vgpr_workitem_id 0
		.amdhsa_next_free_vgpr 1
		.amdhsa_next_free_sgpr 0
		.amdhsa_accum_offset 4
		.amdhsa_reserve_vcc 0
		.amdhsa_reserve_flat_scratch 0
		.amdhsa_float_round_mode_32 0
		.amdhsa_float_round_mode_16_64 0
		.amdhsa_float_denorm_mode_32 3
		.amdhsa_float_denorm_mode_16_64 3
		.amdhsa_dx10_clamp 1
		.amdhsa_ieee_mode 1
		.amdhsa_fp16_overflow 0
		.amdhsa_tg_split 0
		.amdhsa_exception_fp_ieee_invalid_op 0
		.amdhsa_exception_fp_denorm_src 0
		.amdhsa_exception_fp_ieee_div_zero 0
		.amdhsa_exception_fp_ieee_overflow 0
		.amdhsa_exception_fp_ieee_underflow 0
		.amdhsa_exception_fp_ieee_inexact 0
		.amdhsa_exception_int_div_zero 0
	.end_amdhsa_kernel
	.section	.text._ZN7rocprim17ROCPRIM_400000_NS6detail17trampoline_kernelINS0_14default_configENS1_22reduce_config_selectorIN6thrust23THRUST_200600_302600_NS5tupleIblNS6_9null_typeES8_S8_S8_S8_S8_S8_S8_EEEEZNS1_11reduce_implILb1ES3_NS6_12zip_iteratorINS7_INS6_11hip_rocprim26transform_input_iterator_tIbNSD_35transform_pair_of_input_iterators_tIbNS6_6detail15normal_iteratorINS6_10device_ptrIKiEEEESL_NS6_8equal_toIiEEEENSG_9not_fun_tINSD_8identityEEEEENSD_19counting_iterator_tIlEES8_S8_S8_S8_S8_S8_S8_S8_EEEEPS9_S9_NSD_9__find_if7functorIS9_EEEE10hipError_tPvRmT1_T2_T3_mT4_P12ihipStream_tbEUlT_E0_NS1_11comp_targetILNS1_3genE3ELNS1_11target_archE908ELNS1_3gpuE7ELNS1_3repE0EEENS1_30default_config_static_selectorELNS0_4arch9wavefront6targetE1EEEvS14_,"axG",@progbits,_ZN7rocprim17ROCPRIM_400000_NS6detail17trampoline_kernelINS0_14default_configENS1_22reduce_config_selectorIN6thrust23THRUST_200600_302600_NS5tupleIblNS6_9null_typeES8_S8_S8_S8_S8_S8_S8_EEEEZNS1_11reduce_implILb1ES3_NS6_12zip_iteratorINS7_INS6_11hip_rocprim26transform_input_iterator_tIbNSD_35transform_pair_of_input_iterators_tIbNS6_6detail15normal_iteratorINS6_10device_ptrIKiEEEESL_NS6_8equal_toIiEEEENSG_9not_fun_tINSD_8identityEEEEENSD_19counting_iterator_tIlEES8_S8_S8_S8_S8_S8_S8_S8_EEEEPS9_S9_NSD_9__find_if7functorIS9_EEEE10hipError_tPvRmT1_T2_T3_mT4_P12ihipStream_tbEUlT_E0_NS1_11comp_targetILNS1_3genE3ELNS1_11target_archE908ELNS1_3gpuE7ELNS1_3repE0EEENS1_30default_config_static_selectorELNS0_4arch9wavefront6targetE1EEEvS14_,comdat
.Lfunc_end264:
	.size	_ZN7rocprim17ROCPRIM_400000_NS6detail17trampoline_kernelINS0_14default_configENS1_22reduce_config_selectorIN6thrust23THRUST_200600_302600_NS5tupleIblNS6_9null_typeES8_S8_S8_S8_S8_S8_S8_EEEEZNS1_11reduce_implILb1ES3_NS6_12zip_iteratorINS7_INS6_11hip_rocprim26transform_input_iterator_tIbNSD_35transform_pair_of_input_iterators_tIbNS6_6detail15normal_iteratorINS6_10device_ptrIKiEEEESL_NS6_8equal_toIiEEEENSG_9not_fun_tINSD_8identityEEEEENSD_19counting_iterator_tIlEES8_S8_S8_S8_S8_S8_S8_S8_EEEEPS9_S9_NSD_9__find_if7functorIS9_EEEE10hipError_tPvRmT1_T2_T3_mT4_P12ihipStream_tbEUlT_E0_NS1_11comp_targetILNS1_3genE3ELNS1_11target_archE908ELNS1_3gpuE7ELNS1_3repE0EEENS1_30default_config_static_selectorELNS0_4arch9wavefront6targetE1EEEvS14_, .Lfunc_end264-_ZN7rocprim17ROCPRIM_400000_NS6detail17trampoline_kernelINS0_14default_configENS1_22reduce_config_selectorIN6thrust23THRUST_200600_302600_NS5tupleIblNS6_9null_typeES8_S8_S8_S8_S8_S8_S8_EEEEZNS1_11reduce_implILb1ES3_NS6_12zip_iteratorINS7_INS6_11hip_rocprim26transform_input_iterator_tIbNSD_35transform_pair_of_input_iterators_tIbNS6_6detail15normal_iteratorINS6_10device_ptrIKiEEEESL_NS6_8equal_toIiEEEENSG_9not_fun_tINSD_8identityEEEEENSD_19counting_iterator_tIlEES8_S8_S8_S8_S8_S8_S8_S8_EEEEPS9_S9_NSD_9__find_if7functorIS9_EEEE10hipError_tPvRmT1_T2_T3_mT4_P12ihipStream_tbEUlT_E0_NS1_11comp_targetILNS1_3genE3ELNS1_11target_archE908ELNS1_3gpuE7ELNS1_3repE0EEENS1_30default_config_static_selectorELNS0_4arch9wavefront6targetE1EEEvS14_
                                        ; -- End function
	.section	.AMDGPU.csdata,"",@progbits
; Kernel info:
; codeLenInByte = 0
; NumSgprs: 4
; NumVgprs: 0
; NumAgprs: 0
; TotalNumVgprs: 0
; ScratchSize: 0
; MemoryBound: 0
; FloatMode: 240
; IeeeMode: 1
; LDSByteSize: 0 bytes/workgroup (compile time only)
; SGPRBlocks: 0
; VGPRBlocks: 0
; NumSGPRsForWavesPerEU: 4
; NumVGPRsForWavesPerEU: 1
; AccumOffset: 4
; Occupancy: 8
; WaveLimiterHint : 0
; COMPUTE_PGM_RSRC2:SCRATCH_EN: 0
; COMPUTE_PGM_RSRC2:USER_SGPR: 6
; COMPUTE_PGM_RSRC2:TRAP_HANDLER: 0
; COMPUTE_PGM_RSRC2:TGID_X_EN: 1
; COMPUTE_PGM_RSRC2:TGID_Y_EN: 0
; COMPUTE_PGM_RSRC2:TGID_Z_EN: 0
; COMPUTE_PGM_RSRC2:TIDIG_COMP_CNT: 0
; COMPUTE_PGM_RSRC3_GFX90A:ACCUM_OFFSET: 0
; COMPUTE_PGM_RSRC3_GFX90A:TG_SPLIT: 0
	.section	.text._ZN7rocprim17ROCPRIM_400000_NS6detail17trampoline_kernelINS0_14default_configENS1_22reduce_config_selectorIN6thrust23THRUST_200600_302600_NS5tupleIblNS6_9null_typeES8_S8_S8_S8_S8_S8_S8_EEEEZNS1_11reduce_implILb1ES3_NS6_12zip_iteratorINS7_INS6_11hip_rocprim26transform_input_iterator_tIbNSD_35transform_pair_of_input_iterators_tIbNS6_6detail15normal_iteratorINS6_10device_ptrIKiEEEESL_NS6_8equal_toIiEEEENSG_9not_fun_tINSD_8identityEEEEENSD_19counting_iterator_tIlEES8_S8_S8_S8_S8_S8_S8_S8_EEEEPS9_S9_NSD_9__find_if7functorIS9_EEEE10hipError_tPvRmT1_T2_T3_mT4_P12ihipStream_tbEUlT_E0_NS1_11comp_targetILNS1_3genE2ELNS1_11target_archE906ELNS1_3gpuE6ELNS1_3repE0EEENS1_30default_config_static_selectorELNS0_4arch9wavefront6targetE1EEEvS14_,"axG",@progbits,_ZN7rocprim17ROCPRIM_400000_NS6detail17trampoline_kernelINS0_14default_configENS1_22reduce_config_selectorIN6thrust23THRUST_200600_302600_NS5tupleIblNS6_9null_typeES8_S8_S8_S8_S8_S8_S8_EEEEZNS1_11reduce_implILb1ES3_NS6_12zip_iteratorINS7_INS6_11hip_rocprim26transform_input_iterator_tIbNSD_35transform_pair_of_input_iterators_tIbNS6_6detail15normal_iteratorINS6_10device_ptrIKiEEEESL_NS6_8equal_toIiEEEENSG_9not_fun_tINSD_8identityEEEEENSD_19counting_iterator_tIlEES8_S8_S8_S8_S8_S8_S8_S8_EEEEPS9_S9_NSD_9__find_if7functorIS9_EEEE10hipError_tPvRmT1_T2_T3_mT4_P12ihipStream_tbEUlT_E0_NS1_11comp_targetILNS1_3genE2ELNS1_11target_archE906ELNS1_3gpuE6ELNS1_3repE0EEENS1_30default_config_static_selectorELNS0_4arch9wavefront6targetE1EEEvS14_,comdat
	.protected	_ZN7rocprim17ROCPRIM_400000_NS6detail17trampoline_kernelINS0_14default_configENS1_22reduce_config_selectorIN6thrust23THRUST_200600_302600_NS5tupleIblNS6_9null_typeES8_S8_S8_S8_S8_S8_S8_EEEEZNS1_11reduce_implILb1ES3_NS6_12zip_iteratorINS7_INS6_11hip_rocprim26transform_input_iterator_tIbNSD_35transform_pair_of_input_iterators_tIbNS6_6detail15normal_iteratorINS6_10device_ptrIKiEEEESL_NS6_8equal_toIiEEEENSG_9not_fun_tINSD_8identityEEEEENSD_19counting_iterator_tIlEES8_S8_S8_S8_S8_S8_S8_S8_EEEEPS9_S9_NSD_9__find_if7functorIS9_EEEE10hipError_tPvRmT1_T2_T3_mT4_P12ihipStream_tbEUlT_E0_NS1_11comp_targetILNS1_3genE2ELNS1_11target_archE906ELNS1_3gpuE6ELNS1_3repE0EEENS1_30default_config_static_selectorELNS0_4arch9wavefront6targetE1EEEvS14_ ; -- Begin function _ZN7rocprim17ROCPRIM_400000_NS6detail17trampoline_kernelINS0_14default_configENS1_22reduce_config_selectorIN6thrust23THRUST_200600_302600_NS5tupleIblNS6_9null_typeES8_S8_S8_S8_S8_S8_S8_EEEEZNS1_11reduce_implILb1ES3_NS6_12zip_iteratorINS7_INS6_11hip_rocprim26transform_input_iterator_tIbNSD_35transform_pair_of_input_iterators_tIbNS6_6detail15normal_iteratorINS6_10device_ptrIKiEEEESL_NS6_8equal_toIiEEEENSG_9not_fun_tINSD_8identityEEEEENSD_19counting_iterator_tIlEES8_S8_S8_S8_S8_S8_S8_S8_EEEEPS9_S9_NSD_9__find_if7functorIS9_EEEE10hipError_tPvRmT1_T2_T3_mT4_P12ihipStream_tbEUlT_E0_NS1_11comp_targetILNS1_3genE2ELNS1_11target_archE906ELNS1_3gpuE6ELNS1_3repE0EEENS1_30default_config_static_selectorELNS0_4arch9wavefront6targetE1EEEvS14_
	.globl	_ZN7rocprim17ROCPRIM_400000_NS6detail17trampoline_kernelINS0_14default_configENS1_22reduce_config_selectorIN6thrust23THRUST_200600_302600_NS5tupleIblNS6_9null_typeES8_S8_S8_S8_S8_S8_S8_EEEEZNS1_11reduce_implILb1ES3_NS6_12zip_iteratorINS7_INS6_11hip_rocprim26transform_input_iterator_tIbNSD_35transform_pair_of_input_iterators_tIbNS6_6detail15normal_iteratorINS6_10device_ptrIKiEEEESL_NS6_8equal_toIiEEEENSG_9not_fun_tINSD_8identityEEEEENSD_19counting_iterator_tIlEES8_S8_S8_S8_S8_S8_S8_S8_EEEEPS9_S9_NSD_9__find_if7functorIS9_EEEE10hipError_tPvRmT1_T2_T3_mT4_P12ihipStream_tbEUlT_E0_NS1_11comp_targetILNS1_3genE2ELNS1_11target_archE906ELNS1_3gpuE6ELNS1_3repE0EEENS1_30default_config_static_selectorELNS0_4arch9wavefront6targetE1EEEvS14_
	.p2align	8
	.type	_ZN7rocprim17ROCPRIM_400000_NS6detail17trampoline_kernelINS0_14default_configENS1_22reduce_config_selectorIN6thrust23THRUST_200600_302600_NS5tupleIblNS6_9null_typeES8_S8_S8_S8_S8_S8_S8_EEEEZNS1_11reduce_implILb1ES3_NS6_12zip_iteratorINS7_INS6_11hip_rocprim26transform_input_iterator_tIbNSD_35transform_pair_of_input_iterators_tIbNS6_6detail15normal_iteratorINS6_10device_ptrIKiEEEESL_NS6_8equal_toIiEEEENSG_9not_fun_tINSD_8identityEEEEENSD_19counting_iterator_tIlEES8_S8_S8_S8_S8_S8_S8_S8_EEEEPS9_S9_NSD_9__find_if7functorIS9_EEEE10hipError_tPvRmT1_T2_T3_mT4_P12ihipStream_tbEUlT_E0_NS1_11comp_targetILNS1_3genE2ELNS1_11target_archE906ELNS1_3gpuE6ELNS1_3repE0EEENS1_30default_config_static_selectorELNS0_4arch9wavefront6targetE1EEEvS14_,@function
_ZN7rocprim17ROCPRIM_400000_NS6detail17trampoline_kernelINS0_14default_configENS1_22reduce_config_selectorIN6thrust23THRUST_200600_302600_NS5tupleIblNS6_9null_typeES8_S8_S8_S8_S8_S8_S8_EEEEZNS1_11reduce_implILb1ES3_NS6_12zip_iteratorINS7_INS6_11hip_rocprim26transform_input_iterator_tIbNSD_35transform_pair_of_input_iterators_tIbNS6_6detail15normal_iteratorINS6_10device_ptrIKiEEEESL_NS6_8equal_toIiEEEENSG_9not_fun_tINSD_8identityEEEEENSD_19counting_iterator_tIlEES8_S8_S8_S8_S8_S8_S8_S8_EEEEPS9_S9_NSD_9__find_if7functorIS9_EEEE10hipError_tPvRmT1_T2_T3_mT4_P12ihipStream_tbEUlT_E0_NS1_11comp_targetILNS1_3genE2ELNS1_11target_archE906ELNS1_3gpuE6ELNS1_3repE0EEENS1_30default_config_static_selectorELNS0_4arch9wavefront6targetE1EEEvS14_: ; @_ZN7rocprim17ROCPRIM_400000_NS6detail17trampoline_kernelINS0_14default_configENS1_22reduce_config_selectorIN6thrust23THRUST_200600_302600_NS5tupleIblNS6_9null_typeES8_S8_S8_S8_S8_S8_S8_EEEEZNS1_11reduce_implILb1ES3_NS6_12zip_iteratorINS7_INS6_11hip_rocprim26transform_input_iterator_tIbNSD_35transform_pair_of_input_iterators_tIbNS6_6detail15normal_iteratorINS6_10device_ptrIKiEEEESL_NS6_8equal_toIiEEEENSG_9not_fun_tINSD_8identityEEEEENSD_19counting_iterator_tIlEES8_S8_S8_S8_S8_S8_S8_S8_EEEEPS9_S9_NSD_9__find_if7functorIS9_EEEE10hipError_tPvRmT1_T2_T3_mT4_P12ihipStream_tbEUlT_E0_NS1_11comp_targetILNS1_3genE2ELNS1_11target_archE906ELNS1_3gpuE6ELNS1_3repE0EEENS1_30default_config_static_selectorELNS0_4arch9wavefront6targetE1EEEvS14_
; %bb.0:
	.section	.rodata,"a",@progbits
	.p2align	6, 0x0
	.amdhsa_kernel _ZN7rocprim17ROCPRIM_400000_NS6detail17trampoline_kernelINS0_14default_configENS1_22reduce_config_selectorIN6thrust23THRUST_200600_302600_NS5tupleIblNS6_9null_typeES8_S8_S8_S8_S8_S8_S8_EEEEZNS1_11reduce_implILb1ES3_NS6_12zip_iteratorINS7_INS6_11hip_rocprim26transform_input_iterator_tIbNSD_35transform_pair_of_input_iterators_tIbNS6_6detail15normal_iteratorINS6_10device_ptrIKiEEEESL_NS6_8equal_toIiEEEENSG_9not_fun_tINSD_8identityEEEEENSD_19counting_iterator_tIlEES8_S8_S8_S8_S8_S8_S8_S8_EEEEPS9_S9_NSD_9__find_if7functorIS9_EEEE10hipError_tPvRmT1_T2_T3_mT4_P12ihipStream_tbEUlT_E0_NS1_11comp_targetILNS1_3genE2ELNS1_11target_archE906ELNS1_3gpuE6ELNS1_3repE0EEENS1_30default_config_static_selectorELNS0_4arch9wavefront6targetE1EEEvS14_
		.amdhsa_group_segment_fixed_size 0
		.amdhsa_private_segment_fixed_size 0
		.amdhsa_kernarg_size 104
		.amdhsa_user_sgpr_count 6
		.amdhsa_user_sgpr_private_segment_buffer 1
		.amdhsa_user_sgpr_dispatch_ptr 0
		.amdhsa_user_sgpr_queue_ptr 0
		.amdhsa_user_sgpr_kernarg_segment_ptr 1
		.amdhsa_user_sgpr_dispatch_id 0
		.amdhsa_user_sgpr_flat_scratch_init 0
		.amdhsa_user_sgpr_kernarg_preload_length 0
		.amdhsa_user_sgpr_kernarg_preload_offset 0
		.amdhsa_user_sgpr_private_segment_size 0
		.amdhsa_uses_dynamic_stack 0
		.amdhsa_system_sgpr_private_segment_wavefront_offset 0
		.amdhsa_system_sgpr_workgroup_id_x 1
		.amdhsa_system_sgpr_workgroup_id_y 0
		.amdhsa_system_sgpr_workgroup_id_z 0
		.amdhsa_system_sgpr_workgroup_info 0
		.amdhsa_system_vgpr_workitem_id 0
		.amdhsa_next_free_vgpr 1
		.amdhsa_next_free_sgpr 0
		.amdhsa_accum_offset 4
		.amdhsa_reserve_vcc 0
		.amdhsa_reserve_flat_scratch 0
		.amdhsa_float_round_mode_32 0
		.amdhsa_float_round_mode_16_64 0
		.amdhsa_float_denorm_mode_32 3
		.amdhsa_float_denorm_mode_16_64 3
		.amdhsa_dx10_clamp 1
		.amdhsa_ieee_mode 1
		.amdhsa_fp16_overflow 0
		.amdhsa_tg_split 0
		.amdhsa_exception_fp_ieee_invalid_op 0
		.amdhsa_exception_fp_denorm_src 0
		.amdhsa_exception_fp_ieee_div_zero 0
		.amdhsa_exception_fp_ieee_overflow 0
		.amdhsa_exception_fp_ieee_underflow 0
		.amdhsa_exception_fp_ieee_inexact 0
		.amdhsa_exception_int_div_zero 0
	.end_amdhsa_kernel
	.section	.text._ZN7rocprim17ROCPRIM_400000_NS6detail17trampoline_kernelINS0_14default_configENS1_22reduce_config_selectorIN6thrust23THRUST_200600_302600_NS5tupleIblNS6_9null_typeES8_S8_S8_S8_S8_S8_S8_EEEEZNS1_11reduce_implILb1ES3_NS6_12zip_iteratorINS7_INS6_11hip_rocprim26transform_input_iterator_tIbNSD_35transform_pair_of_input_iterators_tIbNS6_6detail15normal_iteratorINS6_10device_ptrIKiEEEESL_NS6_8equal_toIiEEEENSG_9not_fun_tINSD_8identityEEEEENSD_19counting_iterator_tIlEES8_S8_S8_S8_S8_S8_S8_S8_EEEEPS9_S9_NSD_9__find_if7functorIS9_EEEE10hipError_tPvRmT1_T2_T3_mT4_P12ihipStream_tbEUlT_E0_NS1_11comp_targetILNS1_3genE2ELNS1_11target_archE906ELNS1_3gpuE6ELNS1_3repE0EEENS1_30default_config_static_selectorELNS0_4arch9wavefront6targetE1EEEvS14_,"axG",@progbits,_ZN7rocprim17ROCPRIM_400000_NS6detail17trampoline_kernelINS0_14default_configENS1_22reduce_config_selectorIN6thrust23THRUST_200600_302600_NS5tupleIblNS6_9null_typeES8_S8_S8_S8_S8_S8_S8_EEEEZNS1_11reduce_implILb1ES3_NS6_12zip_iteratorINS7_INS6_11hip_rocprim26transform_input_iterator_tIbNSD_35transform_pair_of_input_iterators_tIbNS6_6detail15normal_iteratorINS6_10device_ptrIKiEEEESL_NS6_8equal_toIiEEEENSG_9not_fun_tINSD_8identityEEEEENSD_19counting_iterator_tIlEES8_S8_S8_S8_S8_S8_S8_S8_EEEEPS9_S9_NSD_9__find_if7functorIS9_EEEE10hipError_tPvRmT1_T2_T3_mT4_P12ihipStream_tbEUlT_E0_NS1_11comp_targetILNS1_3genE2ELNS1_11target_archE906ELNS1_3gpuE6ELNS1_3repE0EEENS1_30default_config_static_selectorELNS0_4arch9wavefront6targetE1EEEvS14_,comdat
.Lfunc_end265:
	.size	_ZN7rocprim17ROCPRIM_400000_NS6detail17trampoline_kernelINS0_14default_configENS1_22reduce_config_selectorIN6thrust23THRUST_200600_302600_NS5tupleIblNS6_9null_typeES8_S8_S8_S8_S8_S8_S8_EEEEZNS1_11reduce_implILb1ES3_NS6_12zip_iteratorINS7_INS6_11hip_rocprim26transform_input_iterator_tIbNSD_35transform_pair_of_input_iterators_tIbNS6_6detail15normal_iteratorINS6_10device_ptrIKiEEEESL_NS6_8equal_toIiEEEENSG_9not_fun_tINSD_8identityEEEEENSD_19counting_iterator_tIlEES8_S8_S8_S8_S8_S8_S8_S8_EEEEPS9_S9_NSD_9__find_if7functorIS9_EEEE10hipError_tPvRmT1_T2_T3_mT4_P12ihipStream_tbEUlT_E0_NS1_11comp_targetILNS1_3genE2ELNS1_11target_archE906ELNS1_3gpuE6ELNS1_3repE0EEENS1_30default_config_static_selectorELNS0_4arch9wavefront6targetE1EEEvS14_, .Lfunc_end265-_ZN7rocprim17ROCPRIM_400000_NS6detail17trampoline_kernelINS0_14default_configENS1_22reduce_config_selectorIN6thrust23THRUST_200600_302600_NS5tupleIblNS6_9null_typeES8_S8_S8_S8_S8_S8_S8_EEEEZNS1_11reduce_implILb1ES3_NS6_12zip_iteratorINS7_INS6_11hip_rocprim26transform_input_iterator_tIbNSD_35transform_pair_of_input_iterators_tIbNS6_6detail15normal_iteratorINS6_10device_ptrIKiEEEESL_NS6_8equal_toIiEEEENSG_9not_fun_tINSD_8identityEEEEENSD_19counting_iterator_tIlEES8_S8_S8_S8_S8_S8_S8_S8_EEEEPS9_S9_NSD_9__find_if7functorIS9_EEEE10hipError_tPvRmT1_T2_T3_mT4_P12ihipStream_tbEUlT_E0_NS1_11comp_targetILNS1_3genE2ELNS1_11target_archE906ELNS1_3gpuE6ELNS1_3repE0EEENS1_30default_config_static_selectorELNS0_4arch9wavefront6targetE1EEEvS14_
                                        ; -- End function
	.section	.AMDGPU.csdata,"",@progbits
; Kernel info:
; codeLenInByte = 0
; NumSgprs: 4
; NumVgprs: 0
; NumAgprs: 0
; TotalNumVgprs: 0
; ScratchSize: 0
; MemoryBound: 0
; FloatMode: 240
; IeeeMode: 1
; LDSByteSize: 0 bytes/workgroup (compile time only)
; SGPRBlocks: 0
; VGPRBlocks: 0
; NumSGPRsForWavesPerEU: 4
; NumVGPRsForWavesPerEU: 1
; AccumOffset: 4
; Occupancy: 8
; WaveLimiterHint : 0
; COMPUTE_PGM_RSRC2:SCRATCH_EN: 0
; COMPUTE_PGM_RSRC2:USER_SGPR: 6
; COMPUTE_PGM_RSRC2:TRAP_HANDLER: 0
; COMPUTE_PGM_RSRC2:TGID_X_EN: 1
; COMPUTE_PGM_RSRC2:TGID_Y_EN: 0
; COMPUTE_PGM_RSRC2:TGID_Z_EN: 0
; COMPUTE_PGM_RSRC2:TIDIG_COMP_CNT: 0
; COMPUTE_PGM_RSRC3_GFX90A:ACCUM_OFFSET: 0
; COMPUTE_PGM_RSRC3_GFX90A:TG_SPLIT: 0
	.section	.text._ZN7rocprim17ROCPRIM_400000_NS6detail17trampoline_kernelINS0_14default_configENS1_22reduce_config_selectorIN6thrust23THRUST_200600_302600_NS5tupleIblNS6_9null_typeES8_S8_S8_S8_S8_S8_S8_EEEEZNS1_11reduce_implILb1ES3_NS6_12zip_iteratorINS7_INS6_11hip_rocprim26transform_input_iterator_tIbNSD_35transform_pair_of_input_iterators_tIbNS6_6detail15normal_iteratorINS6_10device_ptrIKiEEEESL_NS6_8equal_toIiEEEENSG_9not_fun_tINSD_8identityEEEEENSD_19counting_iterator_tIlEES8_S8_S8_S8_S8_S8_S8_S8_EEEEPS9_S9_NSD_9__find_if7functorIS9_EEEE10hipError_tPvRmT1_T2_T3_mT4_P12ihipStream_tbEUlT_E0_NS1_11comp_targetILNS1_3genE10ELNS1_11target_archE1201ELNS1_3gpuE5ELNS1_3repE0EEENS1_30default_config_static_selectorELNS0_4arch9wavefront6targetE1EEEvS14_,"axG",@progbits,_ZN7rocprim17ROCPRIM_400000_NS6detail17trampoline_kernelINS0_14default_configENS1_22reduce_config_selectorIN6thrust23THRUST_200600_302600_NS5tupleIblNS6_9null_typeES8_S8_S8_S8_S8_S8_S8_EEEEZNS1_11reduce_implILb1ES3_NS6_12zip_iteratorINS7_INS6_11hip_rocprim26transform_input_iterator_tIbNSD_35transform_pair_of_input_iterators_tIbNS6_6detail15normal_iteratorINS6_10device_ptrIKiEEEESL_NS6_8equal_toIiEEEENSG_9not_fun_tINSD_8identityEEEEENSD_19counting_iterator_tIlEES8_S8_S8_S8_S8_S8_S8_S8_EEEEPS9_S9_NSD_9__find_if7functorIS9_EEEE10hipError_tPvRmT1_T2_T3_mT4_P12ihipStream_tbEUlT_E0_NS1_11comp_targetILNS1_3genE10ELNS1_11target_archE1201ELNS1_3gpuE5ELNS1_3repE0EEENS1_30default_config_static_selectorELNS0_4arch9wavefront6targetE1EEEvS14_,comdat
	.protected	_ZN7rocprim17ROCPRIM_400000_NS6detail17trampoline_kernelINS0_14default_configENS1_22reduce_config_selectorIN6thrust23THRUST_200600_302600_NS5tupleIblNS6_9null_typeES8_S8_S8_S8_S8_S8_S8_EEEEZNS1_11reduce_implILb1ES3_NS6_12zip_iteratorINS7_INS6_11hip_rocprim26transform_input_iterator_tIbNSD_35transform_pair_of_input_iterators_tIbNS6_6detail15normal_iteratorINS6_10device_ptrIKiEEEESL_NS6_8equal_toIiEEEENSG_9not_fun_tINSD_8identityEEEEENSD_19counting_iterator_tIlEES8_S8_S8_S8_S8_S8_S8_S8_EEEEPS9_S9_NSD_9__find_if7functorIS9_EEEE10hipError_tPvRmT1_T2_T3_mT4_P12ihipStream_tbEUlT_E0_NS1_11comp_targetILNS1_3genE10ELNS1_11target_archE1201ELNS1_3gpuE5ELNS1_3repE0EEENS1_30default_config_static_selectorELNS0_4arch9wavefront6targetE1EEEvS14_ ; -- Begin function _ZN7rocprim17ROCPRIM_400000_NS6detail17trampoline_kernelINS0_14default_configENS1_22reduce_config_selectorIN6thrust23THRUST_200600_302600_NS5tupleIblNS6_9null_typeES8_S8_S8_S8_S8_S8_S8_EEEEZNS1_11reduce_implILb1ES3_NS6_12zip_iteratorINS7_INS6_11hip_rocprim26transform_input_iterator_tIbNSD_35transform_pair_of_input_iterators_tIbNS6_6detail15normal_iteratorINS6_10device_ptrIKiEEEESL_NS6_8equal_toIiEEEENSG_9not_fun_tINSD_8identityEEEEENSD_19counting_iterator_tIlEES8_S8_S8_S8_S8_S8_S8_S8_EEEEPS9_S9_NSD_9__find_if7functorIS9_EEEE10hipError_tPvRmT1_T2_T3_mT4_P12ihipStream_tbEUlT_E0_NS1_11comp_targetILNS1_3genE10ELNS1_11target_archE1201ELNS1_3gpuE5ELNS1_3repE0EEENS1_30default_config_static_selectorELNS0_4arch9wavefront6targetE1EEEvS14_
	.globl	_ZN7rocprim17ROCPRIM_400000_NS6detail17trampoline_kernelINS0_14default_configENS1_22reduce_config_selectorIN6thrust23THRUST_200600_302600_NS5tupleIblNS6_9null_typeES8_S8_S8_S8_S8_S8_S8_EEEEZNS1_11reduce_implILb1ES3_NS6_12zip_iteratorINS7_INS6_11hip_rocprim26transform_input_iterator_tIbNSD_35transform_pair_of_input_iterators_tIbNS6_6detail15normal_iteratorINS6_10device_ptrIKiEEEESL_NS6_8equal_toIiEEEENSG_9not_fun_tINSD_8identityEEEEENSD_19counting_iterator_tIlEES8_S8_S8_S8_S8_S8_S8_S8_EEEEPS9_S9_NSD_9__find_if7functorIS9_EEEE10hipError_tPvRmT1_T2_T3_mT4_P12ihipStream_tbEUlT_E0_NS1_11comp_targetILNS1_3genE10ELNS1_11target_archE1201ELNS1_3gpuE5ELNS1_3repE0EEENS1_30default_config_static_selectorELNS0_4arch9wavefront6targetE1EEEvS14_
	.p2align	8
	.type	_ZN7rocprim17ROCPRIM_400000_NS6detail17trampoline_kernelINS0_14default_configENS1_22reduce_config_selectorIN6thrust23THRUST_200600_302600_NS5tupleIblNS6_9null_typeES8_S8_S8_S8_S8_S8_S8_EEEEZNS1_11reduce_implILb1ES3_NS6_12zip_iteratorINS7_INS6_11hip_rocprim26transform_input_iterator_tIbNSD_35transform_pair_of_input_iterators_tIbNS6_6detail15normal_iteratorINS6_10device_ptrIKiEEEESL_NS6_8equal_toIiEEEENSG_9not_fun_tINSD_8identityEEEEENSD_19counting_iterator_tIlEES8_S8_S8_S8_S8_S8_S8_S8_EEEEPS9_S9_NSD_9__find_if7functorIS9_EEEE10hipError_tPvRmT1_T2_T3_mT4_P12ihipStream_tbEUlT_E0_NS1_11comp_targetILNS1_3genE10ELNS1_11target_archE1201ELNS1_3gpuE5ELNS1_3repE0EEENS1_30default_config_static_selectorELNS0_4arch9wavefront6targetE1EEEvS14_,@function
_ZN7rocprim17ROCPRIM_400000_NS6detail17trampoline_kernelINS0_14default_configENS1_22reduce_config_selectorIN6thrust23THRUST_200600_302600_NS5tupleIblNS6_9null_typeES8_S8_S8_S8_S8_S8_S8_EEEEZNS1_11reduce_implILb1ES3_NS6_12zip_iteratorINS7_INS6_11hip_rocprim26transform_input_iterator_tIbNSD_35transform_pair_of_input_iterators_tIbNS6_6detail15normal_iteratorINS6_10device_ptrIKiEEEESL_NS6_8equal_toIiEEEENSG_9not_fun_tINSD_8identityEEEEENSD_19counting_iterator_tIlEES8_S8_S8_S8_S8_S8_S8_S8_EEEEPS9_S9_NSD_9__find_if7functorIS9_EEEE10hipError_tPvRmT1_T2_T3_mT4_P12ihipStream_tbEUlT_E0_NS1_11comp_targetILNS1_3genE10ELNS1_11target_archE1201ELNS1_3gpuE5ELNS1_3repE0EEENS1_30default_config_static_selectorELNS0_4arch9wavefront6targetE1EEEvS14_: ; @_ZN7rocprim17ROCPRIM_400000_NS6detail17trampoline_kernelINS0_14default_configENS1_22reduce_config_selectorIN6thrust23THRUST_200600_302600_NS5tupleIblNS6_9null_typeES8_S8_S8_S8_S8_S8_S8_EEEEZNS1_11reduce_implILb1ES3_NS6_12zip_iteratorINS7_INS6_11hip_rocprim26transform_input_iterator_tIbNSD_35transform_pair_of_input_iterators_tIbNS6_6detail15normal_iteratorINS6_10device_ptrIKiEEEESL_NS6_8equal_toIiEEEENSG_9not_fun_tINSD_8identityEEEEENSD_19counting_iterator_tIlEES8_S8_S8_S8_S8_S8_S8_S8_EEEEPS9_S9_NSD_9__find_if7functorIS9_EEEE10hipError_tPvRmT1_T2_T3_mT4_P12ihipStream_tbEUlT_E0_NS1_11comp_targetILNS1_3genE10ELNS1_11target_archE1201ELNS1_3gpuE5ELNS1_3repE0EEENS1_30default_config_static_selectorELNS0_4arch9wavefront6targetE1EEEvS14_
; %bb.0:
	.section	.rodata,"a",@progbits
	.p2align	6, 0x0
	.amdhsa_kernel _ZN7rocprim17ROCPRIM_400000_NS6detail17trampoline_kernelINS0_14default_configENS1_22reduce_config_selectorIN6thrust23THRUST_200600_302600_NS5tupleIblNS6_9null_typeES8_S8_S8_S8_S8_S8_S8_EEEEZNS1_11reduce_implILb1ES3_NS6_12zip_iteratorINS7_INS6_11hip_rocprim26transform_input_iterator_tIbNSD_35transform_pair_of_input_iterators_tIbNS6_6detail15normal_iteratorINS6_10device_ptrIKiEEEESL_NS6_8equal_toIiEEEENSG_9not_fun_tINSD_8identityEEEEENSD_19counting_iterator_tIlEES8_S8_S8_S8_S8_S8_S8_S8_EEEEPS9_S9_NSD_9__find_if7functorIS9_EEEE10hipError_tPvRmT1_T2_T3_mT4_P12ihipStream_tbEUlT_E0_NS1_11comp_targetILNS1_3genE10ELNS1_11target_archE1201ELNS1_3gpuE5ELNS1_3repE0EEENS1_30default_config_static_selectorELNS0_4arch9wavefront6targetE1EEEvS14_
		.amdhsa_group_segment_fixed_size 0
		.amdhsa_private_segment_fixed_size 0
		.amdhsa_kernarg_size 104
		.amdhsa_user_sgpr_count 6
		.amdhsa_user_sgpr_private_segment_buffer 1
		.amdhsa_user_sgpr_dispatch_ptr 0
		.amdhsa_user_sgpr_queue_ptr 0
		.amdhsa_user_sgpr_kernarg_segment_ptr 1
		.amdhsa_user_sgpr_dispatch_id 0
		.amdhsa_user_sgpr_flat_scratch_init 0
		.amdhsa_user_sgpr_kernarg_preload_length 0
		.amdhsa_user_sgpr_kernarg_preload_offset 0
		.amdhsa_user_sgpr_private_segment_size 0
		.amdhsa_uses_dynamic_stack 0
		.amdhsa_system_sgpr_private_segment_wavefront_offset 0
		.amdhsa_system_sgpr_workgroup_id_x 1
		.amdhsa_system_sgpr_workgroup_id_y 0
		.amdhsa_system_sgpr_workgroup_id_z 0
		.amdhsa_system_sgpr_workgroup_info 0
		.amdhsa_system_vgpr_workitem_id 0
		.amdhsa_next_free_vgpr 1
		.amdhsa_next_free_sgpr 0
		.amdhsa_accum_offset 4
		.amdhsa_reserve_vcc 0
		.amdhsa_reserve_flat_scratch 0
		.amdhsa_float_round_mode_32 0
		.amdhsa_float_round_mode_16_64 0
		.amdhsa_float_denorm_mode_32 3
		.amdhsa_float_denorm_mode_16_64 3
		.amdhsa_dx10_clamp 1
		.amdhsa_ieee_mode 1
		.amdhsa_fp16_overflow 0
		.amdhsa_tg_split 0
		.amdhsa_exception_fp_ieee_invalid_op 0
		.amdhsa_exception_fp_denorm_src 0
		.amdhsa_exception_fp_ieee_div_zero 0
		.amdhsa_exception_fp_ieee_overflow 0
		.amdhsa_exception_fp_ieee_underflow 0
		.amdhsa_exception_fp_ieee_inexact 0
		.amdhsa_exception_int_div_zero 0
	.end_amdhsa_kernel
	.section	.text._ZN7rocprim17ROCPRIM_400000_NS6detail17trampoline_kernelINS0_14default_configENS1_22reduce_config_selectorIN6thrust23THRUST_200600_302600_NS5tupleIblNS6_9null_typeES8_S8_S8_S8_S8_S8_S8_EEEEZNS1_11reduce_implILb1ES3_NS6_12zip_iteratorINS7_INS6_11hip_rocprim26transform_input_iterator_tIbNSD_35transform_pair_of_input_iterators_tIbNS6_6detail15normal_iteratorINS6_10device_ptrIKiEEEESL_NS6_8equal_toIiEEEENSG_9not_fun_tINSD_8identityEEEEENSD_19counting_iterator_tIlEES8_S8_S8_S8_S8_S8_S8_S8_EEEEPS9_S9_NSD_9__find_if7functorIS9_EEEE10hipError_tPvRmT1_T2_T3_mT4_P12ihipStream_tbEUlT_E0_NS1_11comp_targetILNS1_3genE10ELNS1_11target_archE1201ELNS1_3gpuE5ELNS1_3repE0EEENS1_30default_config_static_selectorELNS0_4arch9wavefront6targetE1EEEvS14_,"axG",@progbits,_ZN7rocprim17ROCPRIM_400000_NS6detail17trampoline_kernelINS0_14default_configENS1_22reduce_config_selectorIN6thrust23THRUST_200600_302600_NS5tupleIblNS6_9null_typeES8_S8_S8_S8_S8_S8_S8_EEEEZNS1_11reduce_implILb1ES3_NS6_12zip_iteratorINS7_INS6_11hip_rocprim26transform_input_iterator_tIbNSD_35transform_pair_of_input_iterators_tIbNS6_6detail15normal_iteratorINS6_10device_ptrIKiEEEESL_NS6_8equal_toIiEEEENSG_9not_fun_tINSD_8identityEEEEENSD_19counting_iterator_tIlEES8_S8_S8_S8_S8_S8_S8_S8_EEEEPS9_S9_NSD_9__find_if7functorIS9_EEEE10hipError_tPvRmT1_T2_T3_mT4_P12ihipStream_tbEUlT_E0_NS1_11comp_targetILNS1_3genE10ELNS1_11target_archE1201ELNS1_3gpuE5ELNS1_3repE0EEENS1_30default_config_static_selectorELNS0_4arch9wavefront6targetE1EEEvS14_,comdat
.Lfunc_end266:
	.size	_ZN7rocprim17ROCPRIM_400000_NS6detail17trampoline_kernelINS0_14default_configENS1_22reduce_config_selectorIN6thrust23THRUST_200600_302600_NS5tupleIblNS6_9null_typeES8_S8_S8_S8_S8_S8_S8_EEEEZNS1_11reduce_implILb1ES3_NS6_12zip_iteratorINS7_INS6_11hip_rocprim26transform_input_iterator_tIbNSD_35transform_pair_of_input_iterators_tIbNS6_6detail15normal_iteratorINS6_10device_ptrIKiEEEESL_NS6_8equal_toIiEEEENSG_9not_fun_tINSD_8identityEEEEENSD_19counting_iterator_tIlEES8_S8_S8_S8_S8_S8_S8_S8_EEEEPS9_S9_NSD_9__find_if7functorIS9_EEEE10hipError_tPvRmT1_T2_T3_mT4_P12ihipStream_tbEUlT_E0_NS1_11comp_targetILNS1_3genE10ELNS1_11target_archE1201ELNS1_3gpuE5ELNS1_3repE0EEENS1_30default_config_static_selectorELNS0_4arch9wavefront6targetE1EEEvS14_, .Lfunc_end266-_ZN7rocprim17ROCPRIM_400000_NS6detail17trampoline_kernelINS0_14default_configENS1_22reduce_config_selectorIN6thrust23THRUST_200600_302600_NS5tupleIblNS6_9null_typeES8_S8_S8_S8_S8_S8_S8_EEEEZNS1_11reduce_implILb1ES3_NS6_12zip_iteratorINS7_INS6_11hip_rocprim26transform_input_iterator_tIbNSD_35transform_pair_of_input_iterators_tIbNS6_6detail15normal_iteratorINS6_10device_ptrIKiEEEESL_NS6_8equal_toIiEEEENSG_9not_fun_tINSD_8identityEEEEENSD_19counting_iterator_tIlEES8_S8_S8_S8_S8_S8_S8_S8_EEEEPS9_S9_NSD_9__find_if7functorIS9_EEEE10hipError_tPvRmT1_T2_T3_mT4_P12ihipStream_tbEUlT_E0_NS1_11comp_targetILNS1_3genE10ELNS1_11target_archE1201ELNS1_3gpuE5ELNS1_3repE0EEENS1_30default_config_static_selectorELNS0_4arch9wavefront6targetE1EEEvS14_
                                        ; -- End function
	.section	.AMDGPU.csdata,"",@progbits
; Kernel info:
; codeLenInByte = 0
; NumSgprs: 4
; NumVgprs: 0
; NumAgprs: 0
; TotalNumVgprs: 0
; ScratchSize: 0
; MemoryBound: 0
; FloatMode: 240
; IeeeMode: 1
; LDSByteSize: 0 bytes/workgroup (compile time only)
; SGPRBlocks: 0
; VGPRBlocks: 0
; NumSGPRsForWavesPerEU: 4
; NumVGPRsForWavesPerEU: 1
; AccumOffset: 4
; Occupancy: 8
; WaveLimiterHint : 0
; COMPUTE_PGM_RSRC2:SCRATCH_EN: 0
; COMPUTE_PGM_RSRC2:USER_SGPR: 6
; COMPUTE_PGM_RSRC2:TRAP_HANDLER: 0
; COMPUTE_PGM_RSRC2:TGID_X_EN: 1
; COMPUTE_PGM_RSRC2:TGID_Y_EN: 0
; COMPUTE_PGM_RSRC2:TGID_Z_EN: 0
; COMPUTE_PGM_RSRC2:TIDIG_COMP_CNT: 0
; COMPUTE_PGM_RSRC3_GFX90A:ACCUM_OFFSET: 0
; COMPUTE_PGM_RSRC3_GFX90A:TG_SPLIT: 0
	.section	.text._ZN7rocprim17ROCPRIM_400000_NS6detail17trampoline_kernelINS0_14default_configENS1_22reduce_config_selectorIN6thrust23THRUST_200600_302600_NS5tupleIblNS6_9null_typeES8_S8_S8_S8_S8_S8_S8_EEEEZNS1_11reduce_implILb1ES3_NS6_12zip_iteratorINS7_INS6_11hip_rocprim26transform_input_iterator_tIbNSD_35transform_pair_of_input_iterators_tIbNS6_6detail15normal_iteratorINS6_10device_ptrIKiEEEESL_NS6_8equal_toIiEEEENSG_9not_fun_tINSD_8identityEEEEENSD_19counting_iterator_tIlEES8_S8_S8_S8_S8_S8_S8_S8_EEEEPS9_S9_NSD_9__find_if7functorIS9_EEEE10hipError_tPvRmT1_T2_T3_mT4_P12ihipStream_tbEUlT_E0_NS1_11comp_targetILNS1_3genE10ELNS1_11target_archE1200ELNS1_3gpuE4ELNS1_3repE0EEENS1_30default_config_static_selectorELNS0_4arch9wavefront6targetE1EEEvS14_,"axG",@progbits,_ZN7rocprim17ROCPRIM_400000_NS6detail17trampoline_kernelINS0_14default_configENS1_22reduce_config_selectorIN6thrust23THRUST_200600_302600_NS5tupleIblNS6_9null_typeES8_S8_S8_S8_S8_S8_S8_EEEEZNS1_11reduce_implILb1ES3_NS6_12zip_iteratorINS7_INS6_11hip_rocprim26transform_input_iterator_tIbNSD_35transform_pair_of_input_iterators_tIbNS6_6detail15normal_iteratorINS6_10device_ptrIKiEEEESL_NS6_8equal_toIiEEEENSG_9not_fun_tINSD_8identityEEEEENSD_19counting_iterator_tIlEES8_S8_S8_S8_S8_S8_S8_S8_EEEEPS9_S9_NSD_9__find_if7functorIS9_EEEE10hipError_tPvRmT1_T2_T3_mT4_P12ihipStream_tbEUlT_E0_NS1_11comp_targetILNS1_3genE10ELNS1_11target_archE1200ELNS1_3gpuE4ELNS1_3repE0EEENS1_30default_config_static_selectorELNS0_4arch9wavefront6targetE1EEEvS14_,comdat
	.protected	_ZN7rocprim17ROCPRIM_400000_NS6detail17trampoline_kernelINS0_14default_configENS1_22reduce_config_selectorIN6thrust23THRUST_200600_302600_NS5tupleIblNS6_9null_typeES8_S8_S8_S8_S8_S8_S8_EEEEZNS1_11reduce_implILb1ES3_NS6_12zip_iteratorINS7_INS6_11hip_rocprim26transform_input_iterator_tIbNSD_35transform_pair_of_input_iterators_tIbNS6_6detail15normal_iteratorINS6_10device_ptrIKiEEEESL_NS6_8equal_toIiEEEENSG_9not_fun_tINSD_8identityEEEEENSD_19counting_iterator_tIlEES8_S8_S8_S8_S8_S8_S8_S8_EEEEPS9_S9_NSD_9__find_if7functorIS9_EEEE10hipError_tPvRmT1_T2_T3_mT4_P12ihipStream_tbEUlT_E0_NS1_11comp_targetILNS1_3genE10ELNS1_11target_archE1200ELNS1_3gpuE4ELNS1_3repE0EEENS1_30default_config_static_selectorELNS0_4arch9wavefront6targetE1EEEvS14_ ; -- Begin function _ZN7rocprim17ROCPRIM_400000_NS6detail17trampoline_kernelINS0_14default_configENS1_22reduce_config_selectorIN6thrust23THRUST_200600_302600_NS5tupleIblNS6_9null_typeES8_S8_S8_S8_S8_S8_S8_EEEEZNS1_11reduce_implILb1ES3_NS6_12zip_iteratorINS7_INS6_11hip_rocprim26transform_input_iterator_tIbNSD_35transform_pair_of_input_iterators_tIbNS6_6detail15normal_iteratorINS6_10device_ptrIKiEEEESL_NS6_8equal_toIiEEEENSG_9not_fun_tINSD_8identityEEEEENSD_19counting_iterator_tIlEES8_S8_S8_S8_S8_S8_S8_S8_EEEEPS9_S9_NSD_9__find_if7functorIS9_EEEE10hipError_tPvRmT1_T2_T3_mT4_P12ihipStream_tbEUlT_E0_NS1_11comp_targetILNS1_3genE10ELNS1_11target_archE1200ELNS1_3gpuE4ELNS1_3repE0EEENS1_30default_config_static_selectorELNS0_4arch9wavefront6targetE1EEEvS14_
	.globl	_ZN7rocprim17ROCPRIM_400000_NS6detail17trampoline_kernelINS0_14default_configENS1_22reduce_config_selectorIN6thrust23THRUST_200600_302600_NS5tupleIblNS6_9null_typeES8_S8_S8_S8_S8_S8_S8_EEEEZNS1_11reduce_implILb1ES3_NS6_12zip_iteratorINS7_INS6_11hip_rocprim26transform_input_iterator_tIbNSD_35transform_pair_of_input_iterators_tIbNS6_6detail15normal_iteratorINS6_10device_ptrIKiEEEESL_NS6_8equal_toIiEEEENSG_9not_fun_tINSD_8identityEEEEENSD_19counting_iterator_tIlEES8_S8_S8_S8_S8_S8_S8_S8_EEEEPS9_S9_NSD_9__find_if7functorIS9_EEEE10hipError_tPvRmT1_T2_T3_mT4_P12ihipStream_tbEUlT_E0_NS1_11comp_targetILNS1_3genE10ELNS1_11target_archE1200ELNS1_3gpuE4ELNS1_3repE0EEENS1_30default_config_static_selectorELNS0_4arch9wavefront6targetE1EEEvS14_
	.p2align	8
	.type	_ZN7rocprim17ROCPRIM_400000_NS6detail17trampoline_kernelINS0_14default_configENS1_22reduce_config_selectorIN6thrust23THRUST_200600_302600_NS5tupleIblNS6_9null_typeES8_S8_S8_S8_S8_S8_S8_EEEEZNS1_11reduce_implILb1ES3_NS6_12zip_iteratorINS7_INS6_11hip_rocprim26transform_input_iterator_tIbNSD_35transform_pair_of_input_iterators_tIbNS6_6detail15normal_iteratorINS6_10device_ptrIKiEEEESL_NS6_8equal_toIiEEEENSG_9not_fun_tINSD_8identityEEEEENSD_19counting_iterator_tIlEES8_S8_S8_S8_S8_S8_S8_S8_EEEEPS9_S9_NSD_9__find_if7functorIS9_EEEE10hipError_tPvRmT1_T2_T3_mT4_P12ihipStream_tbEUlT_E0_NS1_11comp_targetILNS1_3genE10ELNS1_11target_archE1200ELNS1_3gpuE4ELNS1_3repE0EEENS1_30default_config_static_selectorELNS0_4arch9wavefront6targetE1EEEvS14_,@function
_ZN7rocprim17ROCPRIM_400000_NS6detail17trampoline_kernelINS0_14default_configENS1_22reduce_config_selectorIN6thrust23THRUST_200600_302600_NS5tupleIblNS6_9null_typeES8_S8_S8_S8_S8_S8_S8_EEEEZNS1_11reduce_implILb1ES3_NS6_12zip_iteratorINS7_INS6_11hip_rocprim26transform_input_iterator_tIbNSD_35transform_pair_of_input_iterators_tIbNS6_6detail15normal_iteratorINS6_10device_ptrIKiEEEESL_NS6_8equal_toIiEEEENSG_9not_fun_tINSD_8identityEEEEENSD_19counting_iterator_tIlEES8_S8_S8_S8_S8_S8_S8_S8_EEEEPS9_S9_NSD_9__find_if7functorIS9_EEEE10hipError_tPvRmT1_T2_T3_mT4_P12ihipStream_tbEUlT_E0_NS1_11comp_targetILNS1_3genE10ELNS1_11target_archE1200ELNS1_3gpuE4ELNS1_3repE0EEENS1_30default_config_static_selectorELNS0_4arch9wavefront6targetE1EEEvS14_: ; @_ZN7rocprim17ROCPRIM_400000_NS6detail17trampoline_kernelINS0_14default_configENS1_22reduce_config_selectorIN6thrust23THRUST_200600_302600_NS5tupleIblNS6_9null_typeES8_S8_S8_S8_S8_S8_S8_EEEEZNS1_11reduce_implILb1ES3_NS6_12zip_iteratorINS7_INS6_11hip_rocprim26transform_input_iterator_tIbNSD_35transform_pair_of_input_iterators_tIbNS6_6detail15normal_iteratorINS6_10device_ptrIKiEEEESL_NS6_8equal_toIiEEEENSG_9not_fun_tINSD_8identityEEEEENSD_19counting_iterator_tIlEES8_S8_S8_S8_S8_S8_S8_S8_EEEEPS9_S9_NSD_9__find_if7functorIS9_EEEE10hipError_tPvRmT1_T2_T3_mT4_P12ihipStream_tbEUlT_E0_NS1_11comp_targetILNS1_3genE10ELNS1_11target_archE1200ELNS1_3gpuE4ELNS1_3repE0EEENS1_30default_config_static_selectorELNS0_4arch9wavefront6targetE1EEEvS14_
; %bb.0:
	.section	.rodata,"a",@progbits
	.p2align	6, 0x0
	.amdhsa_kernel _ZN7rocprim17ROCPRIM_400000_NS6detail17trampoline_kernelINS0_14default_configENS1_22reduce_config_selectorIN6thrust23THRUST_200600_302600_NS5tupleIblNS6_9null_typeES8_S8_S8_S8_S8_S8_S8_EEEEZNS1_11reduce_implILb1ES3_NS6_12zip_iteratorINS7_INS6_11hip_rocprim26transform_input_iterator_tIbNSD_35transform_pair_of_input_iterators_tIbNS6_6detail15normal_iteratorINS6_10device_ptrIKiEEEESL_NS6_8equal_toIiEEEENSG_9not_fun_tINSD_8identityEEEEENSD_19counting_iterator_tIlEES8_S8_S8_S8_S8_S8_S8_S8_EEEEPS9_S9_NSD_9__find_if7functorIS9_EEEE10hipError_tPvRmT1_T2_T3_mT4_P12ihipStream_tbEUlT_E0_NS1_11comp_targetILNS1_3genE10ELNS1_11target_archE1200ELNS1_3gpuE4ELNS1_3repE0EEENS1_30default_config_static_selectorELNS0_4arch9wavefront6targetE1EEEvS14_
		.amdhsa_group_segment_fixed_size 0
		.amdhsa_private_segment_fixed_size 0
		.amdhsa_kernarg_size 104
		.amdhsa_user_sgpr_count 6
		.amdhsa_user_sgpr_private_segment_buffer 1
		.amdhsa_user_sgpr_dispatch_ptr 0
		.amdhsa_user_sgpr_queue_ptr 0
		.amdhsa_user_sgpr_kernarg_segment_ptr 1
		.amdhsa_user_sgpr_dispatch_id 0
		.amdhsa_user_sgpr_flat_scratch_init 0
		.amdhsa_user_sgpr_kernarg_preload_length 0
		.amdhsa_user_sgpr_kernarg_preload_offset 0
		.amdhsa_user_sgpr_private_segment_size 0
		.amdhsa_uses_dynamic_stack 0
		.amdhsa_system_sgpr_private_segment_wavefront_offset 0
		.amdhsa_system_sgpr_workgroup_id_x 1
		.amdhsa_system_sgpr_workgroup_id_y 0
		.amdhsa_system_sgpr_workgroup_id_z 0
		.amdhsa_system_sgpr_workgroup_info 0
		.amdhsa_system_vgpr_workitem_id 0
		.amdhsa_next_free_vgpr 1
		.amdhsa_next_free_sgpr 0
		.amdhsa_accum_offset 4
		.amdhsa_reserve_vcc 0
		.amdhsa_reserve_flat_scratch 0
		.amdhsa_float_round_mode_32 0
		.amdhsa_float_round_mode_16_64 0
		.amdhsa_float_denorm_mode_32 3
		.amdhsa_float_denorm_mode_16_64 3
		.amdhsa_dx10_clamp 1
		.amdhsa_ieee_mode 1
		.amdhsa_fp16_overflow 0
		.amdhsa_tg_split 0
		.amdhsa_exception_fp_ieee_invalid_op 0
		.amdhsa_exception_fp_denorm_src 0
		.amdhsa_exception_fp_ieee_div_zero 0
		.amdhsa_exception_fp_ieee_overflow 0
		.amdhsa_exception_fp_ieee_underflow 0
		.amdhsa_exception_fp_ieee_inexact 0
		.amdhsa_exception_int_div_zero 0
	.end_amdhsa_kernel
	.section	.text._ZN7rocprim17ROCPRIM_400000_NS6detail17trampoline_kernelINS0_14default_configENS1_22reduce_config_selectorIN6thrust23THRUST_200600_302600_NS5tupleIblNS6_9null_typeES8_S8_S8_S8_S8_S8_S8_EEEEZNS1_11reduce_implILb1ES3_NS6_12zip_iteratorINS7_INS6_11hip_rocprim26transform_input_iterator_tIbNSD_35transform_pair_of_input_iterators_tIbNS6_6detail15normal_iteratorINS6_10device_ptrIKiEEEESL_NS6_8equal_toIiEEEENSG_9not_fun_tINSD_8identityEEEEENSD_19counting_iterator_tIlEES8_S8_S8_S8_S8_S8_S8_S8_EEEEPS9_S9_NSD_9__find_if7functorIS9_EEEE10hipError_tPvRmT1_T2_T3_mT4_P12ihipStream_tbEUlT_E0_NS1_11comp_targetILNS1_3genE10ELNS1_11target_archE1200ELNS1_3gpuE4ELNS1_3repE0EEENS1_30default_config_static_selectorELNS0_4arch9wavefront6targetE1EEEvS14_,"axG",@progbits,_ZN7rocprim17ROCPRIM_400000_NS6detail17trampoline_kernelINS0_14default_configENS1_22reduce_config_selectorIN6thrust23THRUST_200600_302600_NS5tupleIblNS6_9null_typeES8_S8_S8_S8_S8_S8_S8_EEEEZNS1_11reduce_implILb1ES3_NS6_12zip_iteratorINS7_INS6_11hip_rocprim26transform_input_iterator_tIbNSD_35transform_pair_of_input_iterators_tIbNS6_6detail15normal_iteratorINS6_10device_ptrIKiEEEESL_NS6_8equal_toIiEEEENSG_9not_fun_tINSD_8identityEEEEENSD_19counting_iterator_tIlEES8_S8_S8_S8_S8_S8_S8_S8_EEEEPS9_S9_NSD_9__find_if7functorIS9_EEEE10hipError_tPvRmT1_T2_T3_mT4_P12ihipStream_tbEUlT_E0_NS1_11comp_targetILNS1_3genE10ELNS1_11target_archE1200ELNS1_3gpuE4ELNS1_3repE0EEENS1_30default_config_static_selectorELNS0_4arch9wavefront6targetE1EEEvS14_,comdat
.Lfunc_end267:
	.size	_ZN7rocprim17ROCPRIM_400000_NS6detail17trampoline_kernelINS0_14default_configENS1_22reduce_config_selectorIN6thrust23THRUST_200600_302600_NS5tupleIblNS6_9null_typeES8_S8_S8_S8_S8_S8_S8_EEEEZNS1_11reduce_implILb1ES3_NS6_12zip_iteratorINS7_INS6_11hip_rocprim26transform_input_iterator_tIbNSD_35transform_pair_of_input_iterators_tIbNS6_6detail15normal_iteratorINS6_10device_ptrIKiEEEESL_NS6_8equal_toIiEEEENSG_9not_fun_tINSD_8identityEEEEENSD_19counting_iterator_tIlEES8_S8_S8_S8_S8_S8_S8_S8_EEEEPS9_S9_NSD_9__find_if7functorIS9_EEEE10hipError_tPvRmT1_T2_T3_mT4_P12ihipStream_tbEUlT_E0_NS1_11comp_targetILNS1_3genE10ELNS1_11target_archE1200ELNS1_3gpuE4ELNS1_3repE0EEENS1_30default_config_static_selectorELNS0_4arch9wavefront6targetE1EEEvS14_, .Lfunc_end267-_ZN7rocprim17ROCPRIM_400000_NS6detail17trampoline_kernelINS0_14default_configENS1_22reduce_config_selectorIN6thrust23THRUST_200600_302600_NS5tupleIblNS6_9null_typeES8_S8_S8_S8_S8_S8_S8_EEEEZNS1_11reduce_implILb1ES3_NS6_12zip_iteratorINS7_INS6_11hip_rocprim26transform_input_iterator_tIbNSD_35transform_pair_of_input_iterators_tIbNS6_6detail15normal_iteratorINS6_10device_ptrIKiEEEESL_NS6_8equal_toIiEEEENSG_9not_fun_tINSD_8identityEEEEENSD_19counting_iterator_tIlEES8_S8_S8_S8_S8_S8_S8_S8_EEEEPS9_S9_NSD_9__find_if7functorIS9_EEEE10hipError_tPvRmT1_T2_T3_mT4_P12ihipStream_tbEUlT_E0_NS1_11comp_targetILNS1_3genE10ELNS1_11target_archE1200ELNS1_3gpuE4ELNS1_3repE0EEENS1_30default_config_static_selectorELNS0_4arch9wavefront6targetE1EEEvS14_
                                        ; -- End function
	.section	.AMDGPU.csdata,"",@progbits
; Kernel info:
; codeLenInByte = 0
; NumSgprs: 4
; NumVgprs: 0
; NumAgprs: 0
; TotalNumVgprs: 0
; ScratchSize: 0
; MemoryBound: 0
; FloatMode: 240
; IeeeMode: 1
; LDSByteSize: 0 bytes/workgroup (compile time only)
; SGPRBlocks: 0
; VGPRBlocks: 0
; NumSGPRsForWavesPerEU: 4
; NumVGPRsForWavesPerEU: 1
; AccumOffset: 4
; Occupancy: 8
; WaveLimiterHint : 0
; COMPUTE_PGM_RSRC2:SCRATCH_EN: 0
; COMPUTE_PGM_RSRC2:USER_SGPR: 6
; COMPUTE_PGM_RSRC2:TRAP_HANDLER: 0
; COMPUTE_PGM_RSRC2:TGID_X_EN: 1
; COMPUTE_PGM_RSRC2:TGID_Y_EN: 0
; COMPUTE_PGM_RSRC2:TGID_Z_EN: 0
; COMPUTE_PGM_RSRC2:TIDIG_COMP_CNT: 0
; COMPUTE_PGM_RSRC3_GFX90A:ACCUM_OFFSET: 0
; COMPUTE_PGM_RSRC3_GFX90A:TG_SPLIT: 0
	.section	.text._ZN7rocprim17ROCPRIM_400000_NS6detail17trampoline_kernelINS0_14default_configENS1_22reduce_config_selectorIN6thrust23THRUST_200600_302600_NS5tupleIblNS6_9null_typeES8_S8_S8_S8_S8_S8_S8_EEEEZNS1_11reduce_implILb1ES3_NS6_12zip_iteratorINS7_INS6_11hip_rocprim26transform_input_iterator_tIbNSD_35transform_pair_of_input_iterators_tIbNS6_6detail15normal_iteratorINS6_10device_ptrIKiEEEESL_NS6_8equal_toIiEEEENSG_9not_fun_tINSD_8identityEEEEENSD_19counting_iterator_tIlEES8_S8_S8_S8_S8_S8_S8_S8_EEEEPS9_S9_NSD_9__find_if7functorIS9_EEEE10hipError_tPvRmT1_T2_T3_mT4_P12ihipStream_tbEUlT_E0_NS1_11comp_targetILNS1_3genE9ELNS1_11target_archE1100ELNS1_3gpuE3ELNS1_3repE0EEENS1_30default_config_static_selectorELNS0_4arch9wavefront6targetE1EEEvS14_,"axG",@progbits,_ZN7rocprim17ROCPRIM_400000_NS6detail17trampoline_kernelINS0_14default_configENS1_22reduce_config_selectorIN6thrust23THRUST_200600_302600_NS5tupleIblNS6_9null_typeES8_S8_S8_S8_S8_S8_S8_EEEEZNS1_11reduce_implILb1ES3_NS6_12zip_iteratorINS7_INS6_11hip_rocprim26transform_input_iterator_tIbNSD_35transform_pair_of_input_iterators_tIbNS6_6detail15normal_iteratorINS6_10device_ptrIKiEEEESL_NS6_8equal_toIiEEEENSG_9not_fun_tINSD_8identityEEEEENSD_19counting_iterator_tIlEES8_S8_S8_S8_S8_S8_S8_S8_EEEEPS9_S9_NSD_9__find_if7functorIS9_EEEE10hipError_tPvRmT1_T2_T3_mT4_P12ihipStream_tbEUlT_E0_NS1_11comp_targetILNS1_3genE9ELNS1_11target_archE1100ELNS1_3gpuE3ELNS1_3repE0EEENS1_30default_config_static_selectorELNS0_4arch9wavefront6targetE1EEEvS14_,comdat
	.protected	_ZN7rocprim17ROCPRIM_400000_NS6detail17trampoline_kernelINS0_14default_configENS1_22reduce_config_selectorIN6thrust23THRUST_200600_302600_NS5tupleIblNS6_9null_typeES8_S8_S8_S8_S8_S8_S8_EEEEZNS1_11reduce_implILb1ES3_NS6_12zip_iteratorINS7_INS6_11hip_rocprim26transform_input_iterator_tIbNSD_35transform_pair_of_input_iterators_tIbNS6_6detail15normal_iteratorINS6_10device_ptrIKiEEEESL_NS6_8equal_toIiEEEENSG_9not_fun_tINSD_8identityEEEEENSD_19counting_iterator_tIlEES8_S8_S8_S8_S8_S8_S8_S8_EEEEPS9_S9_NSD_9__find_if7functorIS9_EEEE10hipError_tPvRmT1_T2_T3_mT4_P12ihipStream_tbEUlT_E0_NS1_11comp_targetILNS1_3genE9ELNS1_11target_archE1100ELNS1_3gpuE3ELNS1_3repE0EEENS1_30default_config_static_selectorELNS0_4arch9wavefront6targetE1EEEvS14_ ; -- Begin function _ZN7rocprim17ROCPRIM_400000_NS6detail17trampoline_kernelINS0_14default_configENS1_22reduce_config_selectorIN6thrust23THRUST_200600_302600_NS5tupleIblNS6_9null_typeES8_S8_S8_S8_S8_S8_S8_EEEEZNS1_11reduce_implILb1ES3_NS6_12zip_iteratorINS7_INS6_11hip_rocprim26transform_input_iterator_tIbNSD_35transform_pair_of_input_iterators_tIbNS6_6detail15normal_iteratorINS6_10device_ptrIKiEEEESL_NS6_8equal_toIiEEEENSG_9not_fun_tINSD_8identityEEEEENSD_19counting_iterator_tIlEES8_S8_S8_S8_S8_S8_S8_S8_EEEEPS9_S9_NSD_9__find_if7functorIS9_EEEE10hipError_tPvRmT1_T2_T3_mT4_P12ihipStream_tbEUlT_E0_NS1_11comp_targetILNS1_3genE9ELNS1_11target_archE1100ELNS1_3gpuE3ELNS1_3repE0EEENS1_30default_config_static_selectorELNS0_4arch9wavefront6targetE1EEEvS14_
	.globl	_ZN7rocprim17ROCPRIM_400000_NS6detail17trampoline_kernelINS0_14default_configENS1_22reduce_config_selectorIN6thrust23THRUST_200600_302600_NS5tupleIblNS6_9null_typeES8_S8_S8_S8_S8_S8_S8_EEEEZNS1_11reduce_implILb1ES3_NS6_12zip_iteratorINS7_INS6_11hip_rocprim26transform_input_iterator_tIbNSD_35transform_pair_of_input_iterators_tIbNS6_6detail15normal_iteratorINS6_10device_ptrIKiEEEESL_NS6_8equal_toIiEEEENSG_9not_fun_tINSD_8identityEEEEENSD_19counting_iterator_tIlEES8_S8_S8_S8_S8_S8_S8_S8_EEEEPS9_S9_NSD_9__find_if7functorIS9_EEEE10hipError_tPvRmT1_T2_T3_mT4_P12ihipStream_tbEUlT_E0_NS1_11comp_targetILNS1_3genE9ELNS1_11target_archE1100ELNS1_3gpuE3ELNS1_3repE0EEENS1_30default_config_static_selectorELNS0_4arch9wavefront6targetE1EEEvS14_
	.p2align	8
	.type	_ZN7rocprim17ROCPRIM_400000_NS6detail17trampoline_kernelINS0_14default_configENS1_22reduce_config_selectorIN6thrust23THRUST_200600_302600_NS5tupleIblNS6_9null_typeES8_S8_S8_S8_S8_S8_S8_EEEEZNS1_11reduce_implILb1ES3_NS6_12zip_iteratorINS7_INS6_11hip_rocprim26transform_input_iterator_tIbNSD_35transform_pair_of_input_iterators_tIbNS6_6detail15normal_iteratorINS6_10device_ptrIKiEEEESL_NS6_8equal_toIiEEEENSG_9not_fun_tINSD_8identityEEEEENSD_19counting_iterator_tIlEES8_S8_S8_S8_S8_S8_S8_S8_EEEEPS9_S9_NSD_9__find_if7functorIS9_EEEE10hipError_tPvRmT1_T2_T3_mT4_P12ihipStream_tbEUlT_E0_NS1_11comp_targetILNS1_3genE9ELNS1_11target_archE1100ELNS1_3gpuE3ELNS1_3repE0EEENS1_30default_config_static_selectorELNS0_4arch9wavefront6targetE1EEEvS14_,@function
_ZN7rocprim17ROCPRIM_400000_NS6detail17trampoline_kernelINS0_14default_configENS1_22reduce_config_selectorIN6thrust23THRUST_200600_302600_NS5tupleIblNS6_9null_typeES8_S8_S8_S8_S8_S8_S8_EEEEZNS1_11reduce_implILb1ES3_NS6_12zip_iteratorINS7_INS6_11hip_rocprim26transform_input_iterator_tIbNSD_35transform_pair_of_input_iterators_tIbNS6_6detail15normal_iteratorINS6_10device_ptrIKiEEEESL_NS6_8equal_toIiEEEENSG_9not_fun_tINSD_8identityEEEEENSD_19counting_iterator_tIlEES8_S8_S8_S8_S8_S8_S8_S8_EEEEPS9_S9_NSD_9__find_if7functorIS9_EEEE10hipError_tPvRmT1_T2_T3_mT4_P12ihipStream_tbEUlT_E0_NS1_11comp_targetILNS1_3genE9ELNS1_11target_archE1100ELNS1_3gpuE3ELNS1_3repE0EEENS1_30default_config_static_selectorELNS0_4arch9wavefront6targetE1EEEvS14_: ; @_ZN7rocprim17ROCPRIM_400000_NS6detail17trampoline_kernelINS0_14default_configENS1_22reduce_config_selectorIN6thrust23THRUST_200600_302600_NS5tupleIblNS6_9null_typeES8_S8_S8_S8_S8_S8_S8_EEEEZNS1_11reduce_implILb1ES3_NS6_12zip_iteratorINS7_INS6_11hip_rocprim26transform_input_iterator_tIbNSD_35transform_pair_of_input_iterators_tIbNS6_6detail15normal_iteratorINS6_10device_ptrIKiEEEESL_NS6_8equal_toIiEEEENSG_9not_fun_tINSD_8identityEEEEENSD_19counting_iterator_tIlEES8_S8_S8_S8_S8_S8_S8_S8_EEEEPS9_S9_NSD_9__find_if7functorIS9_EEEE10hipError_tPvRmT1_T2_T3_mT4_P12ihipStream_tbEUlT_E0_NS1_11comp_targetILNS1_3genE9ELNS1_11target_archE1100ELNS1_3gpuE3ELNS1_3repE0EEENS1_30default_config_static_selectorELNS0_4arch9wavefront6targetE1EEEvS14_
; %bb.0:
	.section	.rodata,"a",@progbits
	.p2align	6, 0x0
	.amdhsa_kernel _ZN7rocprim17ROCPRIM_400000_NS6detail17trampoline_kernelINS0_14default_configENS1_22reduce_config_selectorIN6thrust23THRUST_200600_302600_NS5tupleIblNS6_9null_typeES8_S8_S8_S8_S8_S8_S8_EEEEZNS1_11reduce_implILb1ES3_NS6_12zip_iteratorINS7_INS6_11hip_rocprim26transform_input_iterator_tIbNSD_35transform_pair_of_input_iterators_tIbNS6_6detail15normal_iteratorINS6_10device_ptrIKiEEEESL_NS6_8equal_toIiEEEENSG_9not_fun_tINSD_8identityEEEEENSD_19counting_iterator_tIlEES8_S8_S8_S8_S8_S8_S8_S8_EEEEPS9_S9_NSD_9__find_if7functorIS9_EEEE10hipError_tPvRmT1_T2_T3_mT4_P12ihipStream_tbEUlT_E0_NS1_11comp_targetILNS1_3genE9ELNS1_11target_archE1100ELNS1_3gpuE3ELNS1_3repE0EEENS1_30default_config_static_selectorELNS0_4arch9wavefront6targetE1EEEvS14_
		.amdhsa_group_segment_fixed_size 0
		.amdhsa_private_segment_fixed_size 0
		.amdhsa_kernarg_size 104
		.amdhsa_user_sgpr_count 6
		.amdhsa_user_sgpr_private_segment_buffer 1
		.amdhsa_user_sgpr_dispatch_ptr 0
		.amdhsa_user_sgpr_queue_ptr 0
		.amdhsa_user_sgpr_kernarg_segment_ptr 1
		.amdhsa_user_sgpr_dispatch_id 0
		.amdhsa_user_sgpr_flat_scratch_init 0
		.amdhsa_user_sgpr_kernarg_preload_length 0
		.amdhsa_user_sgpr_kernarg_preload_offset 0
		.amdhsa_user_sgpr_private_segment_size 0
		.amdhsa_uses_dynamic_stack 0
		.amdhsa_system_sgpr_private_segment_wavefront_offset 0
		.amdhsa_system_sgpr_workgroup_id_x 1
		.amdhsa_system_sgpr_workgroup_id_y 0
		.amdhsa_system_sgpr_workgroup_id_z 0
		.amdhsa_system_sgpr_workgroup_info 0
		.amdhsa_system_vgpr_workitem_id 0
		.amdhsa_next_free_vgpr 1
		.amdhsa_next_free_sgpr 0
		.amdhsa_accum_offset 4
		.amdhsa_reserve_vcc 0
		.amdhsa_reserve_flat_scratch 0
		.amdhsa_float_round_mode_32 0
		.amdhsa_float_round_mode_16_64 0
		.amdhsa_float_denorm_mode_32 3
		.amdhsa_float_denorm_mode_16_64 3
		.amdhsa_dx10_clamp 1
		.amdhsa_ieee_mode 1
		.amdhsa_fp16_overflow 0
		.amdhsa_tg_split 0
		.amdhsa_exception_fp_ieee_invalid_op 0
		.amdhsa_exception_fp_denorm_src 0
		.amdhsa_exception_fp_ieee_div_zero 0
		.amdhsa_exception_fp_ieee_overflow 0
		.amdhsa_exception_fp_ieee_underflow 0
		.amdhsa_exception_fp_ieee_inexact 0
		.amdhsa_exception_int_div_zero 0
	.end_amdhsa_kernel
	.section	.text._ZN7rocprim17ROCPRIM_400000_NS6detail17trampoline_kernelINS0_14default_configENS1_22reduce_config_selectorIN6thrust23THRUST_200600_302600_NS5tupleIblNS6_9null_typeES8_S8_S8_S8_S8_S8_S8_EEEEZNS1_11reduce_implILb1ES3_NS6_12zip_iteratorINS7_INS6_11hip_rocprim26transform_input_iterator_tIbNSD_35transform_pair_of_input_iterators_tIbNS6_6detail15normal_iteratorINS6_10device_ptrIKiEEEESL_NS6_8equal_toIiEEEENSG_9not_fun_tINSD_8identityEEEEENSD_19counting_iterator_tIlEES8_S8_S8_S8_S8_S8_S8_S8_EEEEPS9_S9_NSD_9__find_if7functorIS9_EEEE10hipError_tPvRmT1_T2_T3_mT4_P12ihipStream_tbEUlT_E0_NS1_11comp_targetILNS1_3genE9ELNS1_11target_archE1100ELNS1_3gpuE3ELNS1_3repE0EEENS1_30default_config_static_selectorELNS0_4arch9wavefront6targetE1EEEvS14_,"axG",@progbits,_ZN7rocprim17ROCPRIM_400000_NS6detail17trampoline_kernelINS0_14default_configENS1_22reduce_config_selectorIN6thrust23THRUST_200600_302600_NS5tupleIblNS6_9null_typeES8_S8_S8_S8_S8_S8_S8_EEEEZNS1_11reduce_implILb1ES3_NS6_12zip_iteratorINS7_INS6_11hip_rocprim26transform_input_iterator_tIbNSD_35transform_pair_of_input_iterators_tIbNS6_6detail15normal_iteratorINS6_10device_ptrIKiEEEESL_NS6_8equal_toIiEEEENSG_9not_fun_tINSD_8identityEEEEENSD_19counting_iterator_tIlEES8_S8_S8_S8_S8_S8_S8_S8_EEEEPS9_S9_NSD_9__find_if7functorIS9_EEEE10hipError_tPvRmT1_T2_T3_mT4_P12ihipStream_tbEUlT_E0_NS1_11comp_targetILNS1_3genE9ELNS1_11target_archE1100ELNS1_3gpuE3ELNS1_3repE0EEENS1_30default_config_static_selectorELNS0_4arch9wavefront6targetE1EEEvS14_,comdat
.Lfunc_end268:
	.size	_ZN7rocprim17ROCPRIM_400000_NS6detail17trampoline_kernelINS0_14default_configENS1_22reduce_config_selectorIN6thrust23THRUST_200600_302600_NS5tupleIblNS6_9null_typeES8_S8_S8_S8_S8_S8_S8_EEEEZNS1_11reduce_implILb1ES3_NS6_12zip_iteratorINS7_INS6_11hip_rocprim26transform_input_iterator_tIbNSD_35transform_pair_of_input_iterators_tIbNS6_6detail15normal_iteratorINS6_10device_ptrIKiEEEESL_NS6_8equal_toIiEEEENSG_9not_fun_tINSD_8identityEEEEENSD_19counting_iterator_tIlEES8_S8_S8_S8_S8_S8_S8_S8_EEEEPS9_S9_NSD_9__find_if7functorIS9_EEEE10hipError_tPvRmT1_T2_T3_mT4_P12ihipStream_tbEUlT_E0_NS1_11comp_targetILNS1_3genE9ELNS1_11target_archE1100ELNS1_3gpuE3ELNS1_3repE0EEENS1_30default_config_static_selectorELNS0_4arch9wavefront6targetE1EEEvS14_, .Lfunc_end268-_ZN7rocprim17ROCPRIM_400000_NS6detail17trampoline_kernelINS0_14default_configENS1_22reduce_config_selectorIN6thrust23THRUST_200600_302600_NS5tupleIblNS6_9null_typeES8_S8_S8_S8_S8_S8_S8_EEEEZNS1_11reduce_implILb1ES3_NS6_12zip_iteratorINS7_INS6_11hip_rocprim26transform_input_iterator_tIbNSD_35transform_pair_of_input_iterators_tIbNS6_6detail15normal_iteratorINS6_10device_ptrIKiEEEESL_NS6_8equal_toIiEEEENSG_9not_fun_tINSD_8identityEEEEENSD_19counting_iterator_tIlEES8_S8_S8_S8_S8_S8_S8_S8_EEEEPS9_S9_NSD_9__find_if7functorIS9_EEEE10hipError_tPvRmT1_T2_T3_mT4_P12ihipStream_tbEUlT_E0_NS1_11comp_targetILNS1_3genE9ELNS1_11target_archE1100ELNS1_3gpuE3ELNS1_3repE0EEENS1_30default_config_static_selectorELNS0_4arch9wavefront6targetE1EEEvS14_
                                        ; -- End function
	.section	.AMDGPU.csdata,"",@progbits
; Kernel info:
; codeLenInByte = 0
; NumSgprs: 4
; NumVgprs: 0
; NumAgprs: 0
; TotalNumVgprs: 0
; ScratchSize: 0
; MemoryBound: 0
; FloatMode: 240
; IeeeMode: 1
; LDSByteSize: 0 bytes/workgroup (compile time only)
; SGPRBlocks: 0
; VGPRBlocks: 0
; NumSGPRsForWavesPerEU: 4
; NumVGPRsForWavesPerEU: 1
; AccumOffset: 4
; Occupancy: 8
; WaveLimiterHint : 0
; COMPUTE_PGM_RSRC2:SCRATCH_EN: 0
; COMPUTE_PGM_RSRC2:USER_SGPR: 6
; COMPUTE_PGM_RSRC2:TRAP_HANDLER: 0
; COMPUTE_PGM_RSRC2:TGID_X_EN: 1
; COMPUTE_PGM_RSRC2:TGID_Y_EN: 0
; COMPUTE_PGM_RSRC2:TGID_Z_EN: 0
; COMPUTE_PGM_RSRC2:TIDIG_COMP_CNT: 0
; COMPUTE_PGM_RSRC3_GFX90A:ACCUM_OFFSET: 0
; COMPUTE_PGM_RSRC3_GFX90A:TG_SPLIT: 0
	.section	.text._ZN7rocprim17ROCPRIM_400000_NS6detail17trampoline_kernelINS0_14default_configENS1_22reduce_config_selectorIN6thrust23THRUST_200600_302600_NS5tupleIblNS6_9null_typeES8_S8_S8_S8_S8_S8_S8_EEEEZNS1_11reduce_implILb1ES3_NS6_12zip_iteratorINS7_INS6_11hip_rocprim26transform_input_iterator_tIbNSD_35transform_pair_of_input_iterators_tIbNS6_6detail15normal_iteratorINS6_10device_ptrIKiEEEESL_NS6_8equal_toIiEEEENSG_9not_fun_tINSD_8identityEEEEENSD_19counting_iterator_tIlEES8_S8_S8_S8_S8_S8_S8_S8_EEEEPS9_S9_NSD_9__find_if7functorIS9_EEEE10hipError_tPvRmT1_T2_T3_mT4_P12ihipStream_tbEUlT_E0_NS1_11comp_targetILNS1_3genE8ELNS1_11target_archE1030ELNS1_3gpuE2ELNS1_3repE0EEENS1_30default_config_static_selectorELNS0_4arch9wavefront6targetE1EEEvS14_,"axG",@progbits,_ZN7rocprim17ROCPRIM_400000_NS6detail17trampoline_kernelINS0_14default_configENS1_22reduce_config_selectorIN6thrust23THRUST_200600_302600_NS5tupleIblNS6_9null_typeES8_S8_S8_S8_S8_S8_S8_EEEEZNS1_11reduce_implILb1ES3_NS6_12zip_iteratorINS7_INS6_11hip_rocprim26transform_input_iterator_tIbNSD_35transform_pair_of_input_iterators_tIbNS6_6detail15normal_iteratorINS6_10device_ptrIKiEEEESL_NS6_8equal_toIiEEEENSG_9not_fun_tINSD_8identityEEEEENSD_19counting_iterator_tIlEES8_S8_S8_S8_S8_S8_S8_S8_EEEEPS9_S9_NSD_9__find_if7functorIS9_EEEE10hipError_tPvRmT1_T2_T3_mT4_P12ihipStream_tbEUlT_E0_NS1_11comp_targetILNS1_3genE8ELNS1_11target_archE1030ELNS1_3gpuE2ELNS1_3repE0EEENS1_30default_config_static_selectorELNS0_4arch9wavefront6targetE1EEEvS14_,comdat
	.protected	_ZN7rocprim17ROCPRIM_400000_NS6detail17trampoline_kernelINS0_14default_configENS1_22reduce_config_selectorIN6thrust23THRUST_200600_302600_NS5tupleIblNS6_9null_typeES8_S8_S8_S8_S8_S8_S8_EEEEZNS1_11reduce_implILb1ES3_NS6_12zip_iteratorINS7_INS6_11hip_rocprim26transform_input_iterator_tIbNSD_35transform_pair_of_input_iterators_tIbNS6_6detail15normal_iteratorINS6_10device_ptrIKiEEEESL_NS6_8equal_toIiEEEENSG_9not_fun_tINSD_8identityEEEEENSD_19counting_iterator_tIlEES8_S8_S8_S8_S8_S8_S8_S8_EEEEPS9_S9_NSD_9__find_if7functorIS9_EEEE10hipError_tPvRmT1_T2_T3_mT4_P12ihipStream_tbEUlT_E0_NS1_11comp_targetILNS1_3genE8ELNS1_11target_archE1030ELNS1_3gpuE2ELNS1_3repE0EEENS1_30default_config_static_selectorELNS0_4arch9wavefront6targetE1EEEvS14_ ; -- Begin function _ZN7rocprim17ROCPRIM_400000_NS6detail17trampoline_kernelINS0_14default_configENS1_22reduce_config_selectorIN6thrust23THRUST_200600_302600_NS5tupleIblNS6_9null_typeES8_S8_S8_S8_S8_S8_S8_EEEEZNS1_11reduce_implILb1ES3_NS6_12zip_iteratorINS7_INS6_11hip_rocprim26transform_input_iterator_tIbNSD_35transform_pair_of_input_iterators_tIbNS6_6detail15normal_iteratorINS6_10device_ptrIKiEEEESL_NS6_8equal_toIiEEEENSG_9not_fun_tINSD_8identityEEEEENSD_19counting_iterator_tIlEES8_S8_S8_S8_S8_S8_S8_S8_EEEEPS9_S9_NSD_9__find_if7functorIS9_EEEE10hipError_tPvRmT1_T2_T3_mT4_P12ihipStream_tbEUlT_E0_NS1_11comp_targetILNS1_3genE8ELNS1_11target_archE1030ELNS1_3gpuE2ELNS1_3repE0EEENS1_30default_config_static_selectorELNS0_4arch9wavefront6targetE1EEEvS14_
	.globl	_ZN7rocprim17ROCPRIM_400000_NS6detail17trampoline_kernelINS0_14default_configENS1_22reduce_config_selectorIN6thrust23THRUST_200600_302600_NS5tupleIblNS6_9null_typeES8_S8_S8_S8_S8_S8_S8_EEEEZNS1_11reduce_implILb1ES3_NS6_12zip_iteratorINS7_INS6_11hip_rocprim26transform_input_iterator_tIbNSD_35transform_pair_of_input_iterators_tIbNS6_6detail15normal_iteratorINS6_10device_ptrIKiEEEESL_NS6_8equal_toIiEEEENSG_9not_fun_tINSD_8identityEEEEENSD_19counting_iterator_tIlEES8_S8_S8_S8_S8_S8_S8_S8_EEEEPS9_S9_NSD_9__find_if7functorIS9_EEEE10hipError_tPvRmT1_T2_T3_mT4_P12ihipStream_tbEUlT_E0_NS1_11comp_targetILNS1_3genE8ELNS1_11target_archE1030ELNS1_3gpuE2ELNS1_3repE0EEENS1_30default_config_static_selectorELNS0_4arch9wavefront6targetE1EEEvS14_
	.p2align	8
	.type	_ZN7rocprim17ROCPRIM_400000_NS6detail17trampoline_kernelINS0_14default_configENS1_22reduce_config_selectorIN6thrust23THRUST_200600_302600_NS5tupleIblNS6_9null_typeES8_S8_S8_S8_S8_S8_S8_EEEEZNS1_11reduce_implILb1ES3_NS6_12zip_iteratorINS7_INS6_11hip_rocprim26transform_input_iterator_tIbNSD_35transform_pair_of_input_iterators_tIbNS6_6detail15normal_iteratorINS6_10device_ptrIKiEEEESL_NS6_8equal_toIiEEEENSG_9not_fun_tINSD_8identityEEEEENSD_19counting_iterator_tIlEES8_S8_S8_S8_S8_S8_S8_S8_EEEEPS9_S9_NSD_9__find_if7functorIS9_EEEE10hipError_tPvRmT1_T2_T3_mT4_P12ihipStream_tbEUlT_E0_NS1_11comp_targetILNS1_3genE8ELNS1_11target_archE1030ELNS1_3gpuE2ELNS1_3repE0EEENS1_30default_config_static_selectorELNS0_4arch9wavefront6targetE1EEEvS14_,@function
_ZN7rocprim17ROCPRIM_400000_NS6detail17trampoline_kernelINS0_14default_configENS1_22reduce_config_selectorIN6thrust23THRUST_200600_302600_NS5tupleIblNS6_9null_typeES8_S8_S8_S8_S8_S8_S8_EEEEZNS1_11reduce_implILb1ES3_NS6_12zip_iteratorINS7_INS6_11hip_rocprim26transform_input_iterator_tIbNSD_35transform_pair_of_input_iterators_tIbNS6_6detail15normal_iteratorINS6_10device_ptrIKiEEEESL_NS6_8equal_toIiEEEENSG_9not_fun_tINSD_8identityEEEEENSD_19counting_iterator_tIlEES8_S8_S8_S8_S8_S8_S8_S8_EEEEPS9_S9_NSD_9__find_if7functorIS9_EEEE10hipError_tPvRmT1_T2_T3_mT4_P12ihipStream_tbEUlT_E0_NS1_11comp_targetILNS1_3genE8ELNS1_11target_archE1030ELNS1_3gpuE2ELNS1_3repE0EEENS1_30default_config_static_selectorELNS0_4arch9wavefront6targetE1EEEvS14_: ; @_ZN7rocprim17ROCPRIM_400000_NS6detail17trampoline_kernelINS0_14default_configENS1_22reduce_config_selectorIN6thrust23THRUST_200600_302600_NS5tupleIblNS6_9null_typeES8_S8_S8_S8_S8_S8_S8_EEEEZNS1_11reduce_implILb1ES3_NS6_12zip_iteratorINS7_INS6_11hip_rocprim26transform_input_iterator_tIbNSD_35transform_pair_of_input_iterators_tIbNS6_6detail15normal_iteratorINS6_10device_ptrIKiEEEESL_NS6_8equal_toIiEEEENSG_9not_fun_tINSD_8identityEEEEENSD_19counting_iterator_tIlEES8_S8_S8_S8_S8_S8_S8_S8_EEEEPS9_S9_NSD_9__find_if7functorIS9_EEEE10hipError_tPvRmT1_T2_T3_mT4_P12ihipStream_tbEUlT_E0_NS1_11comp_targetILNS1_3genE8ELNS1_11target_archE1030ELNS1_3gpuE2ELNS1_3repE0EEENS1_30default_config_static_selectorELNS0_4arch9wavefront6targetE1EEEvS14_
; %bb.0:
	.section	.rodata,"a",@progbits
	.p2align	6, 0x0
	.amdhsa_kernel _ZN7rocprim17ROCPRIM_400000_NS6detail17trampoline_kernelINS0_14default_configENS1_22reduce_config_selectorIN6thrust23THRUST_200600_302600_NS5tupleIblNS6_9null_typeES8_S8_S8_S8_S8_S8_S8_EEEEZNS1_11reduce_implILb1ES3_NS6_12zip_iteratorINS7_INS6_11hip_rocprim26transform_input_iterator_tIbNSD_35transform_pair_of_input_iterators_tIbNS6_6detail15normal_iteratorINS6_10device_ptrIKiEEEESL_NS6_8equal_toIiEEEENSG_9not_fun_tINSD_8identityEEEEENSD_19counting_iterator_tIlEES8_S8_S8_S8_S8_S8_S8_S8_EEEEPS9_S9_NSD_9__find_if7functorIS9_EEEE10hipError_tPvRmT1_T2_T3_mT4_P12ihipStream_tbEUlT_E0_NS1_11comp_targetILNS1_3genE8ELNS1_11target_archE1030ELNS1_3gpuE2ELNS1_3repE0EEENS1_30default_config_static_selectorELNS0_4arch9wavefront6targetE1EEEvS14_
		.amdhsa_group_segment_fixed_size 0
		.amdhsa_private_segment_fixed_size 0
		.amdhsa_kernarg_size 104
		.amdhsa_user_sgpr_count 6
		.amdhsa_user_sgpr_private_segment_buffer 1
		.amdhsa_user_sgpr_dispatch_ptr 0
		.amdhsa_user_sgpr_queue_ptr 0
		.amdhsa_user_sgpr_kernarg_segment_ptr 1
		.amdhsa_user_sgpr_dispatch_id 0
		.amdhsa_user_sgpr_flat_scratch_init 0
		.amdhsa_user_sgpr_kernarg_preload_length 0
		.amdhsa_user_sgpr_kernarg_preload_offset 0
		.amdhsa_user_sgpr_private_segment_size 0
		.amdhsa_uses_dynamic_stack 0
		.amdhsa_system_sgpr_private_segment_wavefront_offset 0
		.amdhsa_system_sgpr_workgroup_id_x 1
		.amdhsa_system_sgpr_workgroup_id_y 0
		.amdhsa_system_sgpr_workgroup_id_z 0
		.amdhsa_system_sgpr_workgroup_info 0
		.amdhsa_system_vgpr_workitem_id 0
		.amdhsa_next_free_vgpr 1
		.amdhsa_next_free_sgpr 0
		.amdhsa_accum_offset 4
		.amdhsa_reserve_vcc 0
		.amdhsa_reserve_flat_scratch 0
		.amdhsa_float_round_mode_32 0
		.amdhsa_float_round_mode_16_64 0
		.amdhsa_float_denorm_mode_32 3
		.amdhsa_float_denorm_mode_16_64 3
		.amdhsa_dx10_clamp 1
		.amdhsa_ieee_mode 1
		.amdhsa_fp16_overflow 0
		.amdhsa_tg_split 0
		.amdhsa_exception_fp_ieee_invalid_op 0
		.amdhsa_exception_fp_denorm_src 0
		.amdhsa_exception_fp_ieee_div_zero 0
		.amdhsa_exception_fp_ieee_overflow 0
		.amdhsa_exception_fp_ieee_underflow 0
		.amdhsa_exception_fp_ieee_inexact 0
		.amdhsa_exception_int_div_zero 0
	.end_amdhsa_kernel
	.section	.text._ZN7rocprim17ROCPRIM_400000_NS6detail17trampoline_kernelINS0_14default_configENS1_22reduce_config_selectorIN6thrust23THRUST_200600_302600_NS5tupleIblNS6_9null_typeES8_S8_S8_S8_S8_S8_S8_EEEEZNS1_11reduce_implILb1ES3_NS6_12zip_iteratorINS7_INS6_11hip_rocprim26transform_input_iterator_tIbNSD_35transform_pair_of_input_iterators_tIbNS6_6detail15normal_iteratorINS6_10device_ptrIKiEEEESL_NS6_8equal_toIiEEEENSG_9not_fun_tINSD_8identityEEEEENSD_19counting_iterator_tIlEES8_S8_S8_S8_S8_S8_S8_S8_EEEEPS9_S9_NSD_9__find_if7functorIS9_EEEE10hipError_tPvRmT1_T2_T3_mT4_P12ihipStream_tbEUlT_E0_NS1_11comp_targetILNS1_3genE8ELNS1_11target_archE1030ELNS1_3gpuE2ELNS1_3repE0EEENS1_30default_config_static_selectorELNS0_4arch9wavefront6targetE1EEEvS14_,"axG",@progbits,_ZN7rocprim17ROCPRIM_400000_NS6detail17trampoline_kernelINS0_14default_configENS1_22reduce_config_selectorIN6thrust23THRUST_200600_302600_NS5tupleIblNS6_9null_typeES8_S8_S8_S8_S8_S8_S8_EEEEZNS1_11reduce_implILb1ES3_NS6_12zip_iteratorINS7_INS6_11hip_rocprim26transform_input_iterator_tIbNSD_35transform_pair_of_input_iterators_tIbNS6_6detail15normal_iteratorINS6_10device_ptrIKiEEEESL_NS6_8equal_toIiEEEENSG_9not_fun_tINSD_8identityEEEEENSD_19counting_iterator_tIlEES8_S8_S8_S8_S8_S8_S8_S8_EEEEPS9_S9_NSD_9__find_if7functorIS9_EEEE10hipError_tPvRmT1_T2_T3_mT4_P12ihipStream_tbEUlT_E0_NS1_11comp_targetILNS1_3genE8ELNS1_11target_archE1030ELNS1_3gpuE2ELNS1_3repE0EEENS1_30default_config_static_selectorELNS0_4arch9wavefront6targetE1EEEvS14_,comdat
.Lfunc_end269:
	.size	_ZN7rocprim17ROCPRIM_400000_NS6detail17trampoline_kernelINS0_14default_configENS1_22reduce_config_selectorIN6thrust23THRUST_200600_302600_NS5tupleIblNS6_9null_typeES8_S8_S8_S8_S8_S8_S8_EEEEZNS1_11reduce_implILb1ES3_NS6_12zip_iteratorINS7_INS6_11hip_rocprim26transform_input_iterator_tIbNSD_35transform_pair_of_input_iterators_tIbNS6_6detail15normal_iteratorINS6_10device_ptrIKiEEEESL_NS6_8equal_toIiEEEENSG_9not_fun_tINSD_8identityEEEEENSD_19counting_iterator_tIlEES8_S8_S8_S8_S8_S8_S8_S8_EEEEPS9_S9_NSD_9__find_if7functorIS9_EEEE10hipError_tPvRmT1_T2_T3_mT4_P12ihipStream_tbEUlT_E0_NS1_11comp_targetILNS1_3genE8ELNS1_11target_archE1030ELNS1_3gpuE2ELNS1_3repE0EEENS1_30default_config_static_selectorELNS0_4arch9wavefront6targetE1EEEvS14_, .Lfunc_end269-_ZN7rocprim17ROCPRIM_400000_NS6detail17trampoline_kernelINS0_14default_configENS1_22reduce_config_selectorIN6thrust23THRUST_200600_302600_NS5tupleIblNS6_9null_typeES8_S8_S8_S8_S8_S8_S8_EEEEZNS1_11reduce_implILb1ES3_NS6_12zip_iteratorINS7_INS6_11hip_rocprim26transform_input_iterator_tIbNSD_35transform_pair_of_input_iterators_tIbNS6_6detail15normal_iteratorINS6_10device_ptrIKiEEEESL_NS6_8equal_toIiEEEENSG_9not_fun_tINSD_8identityEEEEENSD_19counting_iterator_tIlEES8_S8_S8_S8_S8_S8_S8_S8_EEEEPS9_S9_NSD_9__find_if7functorIS9_EEEE10hipError_tPvRmT1_T2_T3_mT4_P12ihipStream_tbEUlT_E0_NS1_11comp_targetILNS1_3genE8ELNS1_11target_archE1030ELNS1_3gpuE2ELNS1_3repE0EEENS1_30default_config_static_selectorELNS0_4arch9wavefront6targetE1EEEvS14_
                                        ; -- End function
	.section	.AMDGPU.csdata,"",@progbits
; Kernel info:
; codeLenInByte = 0
; NumSgprs: 4
; NumVgprs: 0
; NumAgprs: 0
; TotalNumVgprs: 0
; ScratchSize: 0
; MemoryBound: 0
; FloatMode: 240
; IeeeMode: 1
; LDSByteSize: 0 bytes/workgroup (compile time only)
; SGPRBlocks: 0
; VGPRBlocks: 0
; NumSGPRsForWavesPerEU: 4
; NumVGPRsForWavesPerEU: 1
; AccumOffset: 4
; Occupancy: 8
; WaveLimiterHint : 0
; COMPUTE_PGM_RSRC2:SCRATCH_EN: 0
; COMPUTE_PGM_RSRC2:USER_SGPR: 6
; COMPUTE_PGM_RSRC2:TRAP_HANDLER: 0
; COMPUTE_PGM_RSRC2:TGID_X_EN: 1
; COMPUTE_PGM_RSRC2:TGID_Y_EN: 0
; COMPUTE_PGM_RSRC2:TGID_Z_EN: 0
; COMPUTE_PGM_RSRC2:TIDIG_COMP_CNT: 0
; COMPUTE_PGM_RSRC3_GFX90A:ACCUM_OFFSET: 0
; COMPUTE_PGM_RSRC3_GFX90A:TG_SPLIT: 0
	.section	.text._ZN7rocprim17ROCPRIM_400000_NS6detail17trampoline_kernelINS0_14default_configENS1_22reduce_config_selectorIN6thrust23THRUST_200600_302600_NS5tupleIblNS6_9null_typeES8_S8_S8_S8_S8_S8_S8_EEEEZNS1_11reduce_implILb1ES3_NS6_12zip_iteratorINS7_INS6_11hip_rocprim26transform_input_iterator_tIbNSD_35transform_pair_of_input_iterators_tIbNS6_6detail15normal_iteratorINS6_10device_ptrIKiEEEESL_NS6_8equal_toIiEEEENSG_9not_fun_tINSD_8identityEEEEENSD_19counting_iterator_tIlEES8_S8_S8_S8_S8_S8_S8_S8_EEEEPS9_S9_NSD_9__find_if7functorIS9_EEEE10hipError_tPvRmT1_T2_T3_mT4_P12ihipStream_tbEUlT_E1_NS1_11comp_targetILNS1_3genE0ELNS1_11target_archE4294967295ELNS1_3gpuE0ELNS1_3repE0EEENS1_30default_config_static_selectorELNS0_4arch9wavefront6targetE1EEEvS14_,"axG",@progbits,_ZN7rocprim17ROCPRIM_400000_NS6detail17trampoline_kernelINS0_14default_configENS1_22reduce_config_selectorIN6thrust23THRUST_200600_302600_NS5tupleIblNS6_9null_typeES8_S8_S8_S8_S8_S8_S8_EEEEZNS1_11reduce_implILb1ES3_NS6_12zip_iteratorINS7_INS6_11hip_rocprim26transform_input_iterator_tIbNSD_35transform_pair_of_input_iterators_tIbNS6_6detail15normal_iteratorINS6_10device_ptrIKiEEEESL_NS6_8equal_toIiEEEENSG_9not_fun_tINSD_8identityEEEEENSD_19counting_iterator_tIlEES8_S8_S8_S8_S8_S8_S8_S8_EEEEPS9_S9_NSD_9__find_if7functorIS9_EEEE10hipError_tPvRmT1_T2_T3_mT4_P12ihipStream_tbEUlT_E1_NS1_11comp_targetILNS1_3genE0ELNS1_11target_archE4294967295ELNS1_3gpuE0ELNS1_3repE0EEENS1_30default_config_static_selectorELNS0_4arch9wavefront6targetE1EEEvS14_,comdat
	.protected	_ZN7rocprim17ROCPRIM_400000_NS6detail17trampoline_kernelINS0_14default_configENS1_22reduce_config_selectorIN6thrust23THRUST_200600_302600_NS5tupleIblNS6_9null_typeES8_S8_S8_S8_S8_S8_S8_EEEEZNS1_11reduce_implILb1ES3_NS6_12zip_iteratorINS7_INS6_11hip_rocprim26transform_input_iterator_tIbNSD_35transform_pair_of_input_iterators_tIbNS6_6detail15normal_iteratorINS6_10device_ptrIKiEEEESL_NS6_8equal_toIiEEEENSG_9not_fun_tINSD_8identityEEEEENSD_19counting_iterator_tIlEES8_S8_S8_S8_S8_S8_S8_S8_EEEEPS9_S9_NSD_9__find_if7functorIS9_EEEE10hipError_tPvRmT1_T2_T3_mT4_P12ihipStream_tbEUlT_E1_NS1_11comp_targetILNS1_3genE0ELNS1_11target_archE4294967295ELNS1_3gpuE0ELNS1_3repE0EEENS1_30default_config_static_selectorELNS0_4arch9wavefront6targetE1EEEvS14_ ; -- Begin function _ZN7rocprim17ROCPRIM_400000_NS6detail17trampoline_kernelINS0_14default_configENS1_22reduce_config_selectorIN6thrust23THRUST_200600_302600_NS5tupleIblNS6_9null_typeES8_S8_S8_S8_S8_S8_S8_EEEEZNS1_11reduce_implILb1ES3_NS6_12zip_iteratorINS7_INS6_11hip_rocprim26transform_input_iterator_tIbNSD_35transform_pair_of_input_iterators_tIbNS6_6detail15normal_iteratorINS6_10device_ptrIKiEEEESL_NS6_8equal_toIiEEEENSG_9not_fun_tINSD_8identityEEEEENSD_19counting_iterator_tIlEES8_S8_S8_S8_S8_S8_S8_S8_EEEEPS9_S9_NSD_9__find_if7functorIS9_EEEE10hipError_tPvRmT1_T2_T3_mT4_P12ihipStream_tbEUlT_E1_NS1_11comp_targetILNS1_3genE0ELNS1_11target_archE4294967295ELNS1_3gpuE0ELNS1_3repE0EEENS1_30default_config_static_selectorELNS0_4arch9wavefront6targetE1EEEvS14_
	.globl	_ZN7rocprim17ROCPRIM_400000_NS6detail17trampoline_kernelINS0_14default_configENS1_22reduce_config_selectorIN6thrust23THRUST_200600_302600_NS5tupleIblNS6_9null_typeES8_S8_S8_S8_S8_S8_S8_EEEEZNS1_11reduce_implILb1ES3_NS6_12zip_iteratorINS7_INS6_11hip_rocprim26transform_input_iterator_tIbNSD_35transform_pair_of_input_iterators_tIbNS6_6detail15normal_iteratorINS6_10device_ptrIKiEEEESL_NS6_8equal_toIiEEEENSG_9not_fun_tINSD_8identityEEEEENSD_19counting_iterator_tIlEES8_S8_S8_S8_S8_S8_S8_S8_EEEEPS9_S9_NSD_9__find_if7functorIS9_EEEE10hipError_tPvRmT1_T2_T3_mT4_P12ihipStream_tbEUlT_E1_NS1_11comp_targetILNS1_3genE0ELNS1_11target_archE4294967295ELNS1_3gpuE0ELNS1_3repE0EEENS1_30default_config_static_selectorELNS0_4arch9wavefront6targetE1EEEvS14_
	.p2align	8
	.type	_ZN7rocprim17ROCPRIM_400000_NS6detail17trampoline_kernelINS0_14default_configENS1_22reduce_config_selectorIN6thrust23THRUST_200600_302600_NS5tupleIblNS6_9null_typeES8_S8_S8_S8_S8_S8_S8_EEEEZNS1_11reduce_implILb1ES3_NS6_12zip_iteratorINS7_INS6_11hip_rocprim26transform_input_iterator_tIbNSD_35transform_pair_of_input_iterators_tIbNS6_6detail15normal_iteratorINS6_10device_ptrIKiEEEESL_NS6_8equal_toIiEEEENSG_9not_fun_tINSD_8identityEEEEENSD_19counting_iterator_tIlEES8_S8_S8_S8_S8_S8_S8_S8_EEEEPS9_S9_NSD_9__find_if7functorIS9_EEEE10hipError_tPvRmT1_T2_T3_mT4_P12ihipStream_tbEUlT_E1_NS1_11comp_targetILNS1_3genE0ELNS1_11target_archE4294967295ELNS1_3gpuE0ELNS1_3repE0EEENS1_30default_config_static_selectorELNS0_4arch9wavefront6targetE1EEEvS14_,@function
_ZN7rocprim17ROCPRIM_400000_NS6detail17trampoline_kernelINS0_14default_configENS1_22reduce_config_selectorIN6thrust23THRUST_200600_302600_NS5tupleIblNS6_9null_typeES8_S8_S8_S8_S8_S8_S8_EEEEZNS1_11reduce_implILb1ES3_NS6_12zip_iteratorINS7_INS6_11hip_rocprim26transform_input_iterator_tIbNSD_35transform_pair_of_input_iterators_tIbNS6_6detail15normal_iteratorINS6_10device_ptrIKiEEEESL_NS6_8equal_toIiEEEENSG_9not_fun_tINSD_8identityEEEEENSD_19counting_iterator_tIlEES8_S8_S8_S8_S8_S8_S8_S8_EEEEPS9_S9_NSD_9__find_if7functorIS9_EEEE10hipError_tPvRmT1_T2_T3_mT4_P12ihipStream_tbEUlT_E1_NS1_11comp_targetILNS1_3genE0ELNS1_11target_archE4294967295ELNS1_3gpuE0ELNS1_3repE0EEENS1_30default_config_static_selectorELNS0_4arch9wavefront6targetE1EEEvS14_: ; @_ZN7rocprim17ROCPRIM_400000_NS6detail17trampoline_kernelINS0_14default_configENS1_22reduce_config_selectorIN6thrust23THRUST_200600_302600_NS5tupleIblNS6_9null_typeES8_S8_S8_S8_S8_S8_S8_EEEEZNS1_11reduce_implILb1ES3_NS6_12zip_iteratorINS7_INS6_11hip_rocprim26transform_input_iterator_tIbNSD_35transform_pair_of_input_iterators_tIbNS6_6detail15normal_iteratorINS6_10device_ptrIKiEEEESL_NS6_8equal_toIiEEEENSG_9not_fun_tINSD_8identityEEEEENSD_19counting_iterator_tIlEES8_S8_S8_S8_S8_S8_S8_S8_EEEEPS9_S9_NSD_9__find_if7functorIS9_EEEE10hipError_tPvRmT1_T2_T3_mT4_P12ihipStream_tbEUlT_E1_NS1_11comp_targetILNS1_3genE0ELNS1_11target_archE4294967295ELNS1_3gpuE0ELNS1_3repE0EEENS1_30default_config_static_selectorELNS0_4arch9wavefront6targetE1EEEvS14_
; %bb.0:
	.section	.rodata,"a",@progbits
	.p2align	6, 0x0
	.amdhsa_kernel _ZN7rocprim17ROCPRIM_400000_NS6detail17trampoline_kernelINS0_14default_configENS1_22reduce_config_selectorIN6thrust23THRUST_200600_302600_NS5tupleIblNS6_9null_typeES8_S8_S8_S8_S8_S8_S8_EEEEZNS1_11reduce_implILb1ES3_NS6_12zip_iteratorINS7_INS6_11hip_rocprim26transform_input_iterator_tIbNSD_35transform_pair_of_input_iterators_tIbNS6_6detail15normal_iteratorINS6_10device_ptrIKiEEEESL_NS6_8equal_toIiEEEENSG_9not_fun_tINSD_8identityEEEEENSD_19counting_iterator_tIlEES8_S8_S8_S8_S8_S8_S8_S8_EEEEPS9_S9_NSD_9__find_if7functorIS9_EEEE10hipError_tPvRmT1_T2_T3_mT4_P12ihipStream_tbEUlT_E1_NS1_11comp_targetILNS1_3genE0ELNS1_11target_archE4294967295ELNS1_3gpuE0ELNS1_3repE0EEENS1_30default_config_static_selectorELNS0_4arch9wavefront6targetE1EEEvS14_
		.amdhsa_group_segment_fixed_size 0
		.amdhsa_private_segment_fixed_size 0
		.amdhsa_kernarg_size 88
		.amdhsa_user_sgpr_count 6
		.amdhsa_user_sgpr_private_segment_buffer 1
		.amdhsa_user_sgpr_dispatch_ptr 0
		.amdhsa_user_sgpr_queue_ptr 0
		.amdhsa_user_sgpr_kernarg_segment_ptr 1
		.amdhsa_user_sgpr_dispatch_id 0
		.amdhsa_user_sgpr_flat_scratch_init 0
		.amdhsa_user_sgpr_kernarg_preload_length 0
		.amdhsa_user_sgpr_kernarg_preload_offset 0
		.amdhsa_user_sgpr_private_segment_size 0
		.amdhsa_uses_dynamic_stack 0
		.amdhsa_system_sgpr_private_segment_wavefront_offset 0
		.amdhsa_system_sgpr_workgroup_id_x 1
		.amdhsa_system_sgpr_workgroup_id_y 0
		.amdhsa_system_sgpr_workgroup_id_z 0
		.amdhsa_system_sgpr_workgroup_info 0
		.amdhsa_system_vgpr_workitem_id 0
		.amdhsa_next_free_vgpr 1
		.amdhsa_next_free_sgpr 0
		.amdhsa_accum_offset 4
		.amdhsa_reserve_vcc 0
		.amdhsa_reserve_flat_scratch 0
		.amdhsa_float_round_mode_32 0
		.amdhsa_float_round_mode_16_64 0
		.amdhsa_float_denorm_mode_32 3
		.amdhsa_float_denorm_mode_16_64 3
		.amdhsa_dx10_clamp 1
		.amdhsa_ieee_mode 1
		.amdhsa_fp16_overflow 0
		.amdhsa_tg_split 0
		.amdhsa_exception_fp_ieee_invalid_op 0
		.amdhsa_exception_fp_denorm_src 0
		.amdhsa_exception_fp_ieee_div_zero 0
		.amdhsa_exception_fp_ieee_overflow 0
		.amdhsa_exception_fp_ieee_underflow 0
		.amdhsa_exception_fp_ieee_inexact 0
		.amdhsa_exception_int_div_zero 0
	.end_amdhsa_kernel
	.section	.text._ZN7rocprim17ROCPRIM_400000_NS6detail17trampoline_kernelINS0_14default_configENS1_22reduce_config_selectorIN6thrust23THRUST_200600_302600_NS5tupleIblNS6_9null_typeES8_S8_S8_S8_S8_S8_S8_EEEEZNS1_11reduce_implILb1ES3_NS6_12zip_iteratorINS7_INS6_11hip_rocprim26transform_input_iterator_tIbNSD_35transform_pair_of_input_iterators_tIbNS6_6detail15normal_iteratorINS6_10device_ptrIKiEEEESL_NS6_8equal_toIiEEEENSG_9not_fun_tINSD_8identityEEEEENSD_19counting_iterator_tIlEES8_S8_S8_S8_S8_S8_S8_S8_EEEEPS9_S9_NSD_9__find_if7functorIS9_EEEE10hipError_tPvRmT1_T2_T3_mT4_P12ihipStream_tbEUlT_E1_NS1_11comp_targetILNS1_3genE0ELNS1_11target_archE4294967295ELNS1_3gpuE0ELNS1_3repE0EEENS1_30default_config_static_selectorELNS0_4arch9wavefront6targetE1EEEvS14_,"axG",@progbits,_ZN7rocprim17ROCPRIM_400000_NS6detail17trampoline_kernelINS0_14default_configENS1_22reduce_config_selectorIN6thrust23THRUST_200600_302600_NS5tupleIblNS6_9null_typeES8_S8_S8_S8_S8_S8_S8_EEEEZNS1_11reduce_implILb1ES3_NS6_12zip_iteratorINS7_INS6_11hip_rocprim26transform_input_iterator_tIbNSD_35transform_pair_of_input_iterators_tIbNS6_6detail15normal_iteratorINS6_10device_ptrIKiEEEESL_NS6_8equal_toIiEEEENSG_9not_fun_tINSD_8identityEEEEENSD_19counting_iterator_tIlEES8_S8_S8_S8_S8_S8_S8_S8_EEEEPS9_S9_NSD_9__find_if7functorIS9_EEEE10hipError_tPvRmT1_T2_T3_mT4_P12ihipStream_tbEUlT_E1_NS1_11comp_targetILNS1_3genE0ELNS1_11target_archE4294967295ELNS1_3gpuE0ELNS1_3repE0EEENS1_30default_config_static_selectorELNS0_4arch9wavefront6targetE1EEEvS14_,comdat
.Lfunc_end270:
	.size	_ZN7rocprim17ROCPRIM_400000_NS6detail17trampoline_kernelINS0_14default_configENS1_22reduce_config_selectorIN6thrust23THRUST_200600_302600_NS5tupleIblNS6_9null_typeES8_S8_S8_S8_S8_S8_S8_EEEEZNS1_11reduce_implILb1ES3_NS6_12zip_iteratorINS7_INS6_11hip_rocprim26transform_input_iterator_tIbNSD_35transform_pair_of_input_iterators_tIbNS6_6detail15normal_iteratorINS6_10device_ptrIKiEEEESL_NS6_8equal_toIiEEEENSG_9not_fun_tINSD_8identityEEEEENSD_19counting_iterator_tIlEES8_S8_S8_S8_S8_S8_S8_S8_EEEEPS9_S9_NSD_9__find_if7functorIS9_EEEE10hipError_tPvRmT1_T2_T3_mT4_P12ihipStream_tbEUlT_E1_NS1_11comp_targetILNS1_3genE0ELNS1_11target_archE4294967295ELNS1_3gpuE0ELNS1_3repE0EEENS1_30default_config_static_selectorELNS0_4arch9wavefront6targetE1EEEvS14_, .Lfunc_end270-_ZN7rocprim17ROCPRIM_400000_NS6detail17trampoline_kernelINS0_14default_configENS1_22reduce_config_selectorIN6thrust23THRUST_200600_302600_NS5tupleIblNS6_9null_typeES8_S8_S8_S8_S8_S8_S8_EEEEZNS1_11reduce_implILb1ES3_NS6_12zip_iteratorINS7_INS6_11hip_rocprim26transform_input_iterator_tIbNSD_35transform_pair_of_input_iterators_tIbNS6_6detail15normal_iteratorINS6_10device_ptrIKiEEEESL_NS6_8equal_toIiEEEENSG_9not_fun_tINSD_8identityEEEEENSD_19counting_iterator_tIlEES8_S8_S8_S8_S8_S8_S8_S8_EEEEPS9_S9_NSD_9__find_if7functorIS9_EEEE10hipError_tPvRmT1_T2_T3_mT4_P12ihipStream_tbEUlT_E1_NS1_11comp_targetILNS1_3genE0ELNS1_11target_archE4294967295ELNS1_3gpuE0ELNS1_3repE0EEENS1_30default_config_static_selectorELNS0_4arch9wavefront6targetE1EEEvS14_
                                        ; -- End function
	.section	.AMDGPU.csdata,"",@progbits
; Kernel info:
; codeLenInByte = 0
; NumSgprs: 4
; NumVgprs: 0
; NumAgprs: 0
; TotalNumVgprs: 0
; ScratchSize: 0
; MemoryBound: 0
; FloatMode: 240
; IeeeMode: 1
; LDSByteSize: 0 bytes/workgroup (compile time only)
; SGPRBlocks: 0
; VGPRBlocks: 0
; NumSGPRsForWavesPerEU: 4
; NumVGPRsForWavesPerEU: 1
; AccumOffset: 4
; Occupancy: 8
; WaveLimiterHint : 0
; COMPUTE_PGM_RSRC2:SCRATCH_EN: 0
; COMPUTE_PGM_RSRC2:USER_SGPR: 6
; COMPUTE_PGM_RSRC2:TRAP_HANDLER: 0
; COMPUTE_PGM_RSRC2:TGID_X_EN: 1
; COMPUTE_PGM_RSRC2:TGID_Y_EN: 0
; COMPUTE_PGM_RSRC2:TGID_Z_EN: 0
; COMPUTE_PGM_RSRC2:TIDIG_COMP_CNT: 0
; COMPUTE_PGM_RSRC3_GFX90A:ACCUM_OFFSET: 0
; COMPUTE_PGM_RSRC3_GFX90A:TG_SPLIT: 0
	.section	.text._ZN7rocprim17ROCPRIM_400000_NS6detail17trampoline_kernelINS0_14default_configENS1_22reduce_config_selectorIN6thrust23THRUST_200600_302600_NS5tupleIblNS6_9null_typeES8_S8_S8_S8_S8_S8_S8_EEEEZNS1_11reduce_implILb1ES3_NS6_12zip_iteratorINS7_INS6_11hip_rocprim26transform_input_iterator_tIbNSD_35transform_pair_of_input_iterators_tIbNS6_6detail15normal_iteratorINS6_10device_ptrIKiEEEESL_NS6_8equal_toIiEEEENSG_9not_fun_tINSD_8identityEEEEENSD_19counting_iterator_tIlEES8_S8_S8_S8_S8_S8_S8_S8_EEEEPS9_S9_NSD_9__find_if7functorIS9_EEEE10hipError_tPvRmT1_T2_T3_mT4_P12ihipStream_tbEUlT_E1_NS1_11comp_targetILNS1_3genE5ELNS1_11target_archE942ELNS1_3gpuE9ELNS1_3repE0EEENS1_30default_config_static_selectorELNS0_4arch9wavefront6targetE1EEEvS14_,"axG",@progbits,_ZN7rocprim17ROCPRIM_400000_NS6detail17trampoline_kernelINS0_14default_configENS1_22reduce_config_selectorIN6thrust23THRUST_200600_302600_NS5tupleIblNS6_9null_typeES8_S8_S8_S8_S8_S8_S8_EEEEZNS1_11reduce_implILb1ES3_NS6_12zip_iteratorINS7_INS6_11hip_rocprim26transform_input_iterator_tIbNSD_35transform_pair_of_input_iterators_tIbNS6_6detail15normal_iteratorINS6_10device_ptrIKiEEEESL_NS6_8equal_toIiEEEENSG_9not_fun_tINSD_8identityEEEEENSD_19counting_iterator_tIlEES8_S8_S8_S8_S8_S8_S8_S8_EEEEPS9_S9_NSD_9__find_if7functorIS9_EEEE10hipError_tPvRmT1_T2_T3_mT4_P12ihipStream_tbEUlT_E1_NS1_11comp_targetILNS1_3genE5ELNS1_11target_archE942ELNS1_3gpuE9ELNS1_3repE0EEENS1_30default_config_static_selectorELNS0_4arch9wavefront6targetE1EEEvS14_,comdat
	.protected	_ZN7rocprim17ROCPRIM_400000_NS6detail17trampoline_kernelINS0_14default_configENS1_22reduce_config_selectorIN6thrust23THRUST_200600_302600_NS5tupleIblNS6_9null_typeES8_S8_S8_S8_S8_S8_S8_EEEEZNS1_11reduce_implILb1ES3_NS6_12zip_iteratorINS7_INS6_11hip_rocprim26transform_input_iterator_tIbNSD_35transform_pair_of_input_iterators_tIbNS6_6detail15normal_iteratorINS6_10device_ptrIKiEEEESL_NS6_8equal_toIiEEEENSG_9not_fun_tINSD_8identityEEEEENSD_19counting_iterator_tIlEES8_S8_S8_S8_S8_S8_S8_S8_EEEEPS9_S9_NSD_9__find_if7functorIS9_EEEE10hipError_tPvRmT1_T2_T3_mT4_P12ihipStream_tbEUlT_E1_NS1_11comp_targetILNS1_3genE5ELNS1_11target_archE942ELNS1_3gpuE9ELNS1_3repE0EEENS1_30default_config_static_selectorELNS0_4arch9wavefront6targetE1EEEvS14_ ; -- Begin function _ZN7rocprim17ROCPRIM_400000_NS6detail17trampoline_kernelINS0_14default_configENS1_22reduce_config_selectorIN6thrust23THRUST_200600_302600_NS5tupleIblNS6_9null_typeES8_S8_S8_S8_S8_S8_S8_EEEEZNS1_11reduce_implILb1ES3_NS6_12zip_iteratorINS7_INS6_11hip_rocprim26transform_input_iterator_tIbNSD_35transform_pair_of_input_iterators_tIbNS6_6detail15normal_iteratorINS6_10device_ptrIKiEEEESL_NS6_8equal_toIiEEEENSG_9not_fun_tINSD_8identityEEEEENSD_19counting_iterator_tIlEES8_S8_S8_S8_S8_S8_S8_S8_EEEEPS9_S9_NSD_9__find_if7functorIS9_EEEE10hipError_tPvRmT1_T2_T3_mT4_P12ihipStream_tbEUlT_E1_NS1_11comp_targetILNS1_3genE5ELNS1_11target_archE942ELNS1_3gpuE9ELNS1_3repE0EEENS1_30default_config_static_selectorELNS0_4arch9wavefront6targetE1EEEvS14_
	.globl	_ZN7rocprim17ROCPRIM_400000_NS6detail17trampoline_kernelINS0_14default_configENS1_22reduce_config_selectorIN6thrust23THRUST_200600_302600_NS5tupleIblNS6_9null_typeES8_S8_S8_S8_S8_S8_S8_EEEEZNS1_11reduce_implILb1ES3_NS6_12zip_iteratorINS7_INS6_11hip_rocprim26transform_input_iterator_tIbNSD_35transform_pair_of_input_iterators_tIbNS6_6detail15normal_iteratorINS6_10device_ptrIKiEEEESL_NS6_8equal_toIiEEEENSG_9not_fun_tINSD_8identityEEEEENSD_19counting_iterator_tIlEES8_S8_S8_S8_S8_S8_S8_S8_EEEEPS9_S9_NSD_9__find_if7functorIS9_EEEE10hipError_tPvRmT1_T2_T3_mT4_P12ihipStream_tbEUlT_E1_NS1_11comp_targetILNS1_3genE5ELNS1_11target_archE942ELNS1_3gpuE9ELNS1_3repE0EEENS1_30default_config_static_selectorELNS0_4arch9wavefront6targetE1EEEvS14_
	.p2align	8
	.type	_ZN7rocprim17ROCPRIM_400000_NS6detail17trampoline_kernelINS0_14default_configENS1_22reduce_config_selectorIN6thrust23THRUST_200600_302600_NS5tupleIblNS6_9null_typeES8_S8_S8_S8_S8_S8_S8_EEEEZNS1_11reduce_implILb1ES3_NS6_12zip_iteratorINS7_INS6_11hip_rocprim26transform_input_iterator_tIbNSD_35transform_pair_of_input_iterators_tIbNS6_6detail15normal_iteratorINS6_10device_ptrIKiEEEESL_NS6_8equal_toIiEEEENSG_9not_fun_tINSD_8identityEEEEENSD_19counting_iterator_tIlEES8_S8_S8_S8_S8_S8_S8_S8_EEEEPS9_S9_NSD_9__find_if7functorIS9_EEEE10hipError_tPvRmT1_T2_T3_mT4_P12ihipStream_tbEUlT_E1_NS1_11comp_targetILNS1_3genE5ELNS1_11target_archE942ELNS1_3gpuE9ELNS1_3repE0EEENS1_30default_config_static_selectorELNS0_4arch9wavefront6targetE1EEEvS14_,@function
_ZN7rocprim17ROCPRIM_400000_NS6detail17trampoline_kernelINS0_14default_configENS1_22reduce_config_selectorIN6thrust23THRUST_200600_302600_NS5tupleIblNS6_9null_typeES8_S8_S8_S8_S8_S8_S8_EEEEZNS1_11reduce_implILb1ES3_NS6_12zip_iteratorINS7_INS6_11hip_rocprim26transform_input_iterator_tIbNSD_35transform_pair_of_input_iterators_tIbNS6_6detail15normal_iteratorINS6_10device_ptrIKiEEEESL_NS6_8equal_toIiEEEENSG_9not_fun_tINSD_8identityEEEEENSD_19counting_iterator_tIlEES8_S8_S8_S8_S8_S8_S8_S8_EEEEPS9_S9_NSD_9__find_if7functorIS9_EEEE10hipError_tPvRmT1_T2_T3_mT4_P12ihipStream_tbEUlT_E1_NS1_11comp_targetILNS1_3genE5ELNS1_11target_archE942ELNS1_3gpuE9ELNS1_3repE0EEENS1_30default_config_static_selectorELNS0_4arch9wavefront6targetE1EEEvS14_: ; @_ZN7rocprim17ROCPRIM_400000_NS6detail17trampoline_kernelINS0_14default_configENS1_22reduce_config_selectorIN6thrust23THRUST_200600_302600_NS5tupleIblNS6_9null_typeES8_S8_S8_S8_S8_S8_S8_EEEEZNS1_11reduce_implILb1ES3_NS6_12zip_iteratorINS7_INS6_11hip_rocprim26transform_input_iterator_tIbNSD_35transform_pair_of_input_iterators_tIbNS6_6detail15normal_iteratorINS6_10device_ptrIKiEEEESL_NS6_8equal_toIiEEEENSG_9not_fun_tINSD_8identityEEEEENSD_19counting_iterator_tIlEES8_S8_S8_S8_S8_S8_S8_S8_EEEEPS9_S9_NSD_9__find_if7functorIS9_EEEE10hipError_tPvRmT1_T2_T3_mT4_P12ihipStream_tbEUlT_E1_NS1_11comp_targetILNS1_3genE5ELNS1_11target_archE942ELNS1_3gpuE9ELNS1_3repE0EEENS1_30default_config_static_selectorELNS0_4arch9wavefront6targetE1EEEvS14_
; %bb.0:
	.section	.rodata,"a",@progbits
	.p2align	6, 0x0
	.amdhsa_kernel _ZN7rocprim17ROCPRIM_400000_NS6detail17trampoline_kernelINS0_14default_configENS1_22reduce_config_selectorIN6thrust23THRUST_200600_302600_NS5tupleIblNS6_9null_typeES8_S8_S8_S8_S8_S8_S8_EEEEZNS1_11reduce_implILb1ES3_NS6_12zip_iteratorINS7_INS6_11hip_rocprim26transform_input_iterator_tIbNSD_35transform_pair_of_input_iterators_tIbNS6_6detail15normal_iteratorINS6_10device_ptrIKiEEEESL_NS6_8equal_toIiEEEENSG_9not_fun_tINSD_8identityEEEEENSD_19counting_iterator_tIlEES8_S8_S8_S8_S8_S8_S8_S8_EEEEPS9_S9_NSD_9__find_if7functorIS9_EEEE10hipError_tPvRmT1_T2_T3_mT4_P12ihipStream_tbEUlT_E1_NS1_11comp_targetILNS1_3genE5ELNS1_11target_archE942ELNS1_3gpuE9ELNS1_3repE0EEENS1_30default_config_static_selectorELNS0_4arch9wavefront6targetE1EEEvS14_
		.amdhsa_group_segment_fixed_size 0
		.amdhsa_private_segment_fixed_size 0
		.amdhsa_kernarg_size 88
		.amdhsa_user_sgpr_count 6
		.amdhsa_user_sgpr_private_segment_buffer 1
		.amdhsa_user_sgpr_dispatch_ptr 0
		.amdhsa_user_sgpr_queue_ptr 0
		.amdhsa_user_sgpr_kernarg_segment_ptr 1
		.amdhsa_user_sgpr_dispatch_id 0
		.amdhsa_user_sgpr_flat_scratch_init 0
		.amdhsa_user_sgpr_kernarg_preload_length 0
		.amdhsa_user_sgpr_kernarg_preload_offset 0
		.amdhsa_user_sgpr_private_segment_size 0
		.amdhsa_uses_dynamic_stack 0
		.amdhsa_system_sgpr_private_segment_wavefront_offset 0
		.amdhsa_system_sgpr_workgroup_id_x 1
		.amdhsa_system_sgpr_workgroup_id_y 0
		.amdhsa_system_sgpr_workgroup_id_z 0
		.amdhsa_system_sgpr_workgroup_info 0
		.amdhsa_system_vgpr_workitem_id 0
		.amdhsa_next_free_vgpr 1
		.amdhsa_next_free_sgpr 0
		.amdhsa_accum_offset 4
		.amdhsa_reserve_vcc 0
		.amdhsa_reserve_flat_scratch 0
		.amdhsa_float_round_mode_32 0
		.amdhsa_float_round_mode_16_64 0
		.amdhsa_float_denorm_mode_32 3
		.amdhsa_float_denorm_mode_16_64 3
		.amdhsa_dx10_clamp 1
		.amdhsa_ieee_mode 1
		.amdhsa_fp16_overflow 0
		.amdhsa_tg_split 0
		.amdhsa_exception_fp_ieee_invalid_op 0
		.amdhsa_exception_fp_denorm_src 0
		.amdhsa_exception_fp_ieee_div_zero 0
		.amdhsa_exception_fp_ieee_overflow 0
		.amdhsa_exception_fp_ieee_underflow 0
		.amdhsa_exception_fp_ieee_inexact 0
		.amdhsa_exception_int_div_zero 0
	.end_amdhsa_kernel
	.section	.text._ZN7rocprim17ROCPRIM_400000_NS6detail17trampoline_kernelINS0_14default_configENS1_22reduce_config_selectorIN6thrust23THRUST_200600_302600_NS5tupleIblNS6_9null_typeES8_S8_S8_S8_S8_S8_S8_EEEEZNS1_11reduce_implILb1ES3_NS6_12zip_iteratorINS7_INS6_11hip_rocprim26transform_input_iterator_tIbNSD_35transform_pair_of_input_iterators_tIbNS6_6detail15normal_iteratorINS6_10device_ptrIKiEEEESL_NS6_8equal_toIiEEEENSG_9not_fun_tINSD_8identityEEEEENSD_19counting_iterator_tIlEES8_S8_S8_S8_S8_S8_S8_S8_EEEEPS9_S9_NSD_9__find_if7functorIS9_EEEE10hipError_tPvRmT1_T2_T3_mT4_P12ihipStream_tbEUlT_E1_NS1_11comp_targetILNS1_3genE5ELNS1_11target_archE942ELNS1_3gpuE9ELNS1_3repE0EEENS1_30default_config_static_selectorELNS0_4arch9wavefront6targetE1EEEvS14_,"axG",@progbits,_ZN7rocprim17ROCPRIM_400000_NS6detail17trampoline_kernelINS0_14default_configENS1_22reduce_config_selectorIN6thrust23THRUST_200600_302600_NS5tupleIblNS6_9null_typeES8_S8_S8_S8_S8_S8_S8_EEEEZNS1_11reduce_implILb1ES3_NS6_12zip_iteratorINS7_INS6_11hip_rocprim26transform_input_iterator_tIbNSD_35transform_pair_of_input_iterators_tIbNS6_6detail15normal_iteratorINS6_10device_ptrIKiEEEESL_NS6_8equal_toIiEEEENSG_9not_fun_tINSD_8identityEEEEENSD_19counting_iterator_tIlEES8_S8_S8_S8_S8_S8_S8_S8_EEEEPS9_S9_NSD_9__find_if7functorIS9_EEEE10hipError_tPvRmT1_T2_T3_mT4_P12ihipStream_tbEUlT_E1_NS1_11comp_targetILNS1_3genE5ELNS1_11target_archE942ELNS1_3gpuE9ELNS1_3repE0EEENS1_30default_config_static_selectorELNS0_4arch9wavefront6targetE1EEEvS14_,comdat
.Lfunc_end271:
	.size	_ZN7rocprim17ROCPRIM_400000_NS6detail17trampoline_kernelINS0_14default_configENS1_22reduce_config_selectorIN6thrust23THRUST_200600_302600_NS5tupleIblNS6_9null_typeES8_S8_S8_S8_S8_S8_S8_EEEEZNS1_11reduce_implILb1ES3_NS6_12zip_iteratorINS7_INS6_11hip_rocprim26transform_input_iterator_tIbNSD_35transform_pair_of_input_iterators_tIbNS6_6detail15normal_iteratorINS6_10device_ptrIKiEEEESL_NS6_8equal_toIiEEEENSG_9not_fun_tINSD_8identityEEEEENSD_19counting_iterator_tIlEES8_S8_S8_S8_S8_S8_S8_S8_EEEEPS9_S9_NSD_9__find_if7functorIS9_EEEE10hipError_tPvRmT1_T2_T3_mT4_P12ihipStream_tbEUlT_E1_NS1_11comp_targetILNS1_3genE5ELNS1_11target_archE942ELNS1_3gpuE9ELNS1_3repE0EEENS1_30default_config_static_selectorELNS0_4arch9wavefront6targetE1EEEvS14_, .Lfunc_end271-_ZN7rocprim17ROCPRIM_400000_NS6detail17trampoline_kernelINS0_14default_configENS1_22reduce_config_selectorIN6thrust23THRUST_200600_302600_NS5tupleIblNS6_9null_typeES8_S8_S8_S8_S8_S8_S8_EEEEZNS1_11reduce_implILb1ES3_NS6_12zip_iteratorINS7_INS6_11hip_rocprim26transform_input_iterator_tIbNSD_35transform_pair_of_input_iterators_tIbNS6_6detail15normal_iteratorINS6_10device_ptrIKiEEEESL_NS6_8equal_toIiEEEENSG_9not_fun_tINSD_8identityEEEEENSD_19counting_iterator_tIlEES8_S8_S8_S8_S8_S8_S8_S8_EEEEPS9_S9_NSD_9__find_if7functorIS9_EEEE10hipError_tPvRmT1_T2_T3_mT4_P12ihipStream_tbEUlT_E1_NS1_11comp_targetILNS1_3genE5ELNS1_11target_archE942ELNS1_3gpuE9ELNS1_3repE0EEENS1_30default_config_static_selectorELNS0_4arch9wavefront6targetE1EEEvS14_
                                        ; -- End function
	.section	.AMDGPU.csdata,"",@progbits
; Kernel info:
; codeLenInByte = 0
; NumSgprs: 4
; NumVgprs: 0
; NumAgprs: 0
; TotalNumVgprs: 0
; ScratchSize: 0
; MemoryBound: 0
; FloatMode: 240
; IeeeMode: 1
; LDSByteSize: 0 bytes/workgroup (compile time only)
; SGPRBlocks: 0
; VGPRBlocks: 0
; NumSGPRsForWavesPerEU: 4
; NumVGPRsForWavesPerEU: 1
; AccumOffset: 4
; Occupancy: 8
; WaveLimiterHint : 0
; COMPUTE_PGM_RSRC2:SCRATCH_EN: 0
; COMPUTE_PGM_RSRC2:USER_SGPR: 6
; COMPUTE_PGM_RSRC2:TRAP_HANDLER: 0
; COMPUTE_PGM_RSRC2:TGID_X_EN: 1
; COMPUTE_PGM_RSRC2:TGID_Y_EN: 0
; COMPUTE_PGM_RSRC2:TGID_Z_EN: 0
; COMPUTE_PGM_RSRC2:TIDIG_COMP_CNT: 0
; COMPUTE_PGM_RSRC3_GFX90A:ACCUM_OFFSET: 0
; COMPUTE_PGM_RSRC3_GFX90A:TG_SPLIT: 0
	.section	.text._ZN7rocprim17ROCPRIM_400000_NS6detail17trampoline_kernelINS0_14default_configENS1_22reduce_config_selectorIN6thrust23THRUST_200600_302600_NS5tupleIblNS6_9null_typeES8_S8_S8_S8_S8_S8_S8_EEEEZNS1_11reduce_implILb1ES3_NS6_12zip_iteratorINS7_INS6_11hip_rocprim26transform_input_iterator_tIbNSD_35transform_pair_of_input_iterators_tIbNS6_6detail15normal_iteratorINS6_10device_ptrIKiEEEESL_NS6_8equal_toIiEEEENSG_9not_fun_tINSD_8identityEEEEENSD_19counting_iterator_tIlEES8_S8_S8_S8_S8_S8_S8_S8_EEEEPS9_S9_NSD_9__find_if7functorIS9_EEEE10hipError_tPvRmT1_T2_T3_mT4_P12ihipStream_tbEUlT_E1_NS1_11comp_targetILNS1_3genE4ELNS1_11target_archE910ELNS1_3gpuE8ELNS1_3repE0EEENS1_30default_config_static_selectorELNS0_4arch9wavefront6targetE1EEEvS14_,"axG",@progbits,_ZN7rocprim17ROCPRIM_400000_NS6detail17trampoline_kernelINS0_14default_configENS1_22reduce_config_selectorIN6thrust23THRUST_200600_302600_NS5tupleIblNS6_9null_typeES8_S8_S8_S8_S8_S8_S8_EEEEZNS1_11reduce_implILb1ES3_NS6_12zip_iteratorINS7_INS6_11hip_rocprim26transform_input_iterator_tIbNSD_35transform_pair_of_input_iterators_tIbNS6_6detail15normal_iteratorINS6_10device_ptrIKiEEEESL_NS6_8equal_toIiEEEENSG_9not_fun_tINSD_8identityEEEEENSD_19counting_iterator_tIlEES8_S8_S8_S8_S8_S8_S8_S8_EEEEPS9_S9_NSD_9__find_if7functorIS9_EEEE10hipError_tPvRmT1_T2_T3_mT4_P12ihipStream_tbEUlT_E1_NS1_11comp_targetILNS1_3genE4ELNS1_11target_archE910ELNS1_3gpuE8ELNS1_3repE0EEENS1_30default_config_static_selectorELNS0_4arch9wavefront6targetE1EEEvS14_,comdat
	.protected	_ZN7rocprim17ROCPRIM_400000_NS6detail17trampoline_kernelINS0_14default_configENS1_22reduce_config_selectorIN6thrust23THRUST_200600_302600_NS5tupleIblNS6_9null_typeES8_S8_S8_S8_S8_S8_S8_EEEEZNS1_11reduce_implILb1ES3_NS6_12zip_iteratorINS7_INS6_11hip_rocprim26transform_input_iterator_tIbNSD_35transform_pair_of_input_iterators_tIbNS6_6detail15normal_iteratorINS6_10device_ptrIKiEEEESL_NS6_8equal_toIiEEEENSG_9not_fun_tINSD_8identityEEEEENSD_19counting_iterator_tIlEES8_S8_S8_S8_S8_S8_S8_S8_EEEEPS9_S9_NSD_9__find_if7functorIS9_EEEE10hipError_tPvRmT1_T2_T3_mT4_P12ihipStream_tbEUlT_E1_NS1_11comp_targetILNS1_3genE4ELNS1_11target_archE910ELNS1_3gpuE8ELNS1_3repE0EEENS1_30default_config_static_selectorELNS0_4arch9wavefront6targetE1EEEvS14_ ; -- Begin function _ZN7rocprim17ROCPRIM_400000_NS6detail17trampoline_kernelINS0_14default_configENS1_22reduce_config_selectorIN6thrust23THRUST_200600_302600_NS5tupleIblNS6_9null_typeES8_S8_S8_S8_S8_S8_S8_EEEEZNS1_11reduce_implILb1ES3_NS6_12zip_iteratorINS7_INS6_11hip_rocprim26transform_input_iterator_tIbNSD_35transform_pair_of_input_iterators_tIbNS6_6detail15normal_iteratorINS6_10device_ptrIKiEEEESL_NS6_8equal_toIiEEEENSG_9not_fun_tINSD_8identityEEEEENSD_19counting_iterator_tIlEES8_S8_S8_S8_S8_S8_S8_S8_EEEEPS9_S9_NSD_9__find_if7functorIS9_EEEE10hipError_tPvRmT1_T2_T3_mT4_P12ihipStream_tbEUlT_E1_NS1_11comp_targetILNS1_3genE4ELNS1_11target_archE910ELNS1_3gpuE8ELNS1_3repE0EEENS1_30default_config_static_selectorELNS0_4arch9wavefront6targetE1EEEvS14_
	.globl	_ZN7rocprim17ROCPRIM_400000_NS6detail17trampoline_kernelINS0_14default_configENS1_22reduce_config_selectorIN6thrust23THRUST_200600_302600_NS5tupleIblNS6_9null_typeES8_S8_S8_S8_S8_S8_S8_EEEEZNS1_11reduce_implILb1ES3_NS6_12zip_iteratorINS7_INS6_11hip_rocprim26transform_input_iterator_tIbNSD_35transform_pair_of_input_iterators_tIbNS6_6detail15normal_iteratorINS6_10device_ptrIKiEEEESL_NS6_8equal_toIiEEEENSG_9not_fun_tINSD_8identityEEEEENSD_19counting_iterator_tIlEES8_S8_S8_S8_S8_S8_S8_S8_EEEEPS9_S9_NSD_9__find_if7functorIS9_EEEE10hipError_tPvRmT1_T2_T3_mT4_P12ihipStream_tbEUlT_E1_NS1_11comp_targetILNS1_3genE4ELNS1_11target_archE910ELNS1_3gpuE8ELNS1_3repE0EEENS1_30default_config_static_selectorELNS0_4arch9wavefront6targetE1EEEvS14_
	.p2align	8
	.type	_ZN7rocprim17ROCPRIM_400000_NS6detail17trampoline_kernelINS0_14default_configENS1_22reduce_config_selectorIN6thrust23THRUST_200600_302600_NS5tupleIblNS6_9null_typeES8_S8_S8_S8_S8_S8_S8_EEEEZNS1_11reduce_implILb1ES3_NS6_12zip_iteratorINS7_INS6_11hip_rocprim26transform_input_iterator_tIbNSD_35transform_pair_of_input_iterators_tIbNS6_6detail15normal_iteratorINS6_10device_ptrIKiEEEESL_NS6_8equal_toIiEEEENSG_9not_fun_tINSD_8identityEEEEENSD_19counting_iterator_tIlEES8_S8_S8_S8_S8_S8_S8_S8_EEEEPS9_S9_NSD_9__find_if7functorIS9_EEEE10hipError_tPvRmT1_T2_T3_mT4_P12ihipStream_tbEUlT_E1_NS1_11comp_targetILNS1_3genE4ELNS1_11target_archE910ELNS1_3gpuE8ELNS1_3repE0EEENS1_30default_config_static_selectorELNS0_4arch9wavefront6targetE1EEEvS14_,@function
_ZN7rocprim17ROCPRIM_400000_NS6detail17trampoline_kernelINS0_14default_configENS1_22reduce_config_selectorIN6thrust23THRUST_200600_302600_NS5tupleIblNS6_9null_typeES8_S8_S8_S8_S8_S8_S8_EEEEZNS1_11reduce_implILb1ES3_NS6_12zip_iteratorINS7_INS6_11hip_rocprim26transform_input_iterator_tIbNSD_35transform_pair_of_input_iterators_tIbNS6_6detail15normal_iteratorINS6_10device_ptrIKiEEEESL_NS6_8equal_toIiEEEENSG_9not_fun_tINSD_8identityEEEEENSD_19counting_iterator_tIlEES8_S8_S8_S8_S8_S8_S8_S8_EEEEPS9_S9_NSD_9__find_if7functorIS9_EEEE10hipError_tPvRmT1_T2_T3_mT4_P12ihipStream_tbEUlT_E1_NS1_11comp_targetILNS1_3genE4ELNS1_11target_archE910ELNS1_3gpuE8ELNS1_3repE0EEENS1_30default_config_static_selectorELNS0_4arch9wavefront6targetE1EEEvS14_: ; @_ZN7rocprim17ROCPRIM_400000_NS6detail17trampoline_kernelINS0_14default_configENS1_22reduce_config_selectorIN6thrust23THRUST_200600_302600_NS5tupleIblNS6_9null_typeES8_S8_S8_S8_S8_S8_S8_EEEEZNS1_11reduce_implILb1ES3_NS6_12zip_iteratorINS7_INS6_11hip_rocprim26transform_input_iterator_tIbNSD_35transform_pair_of_input_iterators_tIbNS6_6detail15normal_iteratorINS6_10device_ptrIKiEEEESL_NS6_8equal_toIiEEEENSG_9not_fun_tINSD_8identityEEEEENSD_19counting_iterator_tIlEES8_S8_S8_S8_S8_S8_S8_S8_EEEEPS9_S9_NSD_9__find_if7functorIS9_EEEE10hipError_tPvRmT1_T2_T3_mT4_P12ihipStream_tbEUlT_E1_NS1_11comp_targetILNS1_3genE4ELNS1_11target_archE910ELNS1_3gpuE8ELNS1_3repE0EEENS1_30default_config_static_selectorELNS0_4arch9wavefront6targetE1EEEvS14_
; %bb.0:
	s_load_dword s36, s[4:5], 0x4
	s_load_dwordx4 s[24:27], s[4:5], 0x8
	s_load_dwordx4 s[20:23], s[4:5], 0x28
	s_load_dword s33, s[4:5], 0x40
	s_load_dwordx2 s[18:19], s[4:5], 0x48
	s_waitcnt lgkmcnt(0)
	s_cmp_lt_i32 s36, 4
	s_cbranch_scc1 .LBB272_21
; %bb.1:
	s_cmp_gt_i32 s36, 7
	s_cbranch_scc0 .LBB272_22
; %bb.2:
	s_cmp_eq_u32 s36, 8
	s_mov_b64 s[28:29], 0
	s_cbranch_scc0 .LBB272_23
; %bb.3:
	s_mov_b32 s7, 0
	s_lshl_b32 s14, s6, 11
	s_mov_b32 s15, s7
	s_lshr_b64 s[0:1], s[22:23], 11
	s_lshl_b64 s[2:3], s[14:15], 2
	s_add_u32 s16, s24, s2
	s_addc_u32 s17, s25, s3
	s_add_u32 s30, s26, s2
	s_addc_u32 s31, s27, s3
	;; [unrolled: 2-line block ×3, first 2 shown]
	s_cmp_lg_u64 s[0:1], s[6:7]
	s_cbranch_scc0 .LBB272_44
; %bb.4:
	v_lshlrev_b32_e32 v1, 2, v0
	v_mov_b32_e32 v2, s17
	v_add_co_u32_e32 v3, vcc, s16, v1
	v_addc_co_u32_e32 v4, vcc, 0, v2, vcc
	v_mov_b32_e32 v2, s31
	v_add_co_u32_e32 v5, vcc, s30, v1
	v_addc_co_u32_e32 v6, vcc, 0, v2, vcc
	s_movk_i32 s0, 0x1000
	v_add_co_u32_e32 v2, vcc, s0, v3
	global_load_dword v7, v1, s[16:17]
	global_load_dword v8, v1, s[16:17] offset:1024
	global_load_dword v9, v1, s[16:17] offset:2048
	;; [unrolled: 1-line block ×5, first 2 shown]
	global_load_dword v13, v1, s[30:31]
	global_load_dword v14, v1, s[16:17] offset:3072
	v_addc_co_u32_e32 v3, vcc, 0, v4, vcc
	v_add_co_u32_e32 v4, vcc, s0, v5
	global_load_dword v1, v[2:3], off
	v_addc_co_u32_e32 v5, vcc, 0, v6, vcc
	global_load_dword v6, v[4:5], off
	global_load_dword v15, v[2:3], off offset:2048
	global_load_dword v16, v[2:3], off offset:3072
	;; [unrolled: 1-line block ×6, first 2 shown]
	v_mov_b32_e32 v2, s38
	v_add_co_u32_e32 v25, vcc, s37, v0
	v_addc_co_u32_e32 v26, vcc, 0, v2, vcc
	v_mov_b32_e32 v3, 0x200
	v_mov_b32_e32 v4, 0x100
	v_mov_b32_e32 v5, 0x400
	v_mov_b32_e32 v21, 0x300
	v_mov_b32_e32 v22, 0x600
	v_mov_b32_e32 v23, 0x500
	v_mov_b32_e32 v24, 0x700
	s_waitcnt vmcnt(12)
	v_cmp_ne_u32_e64 s[0:1], v8, v10
	s_waitcnt vmcnt(11)
	v_cmp_ne_u32_e32 vcc, v9, v11
	v_cndmask_b32_e64 v2, v3, v4, s[0:1]
	s_waitcnt vmcnt(9)
	v_cmp_ne_u32_e64 s[8:9], v7, v13
	s_or_b64 s[12:13], s[8:9], s[0:1]
	s_waitcnt vmcnt(8)
	v_cmp_ne_u32_e64 s[2:3], v14, v12
	s_or_b64 vcc, s[12:13], vcc
	v_cndmask_b32_e64 v3, v5, v21, s[2:3]
	v_cndmask_b32_e64 v2, v2, 0, s[8:9]
	s_waitcnt vmcnt(6)
	v_cmp_ne_u32_e64 s[0:1], v1, v6
	s_or_b64 s[2:3], vcc, s[2:3]
	v_cndmask_b32_e32 v1, v3, v2, vcc
	s_waitcnt vmcnt(0)
	v_cmp_ne_u32_e64 s[12:13], v19, v20
	s_or_b64 vcc, s[2:3], s[0:1]
	v_cmp_ne_u32_e64 s[8:9], v15, v17
	v_cndmask_b32_e64 v2, v22, v23, s[12:13]
	s_or_b64 s[0:1], vcc, s[12:13]
	v_cndmask_b32_e32 v1, v2, v1, vcc
	s_or_b64 vcc, s[0:1], s[8:9]
	v_cndmask_b32_e32 v1, v24, v1, vcc
	v_add_co_u32_e64 v2, s[0:1], v25, v1
	v_cmp_ne_u32_e64 s[10:11], v16, v18
	v_addc_co_u32_e64 v3, s[0:1], 0, v26, s[0:1]
	s_or_b64 s[0:1], vcc, s[10:11]
	v_cndmask_b32_e64 v1, 0, 1, s[0:1]
	v_mov_b32_dpp v4, v2 quad_perm:[1,0,3,2] row_mask:0xf bank_mask:0xf bound_ctrl:1
	v_mov_b32_dpp v5, v3 quad_perm:[1,0,3,2] row_mask:0xf bank_mask:0xf bound_ctrl:1
	;; [unrolled: 1-line block ×3, first 2 shown]
	v_and_b32_e32 v7, 1, v6
	v_cmp_eq_u32_e32 vcc, 1, v7
	s_and_saveexec_b64 s[2:3], vcc
; %bb.5:
	v_cmp_lt_i64_e32 vcc, v[2:3], v[4:5]
	v_cndmask_b32_e64 v6, v6, 1, s[0:1]
	s_and_b64 vcc, s[0:1], vcc
	v_cndmask_b32_e32 v2, v4, v2, vcc
	v_and_b32_e32 v4, 1, v6
	v_cndmask_b32_e32 v3, v5, v3, vcc
	v_cmp_eq_u32_e32 vcc, 1, v4
	s_andn2_b64 s[0:1], s[0:1], exec
	s_and_b64 s[8:9], vcc, exec
	v_and_b32_e32 v1, 0xff, v6
	s_or_b64 s[0:1], s[0:1], s[8:9]
; %bb.6:
	s_or_b64 exec, exec, s[2:3]
	v_mov_b32_dpp v6, v1 quad_perm:[2,3,0,1] row_mask:0xf bank_mask:0xf bound_ctrl:1
	v_and_b32_e32 v7, 1, v6
	v_mov_b32_dpp v4, v2 quad_perm:[2,3,0,1] row_mask:0xf bank_mask:0xf bound_ctrl:1
	v_mov_b32_dpp v5, v3 quad_perm:[2,3,0,1] row_mask:0xf bank_mask:0xf bound_ctrl:1
	v_cmp_eq_u32_e32 vcc, 1, v7
	s_and_saveexec_b64 s[2:3], vcc
; %bb.7:
	v_cmp_lt_i64_e32 vcc, v[2:3], v[4:5]
	v_cndmask_b32_e64 v6, v6, 1, s[0:1]
	s_and_b64 vcc, s[0:1], vcc
	v_cndmask_b32_e32 v2, v4, v2, vcc
	v_and_b32_e32 v4, 1, v6
	v_cndmask_b32_e32 v3, v5, v3, vcc
	v_cmp_eq_u32_e32 vcc, 1, v4
	s_andn2_b64 s[0:1], s[0:1], exec
	s_and_b64 s[8:9], vcc, exec
	v_and_b32_e32 v1, 0xff, v6
	s_or_b64 s[0:1], s[0:1], s[8:9]
; %bb.8:
	s_or_b64 exec, exec, s[2:3]
	v_mov_b32_dpp v6, v1 row_ror:4 row_mask:0xf bank_mask:0xf bound_ctrl:1
	v_and_b32_e32 v7, 1, v6
	v_mov_b32_dpp v4, v2 row_ror:4 row_mask:0xf bank_mask:0xf bound_ctrl:1
	v_mov_b32_dpp v5, v3 row_ror:4 row_mask:0xf bank_mask:0xf bound_ctrl:1
	v_cmp_eq_u32_e32 vcc, 1, v7
	s_and_saveexec_b64 s[2:3], vcc
; %bb.9:
	v_cmp_lt_i64_e32 vcc, v[2:3], v[4:5]
	v_cndmask_b32_e64 v6, v6, 1, s[0:1]
	s_and_b64 vcc, s[0:1], vcc
	v_cndmask_b32_e32 v2, v4, v2, vcc
	v_and_b32_e32 v4, 1, v6
	v_cndmask_b32_e32 v3, v5, v3, vcc
	v_cmp_eq_u32_e32 vcc, 1, v4
	s_andn2_b64 s[0:1], s[0:1], exec
	s_and_b64 s[8:9], vcc, exec
	v_and_b32_e32 v1, 0xff, v6
	s_or_b64 s[0:1], s[0:1], s[8:9]
; %bb.10:
	s_or_b64 exec, exec, s[2:3]
	v_mov_b32_dpp v6, v1 row_ror:8 row_mask:0xf bank_mask:0xf bound_ctrl:1
	v_and_b32_e32 v7, 1, v6
	v_mov_b32_dpp v4, v2 row_ror:8 row_mask:0xf bank_mask:0xf bound_ctrl:1
	v_mov_b32_dpp v5, v3 row_ror:8 row_mask:0xf bank_mask:0xf bound_ctrl:1
	v_cmp_eq_u32_e32 vcc, 1, v7
	s_and_saveexec_b64 s[2:3], vcc
; %bb.11:
	v_cmp_lt_i64_e32 vcc, v[2:3], v[4:5]
	v_cndmask_b32_e64 v6, v6, 1, s[0:1]
	s_and_b64 vcc, s[0:1], vcc
	v_cndmask_b32_e32 v2, v4, v2, vcc
	v_and_b32_e32 v4, 1, v6
	v_cndmask_b32_e32 v3, v5, v3, vcc
	v_cmp_eq_u32_e32 vcc, 1, v4
	s_andn2_b64 s[0:1], s[0:1], exec
	s_and_b64 s[8:9], vcc, exec
	v_and_b32_e32 v1, 0xff, v6
	s_or_b64 s[0:1], s[0:1], s[8:9]
; %bb.12:
	s_or_b64 exec, exec, s[2:3]
	v_mov_b32_dpp v6, v1 row_bcast:15 row_mask:0xf bank_mask:0xf bound_ctrl:1
	v_and_b32_e32 v7, 1, v6
	v_mov_b32_dpp v4, v2 row_bcast:15 row_mask:0xf bank_mask:0xf bound_ctrl:1
	v_mov_b32_dpp v5, v3 row_bcast:15 row_mask:0xf bank_mask:0xf bound_ctrl:1
	v_cmp_eq_u32_e32 vcc, 1, v7
	s_and_saveexec_b64 s[2:3], vcc
; %bb.13:
	v_cmp_lt_i64_e32 vcc, v[2:3], v[4:5]
	v_cndmask_b32_e64 v6, v6, 1, s[0:1]
	s_and_b64 vcc, s[0:1], vcc
	v_cndmask_b32_e32 v2, v4, v2, vcc
	v_and_b32_e32 v4, 1, v6
	v_cndmask_b32_e32 v3, v5, v3, vcc
	v_cmp_eq_u32_e32 vcc, 1, v4
	s_andn2_b64 s[0:1], s[0:1], exec
	s_and_b64 s[8:9], vcc, exec
	v_and_b32_e32 v1, 0xff, v6
	s_or_b64 s[0:1], s[0:1], s[8:9]
; %bb.14:
	s_or_b64 exec, exec, s[2:3]
	v_mov_b32_dpp v6, v1 row_bcast:31 row_mask:0xf bank_mask:0xf bound_ctrl:1
	v_and_b32_e32 v7, 1, v6
	v_mov_b32_dpp v4, v2 row_bcast:31 row_mask:0xf bank_mask:0xf bound_ctrl:1
	v_mov_b32_dpp v5, v3 row_bcast:31 row_mask:0xf bank_mask:0xf bound_ctrl:1
	v_cmp_eq_u32_e32 vcc, 1, v7
	s_and_saveexec_b64 s[2:3], vcc
; %bb.15:
	v_cmp_lt_i64_e32 vcc, v[2:3], v[4:5]
	v_and_b32_e32 v1, 0xff, v6
	s_and_b64 vcc, s[0:1], vcc
	v_cndmask_b32_e32 v2, v4, v2, vcc
	v_cndmask_b32_e32 v3, v5, v3, vcc
	v_cndmask_b32_e64 v1, v1, 1, s[0:1]
; %bb.16:
	s_or_b64 exec, exec, s[2:3]
	v_mbcnt_lo_u32_b32 v4, -1, 0
	v_mbcnt_hi_u32_b32 v4, -1, v4
	v_bfrev_b32_e32 v5, 0.5
	v_lshl_or_b32 v5, v4, 2, v5
	ds_bpermute_b32 v7, v5, v1
	ds_bpermute_b32 v2, v5, v2
	;; [unrolled: 1-line block ×3, first 2 shown]
	v_cmp_eq_u32_e32 vcc, 0, v4
	s_and_saveexec_b64 s[0:1], vcc
	s_cbranch_execz .LBB272_18
; %bb.17:
	v_lshrrev_b32_e32 v1, 2, v0
	v_and_b32_e32 v1, 48, v1
	s_waitcnt lgkmcnt(2)
	ds_write_b8 v1, v7 offset:192
	s_waitcnt lgkmcnt(1)
	ds_write_b64 v1, v[2:3] offset:200
.LBB272_18:
	s_or_b64 exec, exec, s[0:1]
	v_cmp_gt_u32_e32 vcc, 64, v0
	s_waitcnt lgkmcnt(0)
	s_barrier
	s_and_saveexec_b64 s[2:3], vcc
	s_cbranch_execz .LBB272_20
; %bb.19:
	v_and_b32_e32 v1, 3, v4
	v_lshlrev_b32_e32 v2, 4, v1
	ds_read_u8 v5, v2 offset:192
	ds_read_b64 v[2:3], v2 offset:200
	v_cmp_ne_u32_e32 vcc, 3, v1
	v_addc_co_u32_e32 v6, vcc, 0, v4, vcc
	s_waitcnt lgkmcnt(1)
	v_and_b32_e32 v7, 0xff, v5
	v_lshlrev_b32_e32 v8, 2, v6
	ds_bpermute_b32 v9, v8, v7
	s_waitcnt lgkmcnt(1)
	ds_bpermute_b32 v6, v8, v2
	ds_bpermute_b32 v7, v8, v3
	v_and_b32_e32 v8, 1, v5
	s_waitcnt lgkmcnt(2)
	v_and_b32_e32 v10, 1, v9
	v_cmp_eq_u32_e64 s[0:1], 1, v10
	s_waitcnt lgkmcnt(0)
	v_cmp_lt_i64_e32 vcc, v[6:7], v[2:3]
	s_and_b64 vcc, s[0:1], vcc
	v_cndmask_b32_e64 v5, v5, 1, s[0:1]
	v_cndmask_b32_e32 v2, v2, v6, vcc
	v_cndmask_b32_e32 v3, v3, v7, vcc
	v_cmp_eq_u32_e32 vcc, 1, v8
	v_cndmask_b32_e32 v8, v9, v5, vcc
	v_cndmask_b32_e32 v3, v7, v3, vcc
	;; [unrolled: 1-line block ×3, first 2 shown]
	v_cmp_gt_u32_e32 vcc, 2, v1
	v_cndmask_b32_e64 v1, 0, 1, vcc
	v_lshlrev_b32_e32 v1, 1, v1
	v_and_b32_e32 v5, 0xff, v8
	v_add_lshl_u32 v1, v1, v4, 2
	ds_bpermute_b32 v6, v1, v5
	ds_bpermute_b32 v4, v1, v2
	;; [unrolled: 1-line block ×3, first 2 shown]
	v_and_b32_e32 v1, 1, v8
	s_waitcnt lgkmcnt(2)
	v_and_b32_e32 v7, 1, v6
	v_cmp_eq_u32_e64 s[0:1], 1, v7
	s_waitcnt lgkmcnt(0)
	v_cmp_lt_i64_e32 vcc, v[4:5], v[2:3]
	s_and_b64 vcc, s[0:1], vcc
	v_cndmask_b32_e64 v7, v8, 1, s[0:1]
	v_cndmask_b32_e32 v2, v2, v4, vcc
	v_cndmask_b32_e32 v3, v3, v5, vcc
	v_cmp_eq_u32_e32 vcc, 1, v1
	v_cndmask_b32_e32 v1, v6, v7, vcc
	v_cndmask_b32_e32 v3, v5, v3, vcc
	;; [unrolled: 1-line block ×3, first 2 shown]
	v_and_b32_e32 v7, 0xff, v1
.LBB272_20:
	s_or_b64 exec, exec, s[2:3]
	s_branch .LBB272_89
.LBB272_21:
	s_mov_b64 s[10:11], 0
                                        ; implicit-def: $vgpr4_vgpr5
                                        ; implicit-def: $vgpr1
	s_cbranch_execnz .LBB272_133
	s_branch .LBB272_208
.LBB272_22:
	s_mov_b64 s[28:29], -1
.LBB272_23:
	s_mov_b64 s[10:11], 0
                                        ; implicit-def: $vgpr4_vgpr5
                                        ; implicit-def: $vgpr1
	s_and_b64 vcc, exec, s[28:29]
	s_cbranch_vccz .LBB272_94
.LBB272_24:
	s_cmp_eq_u32 s36, 4
	s_cbranch_scc0 .LBB272_43
; %bb.25:
	s_mov_b32 s7, 0
	s_lshl_b32 s16, s6, 10
	s_mov_b32 s17, s7
	s_lshr_b64 s[0:1], s[22:23], 10
	s_lshl_b64 s[2:3], s[16:17], 2
	s_add_u32 s12, s24, s2
	s_addc_u32 s13, s25, s3
	s_add_u32 s14, s26, s2
	s_addc_u32 s15, s27, s3
	;; [unrolled: 2-line block ×3, first 2 shown]
	s_cmp_lg_u64 s[0:1], s[6:7]
	s_cbranch_scc0 .LBB272_95
; %bb.26:
	v_lshlrev_b32_e32 v1, 2, v0
	global_load_dword v2, v1, s[12:13] offset:2048
	global_load_dword v3, v1, s[14:15] offset:1024
	s_waitcnt lgkmcnt(1)
	global_load_dword v4, v1, s[14:15] offset:2048
	s_waitcnt lgkmcnt(0)
	global_load_dword v5, v1, s[14:15] offset:3072
	global_load_dword v6, v1, s[12:13] offset:3072
	;; [unrolled: 1-line block ×3, first 2 shown]
	global_load_dword v8, v1, s[14:15]
	global_load_dword v9, v1, s[12:13]
	v_mov_b32_e32 v1, s29
	v_add_co_u32_e32 v13, vcc, s28, v0
	v_mov_b32_e32 v10, 0x200
	v_mov_b32_e32 v11, 0x100
	v_addc_co_u32_e32 v1, vcc, 0, v1, vcc
	v_mov_b32_e32 v12, 0x300
	s_waitcnt vmcnt(5)
	v_cmp_ne_u32_e32 vcc, v2, v4
	s_waitcnt vmcnt(3)
	v_cmp_ne_u32_e64 s[0:1], v6, v5
	s_waitcnt vmcnt(2)
	v_cmp_ne_u32_e64 s[2:3], v7, v3
	v_cndmask_b32_e64 v2, v10, v11, s[2:3]
	s_waitcnt vmcnt(0)
	v_cmp_ne_u32_e64 s[8:9], v9, v8
	s_or_b64 s[2:3], s[8:9], s[2:3]
	v_cndmask_b32_e64 v2, v2, 0, s[8:9]
	s_or_b64 vcc, s[2:3], vcc
	v_cndmask_b32_e32 v2, v12, v2, vcc
	v_add_co_u32_e64 v2, s[2:3], v13, v2
	s_or_b64 s[0:1], vcc, s[0:1]
	v_addc_co_u32_e64 v3, s[2:3], 0, v1, s[2:3]
	v_cndmask_b32_e64 v1, 0, 1, s[0:1]
	v_mov_b32_dpp v4, v2 quad_perm:[1,0,3,2] row_mask:0xf bank_mask:0xf bound_ctrl:1
	v_mov_b32_dpp v5, v3 quad_perm:[1,0,3,2] row_mask:0xf bank_mask:0xf bound_ctrl:1
	;; [unrolled: 1-line block ×3, first 2 shown]
	v_and_b32_e32 v7, 1, v6
	v_cmp_eq_u32_e32 vcc, 1, v7
	s_and_saveexec_b64 s[2:3], vcc
; %bb.27:
	v_cmp_lt_i64_e32 vcc, v[2:3], v[4:5]
	v_cndmask_b32_e64 v6, v6, 1, s[0:1]
	s_and_b64 vcc, s[0:1], vcc
	v_cndmask_b32_e32 v2, v4, v2, vcc
	v_and_b32_e32 v4, 1, v6
	v_cndmask_b32_e32 v3, v5, v3, vcc
	v_cmp_eq_u32_e32 vcc, 1, v4
	s_andn2_b64 s[0:1], s[0:1], exec
	s_and_b64 s[8:9], vcc, exec
	v_and_b32_e32 v1, 0xff, v6
	s_or_b64 s[0:1], s[0:1], s[8:9]
; %bb.28:
	s_or_b64 exec, exec, s[2:3]
	v_mov_b32_dpp v6, v1 quad_perm:[2,3,0,1] row_mask:0xf bank_mask:0xf bound_ctrl:1
	v_and_b32_e32 v7, 1, v6
	v_mov_b32_dpp v4, v2 quad_perm:[2,3,0,1] row_mask:0xf bank_mask:0xf bound_ctrl:1
	v_mov_b32_dpp v5, v3 quad_perm:[2,3,0,1] row_mask:0xf bank_mask:0xf bound_ctrl:1
	v_cmp_eq_u32_e32 vcc, 1, v7
	s_and_saveexec_b64 s[2:3], vcc
; %bb.29:
	v_cmp_lt_i64_e32 vcc, v[2:3], v[4:5]
	v_cndmask_b32_e64 v6, v6, 1, s[0:1]
	s_and_b64 vcc, s[0:1], vcc
	v_cndmask_b32_e32 v2, v4, v2, vcc
	v_and_b32_e32 v4, 1, v6
	v_cndmask_b32_e32 v3, v5, v3, vcc
	v_cmp_eq_u32_e32 vcc, 1, v4
	s_andn2_b64 s[0:1], s[0:1], exec
	s_and_b64 s[8:9], vcc, exec
	v_and_b32_e32 v1, 0xff, v6
	s_or_b64 s[0:1], s[0:1], s[8:9]
; %bb.30:
	s_or_b64 exec, exec, s[2:3]
	v_mov_b32_dpp v6, v1 row_ror:4 row_mask:0xf bank_mask:0xf bound_ctrl:1
	v_and_b32_e32 v7, 1, v6
	v_mov_b32_dpp v4, v2 row_ror:4 row_mask:0xf bank_mask:0xf bound_ctrl:1
	v_mov_b32_dpp v5, v3 row_ror:4 row_mask:0xf bank_mask:0xf bound_ctrl:1
	v_cmp_eq_u32_e32 vcc, 1, v7
	s_and_saveexec_b64 s[2:3], vcc
; %bb.31:
	v_cmp_lt_i64_e32 vcc, v[2:3], v[4:5]
	v_cndmask_b32_e64 v6, v6, 1, s[0:1]
	s_and_b64 vcc, s[0:1], vcc
	v_cndmask_b32_e32 v2, v4, v2, vcc
	v_and_b32_e32 v4, 1, v6
	v_cndmask_b32_e32 v3, v5, v3, vcc
	v_cmp_eq_u32_e32 vcc, 1, v4
	s_andn2_b64 s[0:1], s[0:1], exec
	s_and_b64 s[8:9], vcc, exec
	v_and_b32_e32 v1, 0xff, v6
	s_or_b64 s[0:1], s[0:1], s[8:9]
; %bb.32:
	s_or_b64 exec, exec, s[2:3]
	v_mov_b32_dpp v6, v1 row_ror:8 row_mask:0xf bank_mask:0xf bound_ctrl:1
	v_and_b32_e32 v7, 1, v6
	v_mov_b32_dpp v4, v2 row_ror:8 row_mask:0xf bank_mask:0xf bound_ctrl:1
	v_mov_b32_dpp v5, v3 row_ror:8 row_mask:0xf bank_mask:0xf bound_ctrl:1
	v_cmp_eq_u32_e32 vcc, 1, v7
	s_and_saveexec_b64 s[2:3], vcc
; %bb.33:
	v_cmp_lt_i64_e32 vcc, v[2:3], v[4:5]
	v_cndmask_b32_e64 v6, v6, 1, s[0:1]
	s_and_b64 vcc, s[0:1], vcc
	v_cndmask_b32_e32 v2, v4, v2, vcc
	v_and_b32_e32 v4, 1, v6
	v_cndmask_b32_e32 v3, v5, v3, vcc
	v_cmp_eq_u32_e32 vcc, 1, v4
	s_andn2_b64 s[0:1], s[0:1], exec
	s_and_b64 s[8:9], vcc, exec
	v_and_b32_e32 v1, 0xff, v6
	s_or_b64 s[0:1], s[0:1], s[8:9]
; %bb.34:
	s_or_b64 exec, exec, s[2:3]
	v_mov_b32_dpp v6, v1 row_bcast:15 row_mask:0xf bank_mask:0xf bound_ctrl:1
	v_and_b32_e32 v7, 1, v6
	v_mov_b32_dpp v4, v2 row_bcast:15 row_mask:0xf bank_mask:0xf bound_ctrl:1
	v_mov_b32_dpp v5, v3 row_bcast:15 row_mask:0xf bank_mask:0xf bound_ctrl:1
	v_cmp_eq_u32_e32 vcc, 1, v7
	s_and_saveexec_b64 s[2:3], vcc
; %bb.35:
	v_cmp_lt_i64_e32 vcc, v[2:3], v[4:5]
	v_cndmask_b32_e64 v6, v6, 1, s[0:1]
	s_and_b64 vcc, s[0:1], vcc
	v_cndmask_b32_e32 v2, v4, v2, vcc
	v_and_b32_e32 v4, 1, v6
	v_cndmask_b32_e32 v3, v5, v3, vcc
	v_cmp_eq_u32_e32 vcc, 1, v4
	s_andn2_b64 s[0:1], s[0:1], exec
	s_and_b64 s[8:9], vcc, exec
	v_and_b32_e32 v1, 0xff, v6
	s_or_b64 s[0:1], s[0:1], s[8:9]
; %bb.36:
	s_or_b64 exec, exec, s[2:3]
	v_mov_b32_dpp v6, v1 row_bcast:31 row_mask:0xf bank_mask:0xf bound_ctrl:1
	v_and_b32_e32 v7, 1, v6
	v_mov_b32_dpp v4, v2 row_bcast:31 row_mask:0xf bank_mask:0xf bound_ctrl:1
	v_mov_b32_dpp v5, v3 row_bcast:31 row_mask:0xf bank_mask:0xf bound_ctrl:1
	v_cmp_eq_u32_e32 vcc, 1, v7
	s_and_saveexec_b64 s[2:3], vcc
; %bb.37:
	v_cmp_lt_i64_e32 vcc, v[2:3], v[4:5]
	v_and_b32_e32 v1, 0xff, v6
	s_and_b64 vcc, s[0:1], vcc
	v_cndmask_b32_e32 v2, v4, v2, vcc
	v_cndmask_b32_e32 v3, v5, v3, vcc
	v_cndmask_b32_e64 v1, v1, 1, s[0:1]
; %bb.38:
	s_or_b64 exec, exec, s[2:3]
	v_mbcnt_lo_u32_b32 v4, -1, 0
	v_mbcnt_hi_u32_b32 v4, -1, v4
	v_bfrev_b32_e32 v5, 0.5
	v_lshl_or_b32 v5, v4, 2, v5
	ds_bpermute_b32 v6, v5, v1
	ds_bpermute_b32 v2, v5, v2
	;; [unrolled: 1-line block ×3, first 2 shown]
	v_cmp_eq_u32_e32 vcc, 0, v4
	s_and_saveexec_b64 s[0:1], vcc
	s_cbranch_execz .LBB272_40
; %bb.39:
	v_lshrrev_b32_e32 v1, 2, v0
	v_and_b32_e32 v1, 48, v1
	s_waitcnt lgkmcnt(2)
	ds_write_b8 v1, v6 offset:128
	s_waitcnt lgkmcnt(1)
	ds_write_b64 v1, v[2:3] offset:136
.LBB272_40:
	s_or_b64 exec, exec, s[0:1]
	v_cmp_gt_u32_e32 vcc, 64, v0
	s_waitcnt lgkmcnt(0)
	s_barrier
	s_and_saveexec_b64 s[2:3], vcc
	s_cbranch_execz .LBB272_42
; %bb.41:
	v_and_b32_e32 v1, 3, v4
	v_lshlrev_b32_e32 v2, 4, v1
	ds_read_u8 v5, v2 offset:128
	ds_read_b64 v[2:3], v2 offset:136
	v_cmp_ne_u32_e32 vcc, 3, v1
	v_addc_co_u32_e32 v6, vcc, 0, v4, vcc
	s_waitcnt lgkmcnt(1)
	v_and_b32_e32 v7, 0xff, v5
	v_lshlrev_b32_e32 v8, 2, v6
	ds_bpermute_b32 v9, v8, v7
	s_waitcnt lgkmcnt(1)
	ds_bpermute_b32 v6, v8, v2
	ds_bpermute_b32 v7, v8, v3
	v_and_b32_e32 v8, 1, v5
	s_waitcnt lgkmcnt(2)
	v_and_b32_e32 v10, 1, v9
	v_cmp_eq_u32_e64 s[0:1], 1, v10
	s_waitcnt lgkmcnt(0)
	v_cmp_lt_i64_e32 vcc, v[6:7], v[2:3]
	s_and_b64 vcc, s[0:1], vcc
	v_cndmask_b32_e64 v5, v5, 1, s[0:1]
	v_cndmask_b32_e32 v2, v2, v6, vcc
	v_cndmask_b32_e32 v3, v3, v7, vcc
	v_cmp_eq_u32_e32 vcc, 1, v8
	v_cndmask_b32_e32 v8, v9, v5, vcc
	v_cndmask_b32_e32 v3, v7, v3, vcc
	;; [unrolled: 1-line block ×3, first 2 shown]
	v_cmp_gt_u32_e32 vcc, 2, v1
	v_cndmask_b32_e64 v1, 0, 1, vcc
	v_lshlrev_b32_e32 v1, 1, v1
	v_and_b32_e32 v5, 0xff, v8
	v_add_lshl_u32 v1, v1, v4, 2
	ds_bpermute_b32 v6, v1, v5
	ds_bpermute_b32 v4, v1, v2
	;; [unrolled: 1-line block ×3, first 2 shown]
	v_and_b32_e32 v1, 1, v8
	s_waitcnt lgkmcnt(2)
	v_and_b32_e32 v7, 1, v6
	v_cmp_eq_u32_e64 s[0:1], 1, v7
	s_waitcnt lgkmcnt(0)
	v_cmp_lt_i64_e32 vcc, v[4:5], v[2:3]
	s_and_b64 vcc, s[0:1], vcc
	v_cndmask_b32_e64 v7, v8, 1, s[0:1]
	v_cndmask_b32_e32 v2, v2, v4, vcc
	v_cndmask_b32_e32 v3, v3, v5, vcc
	v_cmp_eq_u32_e32 vcc, 1, v1
	v_cndmask_b32_e32 v1, v6, v7, vcc
	v_cndmask_b32_e32 v3, v5, v3, vcc
	;; [unrolled: 1-line block ×3, first 2 shown]
	v_and_b32_e32 v6, 0xff, v1
.LBB272_42:
	s_or_b64 exec, exec, s[2:3]
	s_branch .LBB272_128
.LBB272_43:
                                        ; implicit-def: $vgpr4_vgpr5
                                        ; implicit-def: $vgpr1
	s_branch .LBB272_208
.LBB272_44:
                                        ; implicit-def: $vgpr2_vgpr3
                                        ; implicit-def: $vgpr7
	s_cbranch_execz .LBB272_89
; %bb.45:
	s_sub_i32 s39, s22, s14
	v_pk_mov_b32 v[4:5], 0, 0
	v_cmp_gt_u32_e32 vcc, s39, v0
	v_mov_b32_e32 v18, 0
	v_pk_mov_b32 v[2:3], v[4:5], v[4:5] op_sel:[0,1]
	v_mov_b32_e32 v1, 0
	s_and_saveexec_b64 s[0:1], vcc
	s_cbranch_execz .LBB272_47
; %bb.46:
	v_lshlrev_b32_e32 v1, 2, v0
	global_load_dword v6, v1, s[16:17]
	global_load_dword v7, v1, s[30:31]
	v_mov_b32_e32 v1, s38
	v_add_co_u32_e32 v2, vcc, s37, v0
	v_addc_co_u32_e32 v3, vcc, 0, v1, vcc
	s_waitcnt vmcnt(0)
	v_cmp_ne_u32_e32 vcc, v6, v7
	v_cndmask_b32_e64 v1, 0, 1, vcc
.LBB272_47:
	s_or_b64 exec, exec, s[0:1]
	v_or_b32_e32 v6, 0x100, v0
	v_cmp_gt_u32_e64 s[8:9], s39, v6
	s_and_saveexec_b64 s[0:1], s[8:9]
	s_cbranch_execz .LBB272_49
; %bb.48:
	v_lshlrev_b32_e32 v4, 2, v0
	global_load_dword v7, v4, s[16:17] offset:1024
	global_load_dword v8, v4, s[30:31] offset:1024
	v_mov_b32_e32 v5, s38
	v_add_co_u32_e32 v4, vcc, s37, v6
	v_addc_co_u32_e32 v5, vcc, 0, v5, vcc
	s_waitcnt vmcnt(0)
	v_cmp_ne_u32_e32 vcc, v7, v8
	v_cndmask_b32_e64 v18, 0, 1, vcc
.LBB272_49:
	s_or_b64 exec, exec, s[0:1]
	v_or_b32_e32 v8, 0x200, v0
	v_pk_mov_b32 v[6:7], 0, 0
	v_cmp_gt_u32_e32 vcc, s39, v8
	v_mov_b32_e32 v19, 0
	v_pk_mov_b32 v[12:13], v[6:7], v[6:7] op_sel:[0,1]
	v_mov_b32_e32 v23, 0
	s_and_saveexec_b64 s[2:3], vcc
	s_cbranch_execz .LBB272_51
; %bb.50:
	v_lshlrev_b32_e32 v9, 2, v0
	global_load_dword v10, v9, s[16:17] offset:2048
	global_load_dword v11, v9, s[30:31] offset:2048
	v_mov_b32_e32 v9, s38
	v_add_co_u32_e64 v12, s[0:1], s37, v8
	v_addc_co_u32_e64 v13, s[0:1], 0, v9, s[0:1]
	s_waitcnt vmcnt(0)
	v_cmp_ne_u32_e64 s[0:1], v10, v11
	v_cndmask_b32_e64 v23, 0, 1, s[0:1]
.LBB272_51:
	s_or_b64 exec, exec, s[2:3]
	v_or_b32_e32 v8, 0x300, v0
	v_cmp_gt_u32_e64 s[10:11], s39, v8
	s_and_saveexec_b64 s[2:3], s[10:11]
	s_cbranch_execz .LBB272_53
; %bb.52:
	v_lshlrev_b32_e32 v6, 2, v0
	global_load_dword v9, v6, s[16:17] offset:3072
	global_load_dword v10, v6, s[30:31] offset:3072
	v_mov_b32_e32 v7, s38
	v_add_co_u32_e64 v6, s[0:1], s37, v8
	v_addc_co_u32_e64 v7, s[0:1], 0, v7, s[0:1]
	s_waitcnt vmcnt(0)
	v_cmp_ne_u32_e64 s[0:1], v9, v10
	v_cndmask_b32_e64 v19, 0, 1, s[0:1]
.LBB272_53:
	s_or_b64 exec, exec, s[2:3]
	v_or_b32_e32 v10, 0x400, v0
	v_pk_mov_b32 v[8:9], 0, 0
	v_cmp_gt_u32_e64 s[0:1], s39, v10
	v_mov_b32_e32 v20, 0
	v_pk_mov_b32 v[14:15], v[8:9], v[8:9] op_sel:[0,1]
	v_mov_b32_e32 v24, 0
	s_and_saveexec_b64 s[12:13], s[0:1]
	s_cbranch_execz .LBB272_55
; %bb.54:
	v_lshlrev_b32_e32 v11, 2, v10
	global_load_dword v16, v11, s[16:17]
	global_load_dword v17, v11, s[30:31]
	v_mov_b32_e32 v11, s38
	v_add_co_u32_e64 v14, s[2:3], s37, v10
	v_addc_co_u32_e64 v15, s[2:3], 0, v11, s[2:3]
	s_waitcnt vmcnt(0)
	v_cmp_ne_u32_e64 s[2:3], v16, v17
	v_cndmask_b32_e64 v24, 0, 1, s[2:3]
.LBB272_55:
	s_or_b64 exec, exec, s[12:13]
	v_or_b32_e32 v10, 0x500, v0
	v_cmp_gt_u32_e64 s[12:13], s39, v10
	s_and_saveexec_b64 s[14:15], s[12:13]
	s_cbranch_execz .LBB272_57
; %bb.56:
	v_lshlrev_b32_e32 v8, 2, v10
	global_load_dword v11, v8, s[16:17]
	global_load_dword v16, v8, s[30:31]
	v_mov_b32_e32 v9, s38
	v_add_co_u32_e64 v8, s[2:3], s37, v10
	v_addc_co_u32_e64 v9, s[2:3], 0, v9, s[2:3]
	s_waitcnt vmcnt(0)
	v_cmp_ne_u32_e64 s[2:3], v11, v16
	v_cndmask_b32_e64 v20, 0, 1, s[2:3]
.LBB272_57:
	s_or_b64 exec, exec, s[14:15]
	v_or_b32_e32 v25, 0x600, v0
	v_pk_mov_b32 v[10:11], 0, 0
	v_cmp_gt_u32_e64 s[2:3], s39, v25
	v_mov_b32_e32 v21, 0
	v_mov_b32_e32 v22, 0
	v_pk_mov_b32 v[16:17], v[10:11], v[10:11] op_sel:[0,1]
	s_and_saveexec_b64 s[34:35], s[2:3]
	s_cbranch_execz .LBB272_59
; %bb.58:
	v_lshlrev_b32_e32 v16, 2, v25
	global_load_dword v22, v16, s[16:17]
	global_load_dword v26, v16, s[30:31]
	v_mov_b32_e32 v17, s38
	v_add_co_u32_e64 v16, s[14:15], s37, v25
	v_addc_co_u32_e64 v17, s[14:15], 0, v17, s[14:15]
	s_waitcnt vmcnt(0)
	v_cmp_ne_u32_e64 s[14:15], v22, v26
	v_cndmask_b32_e64 v22, 0, 1, s[14:15]
.LBB272_59:
	s_or_b64 exec, exec, s[34:35]
	v_or_b32_e32 v25, 0x700, v0
	v_cmp_gt_u32_e64 s[14:15], s39, v25
	s_and_saveexec_b64 s[34:35], s[14:15]
	s_cbranch_execnz .LBB272_240
; %bb.60:
	s_or_b64 exec, exec, s[34:35]
	s_and_saveexec_b64 s[30:31], s[8:9]
	s_cbranch_execnz .LBB272_241
.LBB272_61:
	s_or_b64 exec, exec, s[30:31]
	s_and_saveexec_b64 s[16:17], vcc
	s_cbranch_execnz .LBB272_242
.LBB272_62:
	s_or_b64 exec, exec, s[16:17]
	s_and_saveexec_b64 s[16:17], s[10:11]
	s_cbranch_execnz .LBB272_243
.LBB272_63:
	s_or_b64 exec, exec, s[16:17]
	s_and_saveexec_b64 s[8:9], s[0:1]
	s_cbranch_execnz .LBB272_244
.LBB272_64:
	s_or_b64 exec, exec, s[8:9]
	s_and_saveexec_b64 s[8:9], s[12:13]
	s_cbranch_execnz .LBB272_245
.LBB272_65:
	s_or_b64 exec, exec, s[8:9]
	s_and_saveexec_b64 s[8:9], s[2:3]
	s_cbranch_execnz .LBB272_246
.LBB272_66:
	s_or_b64 exec, exec, s[8:9]
	s_and_saveexec_b64 s[2:3], s[14:15]
	s_cbranch_execz .LBB272_68
.LBB272_67:
	v_and_b32_e32 v5, 1, v21
	v_cmp_lt_i64_e32 vcc, v[10:11], v[2:3]
	v_cmp_eq_u32_e64 s[0:1], 1, v5
	v_and_b32_e32 v4, 1, v1
	s_and_b64 vcc, s[0:1], vcc
	v_cndmask_b32_e64 v1, v1, 1, s[0:1]
	v_cndmask_b32_e32 v2, v2, v10, vcc
	v_cndmask_b32_e32 v3, v3, v11, vcc
	v_cmp_eq_u32_e32 vcc, 1, v4
	v_cndmask_b32_e32 v1, v21, v1, vcc
	v_cndmask_b32_e32 v3, v11, v3, vcc
	;; [unrolled: 1-line block ×3, first 2 shown]
.LBB272_68:
	s_or_b64 exec, exec, s[2:3]
	v_mbcnt_lo_u32_b32 v4, -1, 0
	v_mbcnt_hi_u32_b32 v6, -1, v4
	v_and_b32_e32 v8, 63, v6
	v_cmp_ne_u32_e32 vcc, 63, v8
	v_addc_co_u32_e32 v4, vcc, 0, v6, vcc
	v_and_b32_e32 v7, 0xffff, v1
	v_lshlrev_b32_e32 v5, 2, v4
	ds_bpermute_b32 v11, v5, v7
	ds_bpermute_b32 v4, v5, v2
	;; [unrolled: 1-line block ×3, first 2 shown]
	s_min_u32 s8, s39, 0x100
	v_and_b32_e32 v9, 0xc0, v0
	v_sub_u32_e64 v10, s8, v9 clamp
	v_add_u32_e32 v9, 1, v8
	v_cmp_lt_u32_e32 vcc, v9, v10
	v_mov_b32_e32 v9, v7
	s_and_saveexec_b64 s[0:1], vcc
	s_xor_b64 s[2:3], exec, s[0:1]
	s_cbranch_execz .LBB272_70
; %bb.69:
	s_waitcnt lgkmcnt(2)
	v_and_b32_e32 v9, 1, v11
	s_waitcnt lgkmcnt(0)
	v_cmp_lt_i64_e32 vcc, v[4:5], v[2:3]
	v_cmp_eq_u32_e64 s[0:1], 1, v9
	v_and_b32_e32 v1, 1, v1
	s_and_b64 vcc, s[0:1], vcc
	v_cndmask_b32_e64 v7, v7, 1, s[0:1]
	v_cndmask_b32_e32 v2, v2, v4, vcc
	v_cndmask_b32_e32 v3, v3, v5, vcc
	v_cmp_eq_u32_e32 vcc, 1, v1
	v_cndmask_b32_e32 v9, v11, v7, vcc
	v_cndmask_b32_e32 v3, v5, v3, vcc
	;; [unrolled: 1-line block ×3, first 2 shown]
	v_and_b32_e32 v7, 0xff, v9
.LBB272_70:
	s_or_b64 exec, exec, s[2:3]
	v_cmp_gt_u32_e32 vcc, 62, v8
	v_cndmask_b32_e64 v1, 0, 1, vcc
	v_lshlrev_b32_e32 v1, 1, v1
	s_waitcnt lgkmcnt(0)
	v_add_lshl_u32 v5, v1, v6, 2
	ds_bpermute_b32 v1, v5, v7
	ds_bpermute_b32 v4, v5, v2
	ds_bpermute_b32 v5, v5, v3
	v_add_u32_e32 v11, 2, v8
	v_cmp_lt_u32_e32 vcc, v11, v10
	s_and_saveexec_b64 s[2:3], vcc
	s_cbranch_execz .LBB272_72
; %bb.71:
	s_waitcnt lgkmcnt(2)
	v_and_b32_e32 v11, 1, v1
	s_waitcnt lgkmcnt(0)
	v_cmp_lt_i64_e32 vcc, v[4:5], v[2:3]
	v_cmp_eq_u32_e64 s[0:1], 1, v11
	v_and_b32_e32 v7, 1, v9
	s_and_b64 vcc, s[0:1], vcc
	v_cndmask_b32_e64 v9, v9, 1, s[0:1]
	v_cndmask_b32_e32 v2, v2, v4, vcc
	v_cndmask_b32_e32 v3, v3, v5, vcc
	v_cmp_eq_u32_e32 vcc, 1, v7
	v_cndmask_b32_e32 v9, v1, v9, vcc
	v_cndmask_b32_e32 v3, v5, v3, vcc
	v_cndmask_b32_e32 v2, v4, v2, vcc
	v_and_b32_e32 v7, 0xff, v9
.LBB272_72:
	s_or_b64 exec, exec, s[2:3]
	v_cmp_gt_u32_e32 vcc, 60, v8
	s_waitcnt lgkmcnt(2)
	v_cndmask_b32_e64 v1, 0, 1, vcc
	v_lshlrev_b32_e32 v1, 2, v1
	s_waitcnt lgkmcnt(0)
	v_add_lshl_u32 v5, v1, v6, 2
	ds_bpermute_b32 v1, v5, v7
	ds_bpermute_b32 v4, v5, v2
	ds_bpermute_b32 v5, v5, v3
	v_add_u32_e32 v11, 4, v8
	v_cmp_lt_u32_e32 vcc, v11, v10
	s_and_saveexec_b64 s[2:3], vcc
	s_cbranch_execz .LBB272_74
; %bb.73:
	s_waitcnt lgkmcnt(2)
	v_and_b32_e32 v11, 1, v1
	s_waitcnt lgkmcnt(0)
	v_cmp_lt_i64_e32 vcc, v[4:5], v[2:3]
	v_cmp_eq_u32_e64 s[0:1], 1, v11
	v_and_b32_e32 v7, 1, v9
	s_and_b64 vcc, s[0:1], vcc
	v_cndmask_b32_e64 v9, v9, 1, s[0:1]
	v_cndmask_b32_e32 v2, v2, v4, vcc
	v_cndmask_b32_e32 v3, v3, v5, vcc
	v_cmp_eq_u32_e32 vcc, 1, v7
	v_cndmask_b32_e32 v9, v1, v9, vcc
	v_cndmask_b32_e32 v3, v5, v3, vcc
	v_cndmask_b32_e32 v2, v4, v2, vcc
	v_and_b32_e32 v7, 0xff, v9
.LBB272_74:
	s_or_b64 exec, exec, s[2:3]
	v_cmp_gt_u32_e32 vcc, 56, v8
	s_waitcnt lgkmcnt(2)
	;; [unrolled: 31-line block ×4, first 2 shown]
	v_cndmask_b32_e64 v1, 0, 1, vcc
	v_lshlrev_b32_e32 v1, 5, v1
	s_waitcnt lgkmcnt(0)
	v_add_lshl_u32 v5, v1, v6, 2
	ds_bpermute_b32 v1, v5, v7
	ds_bpermute_b32 v4, v5, v2
	;; [unrolled: 1-line block ×3, first 2 shown]
	v_add_u32_e32 v8, 32, v8
	v_cmp_lt_u32_e32 vcc, v8, v10
	s_and_saveexec_b64 s[2:3], vcc
	s_cbranch_execz .LBB272_80
; %bb.79:
	s_waitcnt lgkmcnt(2)
	v_and_b32_e32 v8, 1, v1
	s_waitcnt lgkmcnt(0)
	v_cmp_lt_i64_e32 vcc, v[4:5], v[2:3]
	v_cmp_eq_u32_e64 s[0:1], 1, v8
	v_and_b32_e32 v7, 1, v9
	s_and_b64 vcc, s[0:1], vcc
	v_cndmask_b32_e64 v8, v9, 1, s[0:1]
	v_cndmask_b32_e32 v2, v2, v4, vcc
	v_cndmask_b32_e32 v3, v3, v5, vcc
	v_cmp_eq_u32_e32 vcc, 1, v7
	v_cndmask_b32_e32 v9, v1, v8, vcc
	v_cndmask_b32_e32 v3, v5, v3, vcc
	;; [unrolled: 1-line block ×3, first 2 shown]
	v_and_b32_e32 v7, 0xff, v9
.LBB272_80:
	s_or_b64 exec, exec, s[2:3]
	v_cmp_eq_u32_e32 vcc, 0, v6
	s_and_saveexec_b64 s[0:1], vcc
	s_cbranch_execz .LBB272_82
; %bb.81:
	s_waitcnt lgkmcnt(2)
	v_lshrrev_b32_e32 v1, 2, v0
	v_and_b32_e32 v1, 48, v1
	ds_write_b8 v1, v9 offset:256
	ds_write_b64 v1, v[2:3] offset:264
.LBB272_82:
	s_or_b64 exec, exec, s[0:1]
	v_cmp_gt_u32_e32 vcc, 4, v0
	s_waitcnt lgkmcnt(0)
	s_barrier
	s_and_saveexec_b64 s[2:3], vcc
	s_cbranch_execz .LBB272_88
; %bb.83:
	v_lshlrev_b32_e32 v2, 4, v6
	ds_read_u8 v1, v2 offset:256
	ds_read_b64 v[2:3], v2 offset:264
	v_and_b32_e32 v8, 3, v6
	v_cmp_ne_u32_e32 vcc, 3, v8
	v_addc_co_u32_e32 v4, vcc, 0, v6, vcc
	s_waitcnt lgkmcnt(1)
	v_and_b32_e32 v7, 0xff, v1
	v_lshlrev_b32_e32 v5, 2, v4
	ds_bpermute_b32 v9, v5, v7
	s_waitcnt lgkmcnt(1)
	ds_bpermute_b32 v4, v5, v2
	ds_bpermute_b32 v5, v5, v3
	s_add_i32 s8, s8, 63
	s_lshr_b32 s10, s8, 6
	v_add_u32_e32 v10, 1, v8
	v_cmp_gt_u32_e32 vcc, s10, v10
	s_and_saveexec_b64 s[8:9], vcc
	s_cbranch_execz .LBB272_85
; %bb.84:
	s_waitcnt lgkmcnt(2)
	v_and_b32_e32 v10, 1, v9
	s_waitcnt lgkmcnt(0)
	v_cmp_lt_i64_e32 vcc, v[4:5], v[2:3]
	v_cmp_eq_u32_e64 s[0:1], 1, v10
	v_and_b32_e32 v7, 1, v1
	s_and_b64 vcc, s[0:1], vcc
	v_cndmask_b32_e64 v1, v1, 1, s[0:1]
	v_cndmask_b32_e32 v2, v2, v4, vcc
	v_cndmask_b32_e32 v3, v3, v5, vcc
	v_cmp_eq_u32_e32 vcc, 1, v7
	v_cndmask_b32_e32 v1, v9, v1, vcc
	v_cndmask_b32_e32 v3, v5, v3, vcc
	;; [unrolled: 1-line block ×3, first 2 shown]
	v_and_b32_e32 v7, 0xff, v1
.LBB272_85:
	s_or_b64 exec, exec, s[8:9]
	v_cmp_gt_u32_e32 vcc, 2, v8
	s_waitcnt lgkmcnt(1)
	v_cndmask_b32_e64 v4, 0, 1, vcc
	v_lshlrev_b32_e32 v4, 1, v4
	s_waitcnt lgkmcnt(0)
	v_add_lshl_u32 v5, v4, v6, 2
	ds_bpermute_b32 v6, v5, v7
	ds_bpermute_b32 v4, v5, v2
	;; [unrolled: 1-line block ×3, first 2 shown]
	v_add_u32_e32 v8, 2, v8
	v_cmp_gt_u32_e32 vcc, s10, v8
	s_and_saveexec_b64 s[8:9], vcc
	s_cbranch_execz .LBB272_87
; %bb.86:
	s_waitcnt lgkmcnt(2)
	v_and_b32_e32 v8, 1, v6
	s_waitcnt lgkmcnt(0)
	v_cmp_lt_i64_e32 vcc, v[4:5], v[2:3]
	v_cmp_eq_u32_e64 s[0:1], 1, v8
	v_and_b32_e32 v7, 1, v1
	s_and_b64 vcc, s[0:1], vcc
	v_cndmask_b32_e64 v1, v1, 1, s[0:1]
	v_cndmask_b32_e32 v2, v2, v4, vcc
	v_cndmask_b32_e32 v3, v3, v5, vcc
	v_cmp_eq_u32_e32 vcc, 1, v7
	v_cndmask_b32_e32 v1, v6, v1, vcc
	v_cndmask_b32_e32 v3, v5, v3, vcc
	;; [unrolled: 1-line block ×3, first 2 shown]
	v_and_b32_e32 v7, 0xff, v1
.LBB272_87:
	s_or_b64 exec, exec, s[8:9]
.LBB272_88:
	s_or_b64 exec, exec, s[2:3]
.LBB272_89:
	v_cmp_eq_u32_e32 vcc, 0, v0
	s_mov_b64 s[10:11], 0
                                        ; implicit-def: $vgpr4_vgpr5
                                        ; implicit-def: $vgpr1
	s_and_saveexec_b64 s[0:1], vcc
	s_xor_b64 s[8:9], exec, s[0:1]
	s_cbranch_execz .LBB272_93
; %bb.90:
	s_cmp_eq_u64 s[22:23], 0
	s_waitcnt lgkmcnt(0)
	v_pk_mov_b32 v[4:5], s[18:19], s[18:19] op_sel:[0,1]
	v_mov_b32_e32 v1, s33
	s_cbranch_scc1 .LBB272_92
; %bb.91:
	v_and_b32_e32 v1, 1, v7
	s_bitcmp1_b32 s33, 0
	v_mov_b32_e32 v4, s33
	v_cmp_eq_u32_e32 vcc, 1, v1
	v_cmp_gt_i64_e64 s[2:3], s[18:19], v[2:3]
	v_cndmask_b32_e64 v1, v4, 1, vcc
	s_cselect_b64 s[0:1], -1, 0
	v_mov_b32_e32 v4, s18
	s_and_b64 vcc, vcc, s[2:3]
	v_mov_b32_e32 v5, s19
	v_cndmask_b32_e32 v4, v4, v2, vcc
	v_cndmask_b32_e32 v5, v5, v3, vcc
	v_cndmask_b32_e64 v1, v7, v1, s[0:1]
	v_cndmask_b32_e64 v5, v3, v5, s[0:1]
	;; [unrolled: 1-line block ×3, first 2 shown]
.LBB272_92:
	s_mov_b64 s[10:11], exec
.LBB272_93:
	s_or_b64 exec, exec, s[8:9]
	s_and_b64 vcc, exec, s[28:29]
	s_cbranch_vccnz .LBB272_24
.LBB272_94:
	s_branch .LBB272_208
.LBB272_95:
                                        ; implicit-def: $vgpr2_vgpr3
                                        ; implicit-def: $vgpr6
	s_cbranch_execz .LBB272_128
; %bb.96:
	s_sub_i32 s30, s22, s16
	s_waitcnt lgkmcnt(0)
	v_pk_mov_b32 v[4:5], 0, 0
	v_cmp_gt_u32_e32 vcc, s30, v0
	v_mov_b32_e32 v1, 0
	v_pk_mov_b32 v[2:3], v[4:5], v[4:5] op_sel:[0,1]
	v_mov_b32_e32 v10, 0
	s_and_saveexec_b64 s[0:1], vcc
	s_cbranch_execz .LBB272_98
; %bb.97:
	v_lshlrev_b32_e32 v2, 2, v0
	global_load_dword v6, v2, s[12:13]
	global_load_dword v7, v2, s[14:15]
	v_mov_b32_e32 v3, s29
	v_add_co_u32_e32 v2, vcc, s28, v0
	v_addc_co_u32_e32 v3, vcc, 0, v3, vcc
	s_waitcnt vmcnt(0)
	v_cmp_ne_u32_e32 vcc, v6, v7
	v_cndmask_b32_e64 v10, 0, 1, vcc
.LBB272_98:
	s_or_b64 exec, exec, s[0:1]
	v_or_b32_e32 v6, 0x100, v0
	v_cmp_gt_u32_e64 s[0:1], s30, v6
	s_and_saveexec_b64 s[2:3], s[0:1]
	s_cbranch_execz .LBB272_100
; %bb.99:
	v_lshlrev_b32_e32 v1, 2, v0
	global_load_dword v7, v1, s[12:13] offset:1024
	global_load_dword v8, v1, s[14:15] offset:1024
	v_mov_b32_e32 v1, s29
	v_add_co_u32_e32 v4, vcc, s28, v6
	v_addc_co_u32_e32 v5, vcc, 0, v1, vcc
	s_waitcnt vmcnt(0)
	v_cmp_ne_u32_e32 vcc, v7, v8
	v_cndmask_b32_e64 v1, 0, 1, vcc
.LBB272_100:
	s_or_b64 exec, exec, s[2:3]
	v_or_b32_e32 v13, 0x200, v0
	v_pk_mov_b32 v[6:7], 0, 0
	v_cmp_gt_u32_e32 vcc, s30, v13
	v_mov_b32_e32 v11, 0
	v_pk_mov_b32 v[8:9], v[6:7], v[6:7] op_sel:[0,1]
	v_mov_b32_e32 v12, 0
	s_and_saveexec_b64 s[8:9], vcc
	s_cbranch_execz .LBB272_102
; %bb.101:
	v_lshlrev_b32_e32 v8, 2, v0
	global_load_dword v12, v8, s[12:13] offset:2048
	global_load_dword v14, v8, s[14:15] offset:2048
	v_mov_b32_e32 v9, s29
	v_add_co_u32_e64 v8, s[2:3], s28, v13
	v_addc_co_u32_e64 v9, s[2:3], 0, v9, s[2:3]
	s_waitcnt vmcnt(0)
	v_cmp_ne_u32_e64 s[2:3], v12, v14
	v_cndmask_b32_e64 v12, 0, 1, s[2:3]
.LBB272_102:
	s_or_b64 exec, exec, s[8:9]
	v_or_b32_e32 v13, 0x300, v0
	v_cmp_gt_u32_e64 s[2:3], s30, v13
	s_and_saveexec_b64 s[16:17], s[2:3]
	s_cbranch_execnz .LBB272_247
; %bb.103:
	s_or_b64 exec, exec, s[16:17]
	s_and_saveexec_b64 s[12:13], s[0:1]
	s_cbranch_execnz .LBB272_248
.LBB272_104:
	s_or_b64 exec, exec, s[12:13]
	s_and_saveexec_b64 s[8:9], vcc
	s_cbranch_execnz .LBB272_249
.LBB272_105:
	s_or_b64 exec, exec, s[8:9]
	s_and_saveexec_b64 s[8:9], s[2:3]
	s_cbranch_execz .LBB272_107
.LBB272_106:
	v_and_b32_e32 v4, 1, v11
	v_cmp_lt_i64_e32 vcc, v[6:7], v[2:3]
	v_cmp_eq_u32_e64 s[0:1], 1, v4
	v_and_b32_e32 v1, 1, v10
	s_and_b64 vcc, s[0:1], vcc
	v_cndmask_b32_e64 v4, v10, 1, s[0:1]
	v_cndmask_b32_e32 v2, v2, v6, vcc
	v_cndmask_b32_e32 v3, v3, v7, vcc
	v_cmp_eq_u32_e32 vcc, 1, v1
	v_cndmask_b32_e32 v10, v11, v4, vcc
	v_cndmask_b32_e32 v3, v7, v3, vcc
	;; [unrolled: 1-line block ×3, first 2 shown]
.LBB272_107:
	s_or_b64 exec, exec, s[8:9]
	v_mbcnt_lo_u32_b32 v1, -1, 0
	v_mbcnt_hi_u32_b32 v1, -1, v1
	v_and_b32_e32 v7, 63, v1
	v_cmp_ne_u32_e32 vcc, 63, v7
	v_addc_co_u32_e32 v4, vcc, 0, v1, vcc
	v_and_b32_e32 v6, 0xffff, v10
	v_lshlrev_b32_e32 v5, 2, v4
	ds_bpermute_b32 v11, v5, v6
	ds_bpermute_b32 v4, v5, v2
	;; [unrolled: 1-line block ×3, first 2 shown]
	s_min_u32 s8, s30, 0x100
	v_and_b32_e32 v8, 0xc0, v0
	v_sub_u32_e64 v9, s8, v8 clamp
	v_add_u32_e32 v8, 1, v7
	v_cmp_lt_u32_e32 vcc, v8, v9
	v_mov_b32_e32 v8, v6
	s_and_saveexec_b64 s[0:1], vcc
	s_xor_b64 s[2:3], exec, s[0:1]
	s_cbranch_execz .LBB272_109
; %bb.108:
	v_and_b32_e32 v8, 1, v10
	s_waitcnt lgkmcnt(2)
	v_and_b32_e32 v10, 1, v11
	s_waitcnt lgkmcnt(0)
	v_cmp_lt_i64_e32 vcc, v[4:5], v[2:3]
	v_cmp_eq_u32_e64 s[0:1], 1, v10
	s_and_b64 vcc, s[0:1], vcc
	v_cndmask_b32_e64 v6, v6, 1, s[0:1]
	v_cndmask_b32_e32 v2, v2, v4, vcc
	v_cndmask_b32_e32 v3, v3, v5, vcc
	v_cmp_eq_u32_e32 vcc, 1, v8
	v_cndmask_b32_e32 v8, v11, v6, vcc
	v_cndmask_b32_e32 v3, v5, v3, vcc
	;; [unrolled: 1-line block ×3, first 2 shown]
	v_and_b32_e32 v6, 0xff, v8
.LBB272_109:
	s_or_b64 exec, exec, s[2:3]
	v_cmp_gt_u32_e32 vcc, 62, v7
	s_waitcnt lgkmcnt(1)
	v_cndmask_b32_e64 v4, 0, 1, vcc
	v_lshlrev_b32_e32 v4, 1, v4
	s_waitcnt lgkmcnt(0)
	v_add_lshl_u32 v5, v4, v1, 2
	ds_bpermute_b32 v10, v5, v6
	ds_bpermute_b32 v4, v5, v2
	ds_bpermute_b32 v5, v5, v3
	v_add_u32_e32 v11, 2, v7
	v_cmp_lt_u32_e32 vcc, v11, v9
	s_and_saveexec_b64 s[2:3], vcc
	s_cbranch_execz .LBB272_111
; %bb.110:
	s_waitcnt lgkmcnt(2)
	v_and_b32_e32 v11, 1, v10
	s_waitcnt lgkmcnt(0)
	v_cmp_lt_i64_e32 vcc, v[4:5], v[2:3]
	v_cmp_eq_u32_e64 s[0:1], 1, v11
	v_and_b32_e32 v6, 1, v8
	s_and_b64 vcc, s[0:1], vcc
	v_cndmask_b32_e64 v8, v8, 1, s[0:1]
	v_cndmask_b32_e32 v2, v2, v4, vcc
	v_cndmask_b32_e32 v3, v3, v5, vcc
	v_cmp_eq_u32_e32 vcc, 1, v6
	v_cndmask_b32_e32 v8, v10, v8, vcc
	v_cndmask_b32_e32 v3, v5, v3, vcc
	v_cndmask_b32_e32 v2, v4, v2, vcc
	v_and_b32_e32 v6, 0xff, v8
.LBB272_111:
	s_or_b64 exec, exec, s[2:3]
	v_cmp_gt_u32_e32 vcc, 60, v7
	s_waitcnt lgkmcnt(1)
	v_cndmask_b32_e64 v4, 0, 1, vcc
	v_lshlrev_b32_e32 v4, 2, v4
	s_waitcnt lgkmcnt(0)
	v_add_lshl_u32 v5, v4, v1, 2
	ds_bpermute_b32 v10, v5, v6
	ds_bpermute_b32 v4, v5, v2
	ds_bpermute_b32 v5, v5, v3
	v_add_u32_e32 v11, 4, v7
	v_cmp_lt_u32_e32 vcc, v11, v9
	s_and_saveexec_b64 s[2:3], vcc
	s_cbranch_execz .LBB272_113
; %bb.112:
	s_waitcnt lgkmcnt(2)
	v_and_b32_e32 v11, 1, v10
	s_waitcnt lgkmcnt(0)
	v_cmp_lt_i64_e32 vcc, v[4:5], v[2:3]
	v_cmp_eq_u32_e64 s[0:1], 1, v11
	v_and_b32_e32 v6, 1, v8
	s_and_b64 vcc, s[0:1], vcc
	v_cndmask_b32_e64 v8, v8, 1, s[0:1]
	v_cndmask_b32_e32 v2, v2, v4, vcc
	v_cndmask_b32_e32 v3, v3, v5, vcc
	v_cmp_eq_u32_e32 vcc, 1, v6
	v_cndmask_b32_e32 v8, v10, v8, vcc
	v_cndmask_b32_e32 v3, v5, v3, vcc
	v_cndmask_b32_e32 v2, v4, v2, vcc
	v_and_b32_e32 v6, 0xff, v8
.LBB272_113:
	;; [unrolled: 31-line block ×5, first 2 shown]
	s_or_b64 exec, exec, s[2:3]
	v_cmp_eq_u32_e32 vcc, 0, v1
	s_and_saveexec_b64 s[0:1], vcc
	s_cbranch_execz .LBB272_121
; %bb.120:
	s_waitcnt lgkmcnt(1)
	v_lshrrev_b32_e32 v4, 2, v0
	v_and_b32_e32 v4, 48, v4
	ds_write_b8 v4, v8 offset:256
	ds_write_b64 v4, v[2:3] offset:264
.LBB272_121:
	s_or_b64 exec, exec, s[0:1]
	v_cmp_gt_u32_e32 vcc, 4, v0
	s_waitcnt lgkmcnt(0)
	s_barrier
	s_and_saveexec_b64 s[2:3], vcc
	s_cbranch_execz .LBB272_127
; %bb.122:
	v_lshlrev_b32_e32 v2, 4, v1
	ds_read_u8 v7, v2 offset:256
	ds_read_b64 v[2:3], v2 offset:264
	v_and_b32_e32 v8, 3, v1
	v_cmp_ne_u32_e32 vcc, 3, v8
	v_addc_co_u32_e32 v4, vcc, 0, v1, vcc
	s_waitcnt lgkmcnt(1)
	v_and_b32_e32 v6, 0xff, v7
	v_lshlrev_b32_e32 v5, 2, v4
	ds_bpermute_b32 v9, v5, v6
	s_waitcnt lgkmcnt(1)
	ds_bpermute_b32 v4, v5, v2
	ds_bpermute_b32 v5, v5, v3
	s_add_i32 s8, s8, 63
	s_lshr_b32 s12, s8, 6
	v_add_u32_e32 v10, 1, v8
	v_cmp_gt_u32_e32 vcc, s12, v10
	s_and_saveexec_b64 s[8:9], vcc
	s_cbranch_execz .LBB272_124
; %bb.123:
	s_waitcnt lgkmcnt(2)
	v_and_b32_e32 v10, 1, v9
	s_waitcnt lgkmcnt(0)
	v_cmp_lt_i64_e32 vcc, v[4:5], v[2:3]
	v_cmp_eq_u32_e64 s[0:1], 1, v10
	v_and_b32_e32 v6, 1, v7
	s_and_b64 vcc, s[0:1], vcc
	v_cndmask_b32_e64 v7, v7, 1, s[0:1]
	v_cndmask_b32_e32 v2, v2, v4, vcc
	v_cndmask_b32_e32 v3, v3, v5, vcc
	v_cmp_eq_u32_e32 vcc, 1, v6
	v_cndmask_b32_e32 v7, v9, v7, vcc
	v_cndmask_b32_e32 v3, v5, v3, vcc
	;; [unrolled: 1-line block ×3, first 2 shown]
	v_and_b32_e32 v6, 0xff, v7
.LBB272_124:
	s_or_b64 exec, exec, s[8:9]
	v_cmp_gt_u32_e32 vcc, 2, v8
	s_waitcnt lgkmcnt(1)
	v_cndmask_b32_e64 v4, 0, 1, vcc
	v_lshlrev_b32_e32 v4, 1, v4
	s_waitcnt lgkmcnt(0)
	v_add_lshl_u32 v5, v4, v1, 2
	ds_bpermute_b32 v1, v5, v6
	ds_bpermute_b32 v4, v5, v2
	;; [unrolled: 1-line block ×3, first 2 shown]
	v_add_u32_e32 v8, 2, v8
	v_cmp_gt_u32_e32 vcc, s12, v8
	s_and_saveexec_b64 s[8:9], vcc
	s_cbranch_execz .LBB272_126
; %bb.125:
	s_waitcnt lgkmcnt(2)
	v_and_b32_e32 v8, 1, v1
	s_waitcnt lgkmcnt(0)
	v_cmp_lt_i64_e32 vcc, v[4:5], v[2:3]
	v_cmp_eq_u32_e64 s[0:1], 1, v8
	v_and_b32_e32 v6, 1, v7
	s_and_b64 vcc, s[0:1], vcc
	v_cndmask_b32_e64 v7, v7, 1, s[0:1]
	v_cndmask_b32_e32 v2, v2, v4, vcc
	v_cndmask_b32_e32 v3, v3, v5, vcc
	v_cmp_eq_u32_e32 vcc, 1, v6
	v_cndmask_b32_e32 v1, v1, v7, vcc
	v_cndmask_b32_e32 v3, v5, v3, vcc
	;; [unrolled: 1-line block ×3, first 2 shown]
	v_and_b32_e32 v6, 0xff, v1
.LBB272_126:
	s_or_b64 exec, exec, s[8:9]
.LBB272_127:
	s_or_b64 exec, exec, s[2:3]
.LBB272_128:
	v_cmp_eq_u32_e32 vcc, 0, v0
                                        ; implicit-def: $vgpr4_vgpr5
                                        ; implicit-def: $vgpr1
	s_and_saveexec_b64 s[0:1], vcc
	s_xor_b64 s[8:9], exec, s[0:1]
	s_cbranch_execz .LBB272_132
; %bb.129:
	s_cmp_eq_u64 s[22:23], 0
	s_waitcnt lgkmcnt(0)
	v_pk_mov_b32 v[4:5], s[18:19], s[18:19] op_sel:[0,1]
	v_mov_b32_e32 v1, s33
	s_cbranch_scc1 .LBB272_131
; %bb.130:
	v_and_b32_e32 v1, 1, v6
	s_bitcmp1_b32 s33, 0
	v_mov_b32_e32 v4, s33
	v_cmp_eq_u32_e32 vcc, 1, v1
	v_cmp_gt_i64_e64 s[2:3], s[18:19], v[2:3]
	v_cndmask_b32_e64 v1, v4, 1, vcc
	s_cselect_b64 s[0:1], -1, 0
	v_mov_b32_e32 v4, s18
	s_and_b64 vcc, vcc, s[2:3]
	v_mov_b32_e32 v5, s19
	v_cndmask_b32_e32 v4, v4, v2, vcc
	v_cndmask_b32_e32 v5, v5, v3, vcc
	v_cndmask_b32_e64 v1, v6, v1, s[0:1]
	v_cndmask_b32_e64 v5, v3, v5, s[0:1]
	;; [unrolled: 1-line block ×3, first 2 shown]
.LBB272_131:
	s_or_b64 s[10:11], s[10:11], exec
.LBB272_132:
	s_or_b64 exec, exec, s[8:9]
	s_branch .LBB272_208
.LBB272_133:
	s_cmp_gt_i32 s36, 1
	s_cbranch_scc0 .LBB272_153
; %bb.134:
	s_cmp_eq_u32 s36, 2
	s_cbranch_scc0 .LBB272_154
; %bb.135:
	s_mov_b32 s7, 0
	s_lshl_b32 s12, s6, 9
	s_mov_b32 s13, s7
	s_lshr_b64 s[0:1], s[22:23], 9
	s_lshl_b64 s[8:9], s[12:13], 2
	s_add_u32 s2, s24, s8
	s_addc_u32 s3, s25, s9
	s_add_u32 s8, s26, s8
	s_addc_u32 s9, s27, s9
	s_add_u32 s16, s20, s12
	s_addc_u32 s17, s21, 0
	s_cmp_lg_u64 s[0:1], s[6:7]
	s_cbranch_scc0 .LBB272_155
; %bb.136:
	s_waitcnt lgkmcnt(2)
	v_lshlrev_b32_e32 v1, 2, v0
	global_load_dword v2, v1, s[8:9] offset:1024
	global_load_dword v3, v1, s[8:9]
	s_waitcnt lgkmcnt(1)
	global_load_dword v4, v1, s[2:3] offset:1024
	s_waitcnt lgkmcnt(0)
	global_load_dword v5, v1, s[2:3]
	v_mov_b32_e32 v1, s17
	v_add_co_u32_e32 v6, vcc, s16, v0
	v_addc_co_u32_e32 v1, vcc, 0, v1, vcc
	v_add_co_u32_e32 v7, vcc, 0x100, v6
	v_addc_co_u32_e32 v8, vcc, 0, v1, vcc
	s_waitcnt vmcnt(1)
	v_cmp_ne_u32_e32 vcc, v4, v2
	s_waitcnt vmcnt(0)
	v_cmp_ne_u32_e64 s[0:1], v5, v3
	v_cndmask_b32_e64 v3, v8, v1, s[0:1]
	v_cndmask_b32_e64 v2, v7, v6, s[0:1]
	s_or_b64 s[0:1], s[0:1], vcc
	v_cndmask_b32_e64 v1, 0, 1, s[0:1]
	v_mov_b32_dpp v4, v2 quad_perm:[1,0,3,2] row_mask:0xf bank_mask:0xf bound_ctrl:1
	v_mov_b32_dpp v5, v3 quad_perm:[1,0,3,2] row_mask:0xf bank_mask:0xf bound_ctrl:1
	;; [unrolled: 1-line block ×3, first 2 shown]
	v_and_b32_e32 v7, 1, v6
	v_cmp_eq_u32_e32 vcc, 1, v7
	s_and_saveexec_b64 s[14:15], vcc
; %bb.137:
	v_cmp_lt_i64_e32 vcc, v[2:3], v[4:5]
	v_cndmask_b32_e64 v6, v6, 1, s[0:1]
	s_and_b64 vcc, s[0:1], vcc
	v_cndmask_b32_e32 v2, v4, v2, vcc
	v_and_b32_e32 v4, 1, v6
	v_cndmask_b32_e32 v3, v5, v3, vcc
	v_cmp_eq_u32_e32 vcc, 1, v4
	s_andn2_b64 s[0:1], s[0:1], exec
	s_and_b64 s[28:29], vcc, exec
	v_and_b32_e32 v1, 0xff, v6
	s_or_b64 s[0:1], s[0:1], s[28:29]
; %bb.138:
	s_or_b64 exec, exec, s[14:15]
	v_mov_b32_dpp v6, v1 quad_perm:[2,3,0,1] row_mask:0xf bank_mask:0xf bound_ctrl:1
	v_and_b32_e32 v7, 1, v6
	v_mov_b32_dpp v4, v2 quad_perm:[2,3,0,1] row_mask:0xf bank_mask:0xf bound_ctrl:1
	v_mov_b32_dpp v5, v3 quad_perm:[2,3,0,1] row_mask:0xf bank_mask:0xf bound_ctrl:1
	v_cmp_eq_u32_e32 vcc, 1, v7
	s_and_saveexec_b64 s[14:15], vcc
; %bb.139:
	v_cmp_lt_i64_e32 vcc, v[2:3], v[4:5]
	v_cndmask_b32_e64 v6, v6, 1, s[0:1]
	s_and_b64 vcc, s[0:1], vcc
	v_cndmask_b32_e32 v2, v4, v2, vcc
	v_and_b32_e32 v4, 1, v6
	v_cndmask_b32_e32 v3, v5, v3, vcc
	v_cmp_eq_u32_e32 vcc, 1, v4
	s_andn2_b64 s[0:1], s[0:1], exec
	s_and_b64 s[28:29], vcc, exec
	v_and_b32_e32 v1, 0xff, v6
	s_or_b64 s[0:1], s[0:1], s[28:29]
; %bb.140:
	s_or_b64 exec, exec, s[14:15]
	v_mov_b32_dpp v6, v1 row_ror:4 row_mask:0xf bank_mask:0xf bound_ctrl:1
	v_and_b32_e32 v7, 1, v6
	v_mov_b32_dpp v4, v2 row_ror:4 row_mask:0xf bank_mask:0xf bound_ctrl:1
	v_mov_b32_dpp v5, v3 row_ror:4 row_mask:0xf bank_mask:0xf bound_ctrl:1
	v_cmp_eq_u32_e32 vcc, 1, v7
	s_and_saveexec_b64 s[14:15], vcc
; %bb.141:
	v_cmp_lt_i64_e32 vcc, v[2:3], v[4:5]
	v_cndmask_b32_e64 v6, v6, 1, s[0:1]
	s_and_b64 vcc, s[0:1], vcc
	v_cndmask_b32_e32 v2, v4, v2, vcc
	v_and_b32_e32 v4, 1, v6
	v_cndmask_b32_e32 v3, v5, v3, vcc
	v_cmp_eq_u32_e32 vcc, 1, v4
	s_andn2_b64 s[0:1], s[0:1], exec
	s_and_b64 s[28:29], vcc, exec
	v_and_b32_e32 v1, 0xff, v6
	s_or_b64 s[0:1], s[0:1], s[28:29]
; %bb.142:
	s_or_b64 exec, exec, s[14:15]
	v_mov_b32_dpp v6, v1 row_ror:8 row_mask:0xf bank_mask:0xf bound_ctrl:1
	v_and_b32_e32 v7, 1, v6
	v_mov_b32_dpp v4, v2 row_ror:8 row_mask:0xf bank_mask:0xf bound_ctrl:1
	v_mov_b32_dpp v5, v3 row_ror:8 row_mask:0xf bank_mask:0xf bound_ctrl:1
	v_cmp_eq_u32_e32 vcc, 1, v7
	s_and_saveexec_b64 s[14:15], vcc
; %bb.143:
	v_cmp_lt_i64_e32 vcc, v[2:3], v[4:5]
	v_cndmask_b32_e64 v6, v6, 1, s[0:1]
	s_and_b64 vcc, s[0:1], vcc
	v_cndmask_b32_e32 v2, v4, v2, vcc
	v_and_b32_e32 v4, 1, v6
	v_cndmask_b32_e32 v3, v5, v3, vcc
	v_cmp_eq_u32_e32 vcc, 1, v4
	s_andn2_b64 s[0:1], s[0:1], exec
	s_and_b64 s[28:29], vcc, exec
	v_and_b32_e32 v1, 0xff, v6
	s_or_b64 s[0:1], s[0:1], s[28:29]
; %bb.144:
	s_or_b64 exec, exec, s[14:15]
	v_mov_b32_dpp v6, v1 row_bcast:15 row_mask:0xf bank_mask:0xf bound_ctrl:1
	v_and_b32_e32 v7, 1, v6
	v_mov_b32_dpp v4, v2 row_bcast:15 row_mask:0xf bank_mask:0xf bound_ctrl:1
	v_mov_b32_dpp v5, v3 row_bcast:15 row_mask:0xf bank_mask:0xf bound_ctrl:1
	v_cmp_eq_u32_e32 vcc, 1, v7
	s_and_saveexec_b64 s[14:15], vcc
; %bb.145:
	v_cmp_lt_i64_e32 vcc, v[2:3], v[4:5]
	v_cndmask_b32_e64 v6, v6, 1, s[0:1]
	s_and_b64 vcc, s[0:1], vcc
	v_cndmask_b32_e32 v2, v4, v2, vcc
	v_and_b32_e32 v4, 1, v6
	v_cndmask_b32_e32 v3, v5, v3, vcc
	v_cmp_eq_u32_e32 vcc, 1, v4
	s_andn2_b64 s[0:1], s[0:1], exec
	s_and_b64 s[28:29], vcc, exec
	v_and_b32_e32 v1, 0xff, v6
	s_or_b64 s[0:1], s[0:1], s[28:29]
; %bb.146:
	s_or_b64 exec, exec, s[14:15]
	v_mov_b32_dpp v6, v1 row_bcast:31 row_mask:0xf bank_mask:0xf bound_ctrl:1
	v_and_b32_e32 v7, 1, v6
	v_mov_b32_dpp v4, v2 row_bcast:31 row_mask:0xf bank_mask:0xf bound_ctrl:1
	v_mov_b32_dpp v5, v3 row_bcast:31 row_mask:0xf bank_mask:0xf bound_ctrl:1
	v_cmp_eq_u32_e32 vcc, 1, v7
	s_and_saveexec_b64 s[14:15], vcc
; %bb.147:
	v_cmp_lt_i64_e32 vcc, v[2:3], v[4:5]
	v_and_b32_e32 v1, 0xff, v6
	s_and_b64 vcc, s[0:1], vcc
	v_cndmask_b32_e32 v2, v4, v2, vcc
	v_cndmask_b32_e32 v3, v5, v3, vcc
	v_cndmask_b32_e64 v1, v1, 1, s[0:1]
; %bb.148:
	s_or_b64 exec, exec, s[14:15]
	v_mbcnt_lo_u32_b32 v4, -1, 0
	v_mbcnt_hi_u32_b32 v4, -1, v4
	v_bfrev_b32_e32 v5, 0.5
	v_lshl_or_b32 v5, v4, 2, v5
	ds_bpermute_b32 v6, v5, v1
	ds_bpermute_b32 v2, v5, v2
	;; [unrolled: 1-line block ×3, first 2 shown]
	v_cmp_eq_u32_e32 vcc, 0, v4
	s_and_saveexec_b64 s[0:1], vcc
	s_cbranch_execz .LBB272_150
; %bb.149:
	v_lshrrev_b32_e32 v1, 2, v0
	v_and_b32_e32 v1, 48, v1
	s_waitcnt lgkmcnt(2)
	ds_write_b8 v1, v6 offset:64
	s_waitcnt lgkmcnt(1)
	ds_write_b64 v1, v[2:3] offset:72
.LBB272_150:
	s_or_b64 exec, exec, s[0:1]
	v_cmp_gt_u32_e32 vcc, 64, v0
	s_waitcnt lgkmcnt(0)
	s_barrier
	s_and_saveexec_b64 s[14:15], vcc
	s_cbranch_execz .LBB272_152
; %bb.151:
	v_and_b32_e32 v1, 3, v4
	v_lshlrev_b32_e32 v2, 4, v1
	ds_read_u8 v5, v2 offset:64
	ds_read_b64 v[2:3], v2 offset:72
	v_cmp_ne_u32_e32 vcc, 3, v1
	v_addc_co_u32_e32 v6, vcc, 0, v4, vcc
	s_waitcnt lgkmcnt(1)
	v_and_b32_e32 v7, 0xff, v5
	v_lshlrev_b32_e32 v8, 2, v6
	ds_bpermute_b32 v9, v8, v7
	s_waitcnt lgkmcnt(1)
	ds_bpermute_b32 v6, v8, v2
	ds_bpermute_b32 v7, v8, v3
	v_and_b32_e32 v8, 1, v5
	s_waitcnt lgkmcnt(2)
	v_and_b32_e32 v10, 1, v9
	v_cmp_eq_u32_e64 s[0:1], 1, v10
	s_waitcnt lgkmcnt(0)
	v_cmp_lt_i64_e32 vcc, v[6:7], v[2:3]
	s_and_b64 vcc, s[0:1], vcc
	v_cndmask_b32_e64 v5, v5, 1, s[0:1]
	v_cndmask_b32_e32 v2, v2, v6, vcc
	v_cndmask_b32_e32 v3, v3, v7, vcc
	v_cmp_eq_u32_e32 vcc, 1, v8
	v_cndmask_b32_e32 v8, v9, v5, vcc
	v_cndmask_b32_e32 v3, v7, v3, vcc
	;; [unrolled: 1-line block ×3, first 2 shown]
	v_cmp_gt_u32_e32 vcc, 2, v1
	v_cndmask_b32_e64 v1, 0, 1, vcc
	v_lshlrev_b32_e32 v1, 1, v1
	v_and_b32_e32 v5, 0xff, v8
	v_add_lshl_u32 v1, v1, v4, 2
	ds_bpermute_b32 v6, v1, v5
	ds_bpermute_b32 v4, v1, v2
	;; [unrolled: 1-line block ×3, first 2 shown]
	v_and_b32_e32 v1, 1, v8
	s_waitcnt lgkmcnt(2)
	v_and_b32_e32 v7, 1, v6
	v_cmp_eq_u32_e64 s[0:1], 1, v7
	s_waitcnt lgkmcnt(0)
	v_cmp_lt_i64_e32 vcc, v[4:5], v[2:3]
	s_and_b64 vcc, s[0:1], vcc
	v_cndmask_b32_e64 v7, v8, 1, s[0:1]
	v_cndmask_b32_e32 v2, v2, v4, vcc
	v_cndmask_b32_e32 v3, v3, v5, vcc
	v_cmp_eq_u32_e32 vcc, 1, v1
	v_cndmask_b32_e32 v1, v6, v7, vcc
	v_cndmask_b32_e32 v3, v5, v3, vcc
	;; [unrolled: 1-line block ×3, first 2 shown]
	v_and_b32_e32 v6, 0xff, v1
.LBB272_152:
	s_or_b64 exec, exec, s[14:15]
	s_branch .LBB272_183
.LBB272_153:
                                        ; implicit-def: $vgpr4_vgpr5
                                        ; implicit-def: $vgpr1
	s_cbranch_execnz .LBB272_188
	s_branch .LBB272_208
.LBB272_154:
                                        ; implicit-def: $vgpr4_vgpr5
                                        ; implicit-def: $vgpr1
	s_branch .LBB272_208
.LBB272_155:
                                        ; implicit-def: $vgpr2_vgpr3
                                        ; implicit-def: $vgpr6
	s_cbranch_execz .LBB272_183
; %bb.156:
	s_sub_i32 s14, s22, s12
	s_waitcnt lgkmcnt(0)
	v_pk_mov_b32 v[4:5], 0, 0
	v_cmp_gt_u32_e32 vcc, s14, v0
	v_mov_b32_e32 v1, 0
	v_pk_mov_b32 v[2:3], v[4:5], v[4:5] op_sel:[0,1]
	v_mov_b32_e32 v7, 0
	s_and_saveexec_b64 s[0:1], vcc
	s_cbranch_execz .LBB272_158
; %bb.157:
	v_lshlrev_b32_e32 v2, 2, v0
	global_load_dword v6, v2, s[2:3]
	global_load_dword v7, v2, s[8:9]
	v_mov_b32_e32 v3, s17
	v_add_co_u32_e32 v2, vcc, s16, v0
	v_addc_co_u32_e32 v3, vcc, 0, v3, vcc
	s_waitcnt vmcnt(0)
	v_cmp_ne_u32_e32 vcc, v6, v7
	v_cndmask_b32_e64 v7, 0, 1, vcc
.LBB272_158:
	s_or_b64 exec, exec, s[0:1]
	v_or_b32_e32 v6, 0x100, v0
	v_cmp_gt_u32_e32 vcc, s14, v6
	s_and_saveexec_b64 s[12:13], vcc
	s_cbranch_execz .LBB272_160
; %bb.159:
	v_lshlrev_b32_e32 v1, 2, v0
	global_load_dword v8, v1, s[2:3] offset:1024
	global_load_dword v9, v1, s[8:9] offset:1024
	v_mov_b32_e32 v1, s17
	v_add_co_u32_e64 v4, s[0:1], s16, v6
	v_addc_co_u32_e64 v5, s[0:1], 0, v1, s[0:1]
	s_waitcnt vmcnt(0)
	v_cmp_ne_u32_e64 s[0:1], v8, v9
	v_cndmask_b32_e64 v1, 0, 1, s[0:1]
.LBB272_160:
	s_or_b64 exec, exec, s[12:13]
	s_and_saveexec_b64 s[2:3], vcc
	s_cbranch_execz .LBB272_162
; %bb.161:
	v_and_b32_e32 v8, 1, v1
	v_cmp_lt_i64_e32 vcc, v[4:5], v[2:3]
	v_cmp_eq_u32_e64 s[0:1], 1, v8
	v_and_b32_e32 v6, 1, v7
	s_and_b64 vcc, s[0:1], vcc
	v_cndmask_b32_e64 v7, v7, 1, s[0:1]
	v_cndmask_b32_e32 v2, v2, v4, vcc
	v_cndmask_b32_e32 v3, v3, v5, vcc
	v_cmp_eq_u32_e32 vcc, 1, v6
	v_cndmask_b32_e32 v7, v1, v7, vcc
	v_cndmask_b32_e32 v3, v5, v3, vcc
	;; [unrolled: 1-line block ×3, first 2 shown]
.LBB272_162:
	s_or_b64 exec, exec, s[2:3]
	v_mbcnt_lo_u32_b32 v1, -1, 0
	v_mbcnt_hi_u32_b32 v1, -1, v1
	v_and_b32_e32 v8, 63, v1
	v_cmp_ne_u32_e32 vcc, 63, v8
	v_addc_co_u32_e32 v4, vcc, 0, v1, vcc
	v_and_b32_e32 v6, 0xffff, v7
	v_lshlrev_b32_e32 v5, 2, v4
	ds_bpermute_b32 v10, v5, v6
	ds_bpermute_b32 v4, v5, v2
	;; [unrolled: 1-line block ×3, first 2 shown]
	s_min_u32 s8, s14, 0x100
	v_and_b32_e32 v9, 0xc0, v0
	v_sub_u32_e64 v9, s8, v9 clamp
	v_add_u32_e32 v11, 1, v8
	v_cmp_lt_u32_e32 vcc, v11, v9
	s_and_saveexec_b64 s[2:3], vcc
	s_cbranch_execz .LBB272_164
; %bb.163:
	s_waitcnt lgkmcnt(2)
	v_and_b32_e32 v11, 1, v10
	s_waitcnt lgkmcnt(0)
	v_cmp_lt_i64_e32 vcc, v[4:5], v[2:3]
	v_cmp_eq_u32_e64 s[0:1], 1, v11
	v_and_b32_e32 v6, 1, v7
	s_and_b64 vcc, s[0:1], vcc
	v_cndmask_b32_e64 v7, v7, 1, s[0:1]
	v_cndmask_b32_e32 v2, v2, v4, vcc
	v_cndmask_b32_e32 v3, v3, v5, vcc
	v_cmp_eq_u32_e32 vcc, 1, v6
	v_cndmask_b32_e32 v7, v10, v7, vcc
	v_cndmask_b32_e32 v3, v5, v3, vcc
	v_cndmask_b32_e32 v2, v4, v2, vcc
	v_and_b32_e32 v6, 0xff, v7
.LBB272_164:
	s_or_b64 exec, exec, s[2:3]
	v_cmp_gt_u32_e32 vcc, 62, v8
	s_waitcnt lgkmcnt(1)
	v_cndmask_b32_e64 v4, 0, 1, vcc
	v_lshlrev_b32_e32 v4, 1, v4
	s_waitcnt lgkmcnt(0)
	v_add_lshl_u32 v5, v4, v1, 2
	ds_bpermute_b32 v10, v5, v6
	ds_bpermute_b32 v4, v5, v2
	ds_bpermute_b32 v5, v5, v3
	v_add_u32_e32 v11, 2, v8
	v_cmp_lt_u32_e32 vcc, v11, v9
	s_and_saveexec_b64 s[2:3], vcc
	s_cbranch_execz .LBB272_166
; %bb.165:
	s_waitcnt lgkmcnt(2)
	v_and_b32_e32 v11, 1, v10
	s_waitcnt lgkmcnt(0)
	v_cmp_lt_i64_e32 vcc, v[4:5], v[2:3]
	v_cmp_eq_u32_e64 s[0:1], 1, v11
	v_and_b32_e32 v6, 1, v7
	s_and_b64 vcc, s[0:1], vcc
	v_cndmask_b32_e64 v7, v7, 1, s[0:1]
	v_cndmask_b32_e32 v2, v2, v4, vcc
	v_cndmask_b32_e32 v3, v3, v5, vcc
	v_cmp_eq_u32_e32 vcc, 1, v6
	v_cndmask_b32_e32 v7, v10, v7, vcc
	v_cndmask_b32_e32 v3, v5, v3, vcc
	v_cndmask_b32_e32 v2, v4, v2, vcc
	v_and_b32_e32 v6, 0xff, v7
.LBB272_166:
	s_or_b64 exec, exec, s[2:3]
	v_cmp_gt_u32_e32 vcc, 60, v8
	s_waitcnt lgkmcnt(1)
	v_cndmask_b32_e64 v4, 0, 1, vcc
	v_lshlrev_b32_e32 v4, 2, v4
	s_waitcnt lgkmcnt(0)
	v_add_lshl_u32 v5, v4, v1, 2
	ds_bpermute_b32 v10, v5, v6
	ds_bpermute_b32 v4, v5, v2
	ds_bpermute_b32 v5, v5, v3
	;; [unrolled: 31-line block ×5, first 2 shown]
	v_add_u32_e32 v8, 32, v8
	v_cmp_lt_u32_e32 vcc, v8, v9
	s_and_saveexec_b64 s[2:3], vcc
	s_cbranch_execz .LBB272_174
; %bb.173:
	s_waitcnt lgkmcnt(2)
	v_and_b32_e32 v8, 1, v10
	s_waitcnt lgkmcnt(0)
	v_cmp_lt_i64_e32 vcc, v[4:5], v[2:3]
	v_cmp_eq_u32_e64 s[0:1], 1, v8
	v_and_b32_e32 v6, 1, v7
	s_and_b64 vcc, s[0:1], vcc
	v_cndmask_b32_e64 v7, v7, 1, s[0:1]
	v_cndmask_b32_e32 v2, v2, v4, vcc
	v_cndmask_b32_e32 v3, v3, v5, vcc
	v_cmp_eq_u32_e32 vcc, 1, v6
	v_cndmask_b32_e32 v7, v10, v7, vcc
	v_cndmask_b32_e32 v3, v5, v3, vcc
	;; [unrolled: 1-line block ×3, first 2 shown]
	v_and_b32_e32 v6, 0xff, v7
.LBB272_174:
	s_or_b64 exec, exec, s[2:3]
	v_cmp_eq_u32_e32 vcc, 0, v1
	s_and_saveexec_b64 s[0:1], vcc
	s_cbranch_execz .LBB272_176
; %bb.175:
	s_waitcnt lgkmcnt(1)
	v_lshrrev_b32_e32 v4, 2, v0
	v_and_b32_e32 v4, 48, v4
	ds_write_b8 v4, v7 offset:256
	ds_write_b64 v4, v[2:3] offset:264
.LBB272_176:
	s_or_b64 exec, exec, s[0:1]
	v_cmp_gt_u32_e32 vcc, 4, v0
	s_waitcnt lgkmcnt(0)
	s_barrier
	s_and_saveexec_b64 s[2:3], vcc
	s_cbranch_execz .LBB272_182
; %bb.177:
	v_lshlrev_b32_e32 v2, 4, v1
	ds_read_u8 v7, v2 offset:256
	ds_read_b64 v[2:3], v2 offset:264
	v_and_b32_e32 v8, 3, v1
	v_cmp_ne_u32_e32 vcc, 3, v8
	v_addc_co_u32_e32 v4, vcc, 0, v1, vcc
	s_waitcnt lgkmcnt(1)
	v_and_b32_e32 v6, 0xff, v7
	v_lshlrev_b32_e32 v5, 2, v4
	ds_bpermute_b32 v9, v5, v6
	s_waitcnt lgkmcnt(1)
	ds_bpermute_b32 v4, v5, v2
	ds_bpermute_b32 v5, v5, v3
	s_add_i32 s8, s8, 63
	s_lshr_b32 s12, s8, 6
	v_add_u32_e32 v10, 1, v8
	v_cmp_gt_u32_e32 vcc, s12, v10
	s_and_saveexec_b64 s[8:9], vcc
	s_cbranch_execz .LBB272_179
; %bb.178:
	s_waitcnt lgkmcnt(2)
	v_and_b32_e32 v10, 1, v9
	s_waitcnt lgkmcnt(0)
	v_cmp_lt_i64_e32 vcc, v[4:5], v[2:3]
	v_cmp_eq_u32_e64 s[0:1], 1, v10
	v_and_b32_e32 v6, 1, v7
	s_and_b64 vcc, s[0:1], vcc
	v_cndmask_b32_e64 v7, v7, 1, s[0:1]
	v_cndmask_b32_e32 v2, v2, v4, vcc
	v_cndmask_b32_e32 v3, v3, v5, vcc
	v_cmp_eq_u32_e32 vcc, 1, v6
	v_cndmask_b32_e32 v7, v9, v7, vcc
	v_cndmask_b32_e32 v3, v5, v3, vcc
	v_cndmask_b32_e32 v2, v4, v2, vcc
	v_and_b32_e32 v6, 0xff, v7
.LBB272_179:
	s_or_b64 exec, exec, s[8:9]
	v_cmp_gt_u32_e32 vcc, 2, v8
	s_waitcnt lgkmcnt(1)
	v_cndmask_b32_e64 v4, 0, 1, vcc
	v_lshlrev_b32_e32 v4, 1, v4
	s_waitcnt lgkmcnt(0)
	v_add_lshl_u32 v5, v4, v1, 2
	ds_bpermute_b32 v1, v5, v6
	ds_bpermute_b32 v4, v5, v2
	;; [unrolled: 1-line block ×3, first 2 shown]
	v_add_u32_e32 v8, 2, v8
	v_cmp_gt_u32_e32 vcc, s12, v8
	s_and_saveexec_b64 s[8:9], vcc
	s_cbranch_execz .LBB272_181
; %bb.180:
	s_waitcnt lgkmcnt(2)
	v_and_b32_e32 v8, 1, v1
	s_waitcnt lgkmcnt(0)
	v_cmp_lt_i64_e32 vcc, v[4:5], v[2:3]
	v_cmp_eq_u32_e64 s[0:1], 1, v8
	v_and_b32_e32 v6, 1, v7
	s_and_b64 vcc, s[0:1], vcc
	v_cndmask_b32_e64 v7, v7, 1, s[0:1]
	v_cndmask_b32_e32 v2, v2, v4, vcc
	v_cndmask_b32_e32 v3, v3, v5, vcc
	v_cmp_eq_u32_e32 vcc, 1, v6
	v_cndmask_b32_e32 v1, v1, v7, vcc
	v_cndmask_b32_e32 v3, v5, v3, vcc
	;; [unrolled: 1-line block ×3, first 2 shown]
	v_and_b32_e32 v6, 0xff, v1
.LBB272_181:
	s_or_b64 exec, exec, s[8:9]
.LBB272_182:
	s_or_b64 exec, exec, s[2:3]
.LBB272_183:
	v_cmp_eq_u32_e32 vcc, 0, v0
                                        ; implicit-def: $vgpr4_vgpr5
                                        ; implicit-def: $vgpr1
	s_and_saveexec_b64 s[0:1], vcc
	s_xor_b64 s[8:9], exec, s[0:1]
	s_cbranch_execz .LBB272_187
; %bb.184:
	s_cmp_eq_u64 s[22:23], 0
	s_waitcnt lgkmcnt(0)
	v_pk_mov_b32 v[4:5], s[18:19], s[18:19] op_sel:[0,1]
	v_mov_b32_e32 v1, s33
	s_cbranch_scc1 .LBB272_186
; %bb.185:
	v_and_b32_e32 v1, 1, v6
	s_bitcmp1_b32 s33, 0
	v_mov_b32_e32 v4, s33
	v_cmp_eq_u32_e32 vcc, 1, v1
	v_cmp_gt_i64_e64 s[2:3], s[18:19], v[2:3]
	v_cndmask_b32_e64 v1, v4, 1, vcc
	s_cselect_b64 s[0:1], -1, 0
	v_mov_b32_e32 v4, s18
	s_and_b64 vcc, vcc, s[2:3]
	v_mov_b32_e32 v5, s19
	v_cndmask_b32_e32 v4, v4, v2, vcc
	v_cndmask_b32_e32 v5, v5, v3, vcc
	v_cndmask_b32_e64 v1, v6, v1, s[0:1]
	v_cndmask_b32_e64 v5, v3, v5, s[0:1]
	;; [unrolled: 1-line block ×3, first 2 shown]
.LBB272_186:
	s_or_b64 s[10:11], s[10:11], exec
.LBB272_187:
	s_or_b64 exec, exec, s[8:9]
	s_branch .LBB272_208
.LBB272_188:
	s_cmp_eq_u32 s36, 1
	s_cbranch_scc0 .LBB272_207
; %bb.189:
	s_mov_b32 s3, 0
	s_lshl_b32 s2, s6, 8
	s_mov_b32 s7, s3
	s_lshr_b64 s[0:1], s[22:23], 8
	s_cmp_lg_u64 s[0:1], s[6:7]
	s_cbranch_scc0 .LBB272_211
; %bb.190:
	s_lshl_b64 s[0:1], s[2:3], 2
	s_add_u32 s8, s24, s0
	s_addc_u32 s9, s25, s1
	s_add_u32 s0, s26, s0
	s_waitcnt lgkmcnt(2)
	v_lshlrev_b32_e32 v1, 2, v0
	s_addc_u32 s1, s27, s1
	s_waitcnt lgkmcnt(0)
	global_load_dword v5, v1, s[8:9]
	global_load_dword v6, v1, s[0:1]
	s_add_u32 s0, s20, s2
	s_addc_u32 s1, s21, 0
	v_mov_b32_e32 v1, s1
	v_add_co_u32_e32 v2, vcc, s0, v0
	v_addc_co_u32_e32 v3, vcc, 0, v1, vcc
	s_nop 0
	v_mov_b32_dpp v4, v2 quad_perm:[1,0,3,2] row_mask:0xf bank_mask:0xf bound_ctrl:1
	s_waitcnt vmcnt(0)
	v_cmp_ne_u32_e32 vcc, v5, v6
	v_cndmask_b32_e64 v1, 0, 1, vcc
	v_cndmask_b32_e64 v6, 0, 1, vcc
	v_mov_b32_dpp v5, v3 quad_perm:[1,0,3,2] row_mask:0xf bank_mask:0xf bound_ctrl:1
	v_mov_b32_dpp v1, v1 quad_perm:[1,0,3,2] row_mask:0xf bank_mask:0xf bound_ctrl:1
	v_and_b32_e32 v7, 1, v1
	v_cmp_eq_u32_e64 s[0:1], 1, v7
	s_and_saveexec_b64 s[8:9], s[0:1]
; %bb.191:
	v_cmp_lt_i64_e64 s[0:1], v[2:3], v[4:5]
	v_cndmask_b32_e64 v6, v1, 1, vcc
	s_and_b64 vcc, vcc, s[0:1]
	v_cndmask_b32_e32 v3, v5, v3, vcc
	v_cndmask_b32_e32 v2, v4, v2, vcc
; %bb.192:
	s_or_b64 exec, exec, s[8:9]
	v_and_b32_e32 v1, 0xff, v6
	v_and_b32_e32 v6, 1, v6
	v_mov_b32_dpp v4, v2 quad_perm:[2,3,0,1] row_mask:0xf bank_mask:0xf bound_ctrl:1
	v_mov_b32_dpp v7, v1 quad_perm:[2,3,0,1] row_mask:0xf bank_mask:0xf bound_ctrl:1
	v_and_b32_e32 v8, 1, v7
	v_mov_b32_dpp v5, v3 quad_perm:[2,3,0,1] row_mask:0xf bank_mask:0xf bound_ctrl:1
	v_cmp_eq_u32_e32 vcc, 1, v8
	v_cmp_eq_u32_e64 s[0:1], 1, v6
	s_and_saveexec_b64 s[8:9], vcc
; %bb.193:
	v_cmp_lt_i64_e32 vcc, v[2:3], v[4:5]
	v_cndmask_b32_e64 v6, v7, 1, s[0:1]
	s_and_b64 vcc, s[0:1], vcc
	v_cndmask_b32_e32 v2, v4, v2, vcc
	v_and_b32_e32 v4, 1, v6
	v_cndmask_b32_e32 v3, v5, v3, vcc
	v_cmp_eq_u32_e32 vcc, 1, v4
	s_andn2_b64 s[0:1], s[0:1], exec
	s_and_b64 s[12:13], vcc, exec
	v_and_b32_e32 v1, 0xff, v6
	s_or_b64 s[0:1], s[0:1], s[12:13]
; %bb.194:
	s_or_b64 exec, exec, s[8:9]
	v_mov_b32_dpp v6, v1 row_ror:4 row_mask:0xf bank_mask:0xf bound_ctrl:1
	v_and_b32_e32 v7, 1, v6
	v_mov_b32_dpp v4, v2 row_ror:4 row_mask:0xf bank_mask:0xf bound_ctrl:1
	v_mov_b32_dpp v5, v3 row_ror:4 row_mask:0xf bank_mask:0xf bound_ctrl:1
	v_cmp_eq_u32_e32 vcc, 1, v7
	s_and_saveexec_b64 s[8:9], vcc
; %bb.195:
	v_cmp_lt_i64_e32 vcc, v[2:3], v[4:5]
	v_cndmask_b32_e64 v6, v6, 1, s[0:1]
	s_and_b64 vcc, s[0:1], vcc
	v_cndmask_b32_e32 v2, v4, v2, vcc
	v_and_b32_e32 v4, 1, v6
	v_cndmask_b32_e32 v3, v5, v3, vcc
	v_cmp_eq_u32_e32 vcc, 1, v4
	s_andn2_b64 s[0:1], s[0:1], exec
	s_and_b64 s[12:13], vcc, exec
	v_and_b32_e32 v1, 0xff, v6
	s_or_b64 s[0:1], s[0:1], s[12:13]
; %bb.196:
	s_or_b64 exec, exec, s[8:9]
	v_mov_b32_dpp v6, v1 row_ror:8 row_mask:0xf bank_mask:0xf bound_ctrl:1
	v_and_b32_e32 v7, 1, v6
	v_mov_b32_dpp v4, v2 row_ror:8 row_mask:0xf bank_mask:0xf bound_ctrl:1
	v_mov_b32_dpp v5, v3 row_ror:8 row_mask:0xf bank_mask:0xf bound_ctrl:1
	v_cmp_eq_u32_e32 vcc, 1, v7
	s_and_saveexec_b64 s[8:9], vcc
; %bb.197:
	v_cmp_lt_i64_e32 vcc, v[2:3], v[4:5]
	v_cndmask_b32_e64 v6, v6, 1, s[0:1]
	s_and_b64 vcc, s[0:1], vcc
	v_cndmask_b32_e32 v2, v4, v2, vcc
	v_and_b32_e32 v4, 1, v6
	v_cndmask_b32_e32 v3, v5, v3, vcc
	v_cmp_eq_u32_e32 vcc, 1, v4
	s_andn2_b64 s[0:1], s[0:1], exec
	s_and_b64 s[12:13], vcc, exec
	v_and_b32_e32 v1, 0xff, v6
	s_or_b64 s[0:1], s[0:1], s[12:13]
; %bb.198:
	s_or_b64 exec, exec, s[8:9]
	v_mov_b32_dpp v6, v1 row_bcast:15 row_mask:0xf bank_mask:0xf bound_ctrl:1
	v_and_b32_e32 v7, 1, v6
	v_mov_b32_dpp v4, v2 row_bcast:15 row_mask:0xf bank_mask:0xf bound_ctrl:1
	v_mov_b32_dpp v5, v3 row_bcast:15 row_mask:0xf bank_mask:0xf bound_ctrl:1
	v_cmp_eq_u32_e32 vcc, 1, v7
	s_and_saveexec_b64 s[8:9], vcc
; %bb.199:
	v_cmp_lt_i64_e32 vcc, v[2:3], v[4:5]
	v_cndmask_b32_e64 v6, v6, 1, s[0:1]
	s_and_b64 vcc, s[0:1], vcc
	v_cndmask_b32_e32 v2, v4, v2, vcc
	v_and_b32_e32 v4, 1, v6
	v_cndmask_b32_e32 v3, v5, v3, vcc
	v_cmp_eq_u32_e32 vcc, 1, v4
	s_andn2_b64 s[0:1], s[0:1], exec
	s_and_b64 s[12:13], vcc, exec
	v_and_b32_e32 v1, 0xff, v6
	s_or_b64 s[0:1], s[0:1], s[12:13]
; %bb.200:
	s_or_b64 exec, exec, s[8:9]
	v_mov_b32_dpp v6, v1 row_bcast:31 row_mask:0xf bank_mask:0xf bound_ctrl:1
	v_and_b32_e32 v7, 1, v6
	v_mov_b32_dpp v4, v2 row_bcast:31 row_mask:0xf bank_mask:0xf bound_ctrl:1
	v_mov_b32_dpp v5, v3 row_bcast:31 row_mask:0xf bank_mask:0xf bound_ctrl:1
	v_cmp_eq_u32_e32 vcc, 1, v7
	s_and_saveexec_b64 s[8:9], vcc
; %bb.201:
	v_cmp_lt_i64_e32 vcc, v[2:3], v[4:5]
	v_and_b32_e32 v1, 0xff, v6
	s_and_b64 vcc, s[0:1], vcc
	v_cndmask_b32_e32 v2, v4, v2, vcc
	v_cndmask_b32_e32 v3, v5, v3, vcc
	v_cndmask_b32_e64 v1, v1, 1, s[0:1]
; %bb.202:
	s_or_b64 exec, exec, s[8:9]
	v_mbcnt_lo_u32_b32 v4, -1, 0
	v_mbcnt_hi_u32_b32 v4, -1, v4
	v_bfrev_b32_e32 v5, 0.5
	v_lshl_or_b32 v5, v4, 2, v5
	ds_bpermute_b32 v6, v5, v1
	ds_bpermute_b32 v2, v5, v2
	;; [unrolled: 1-line block ×3, first 2 shown]
	v_cmp_eq_u32_e32 vcc, 0, v4
	s_and_saveexec_b64 s[0:1], vcc
	s_cbranch_execz .LBB272_204
; %bb.203:
	v_lshrrev_b32_e32 v1, 2, v0
	v_and_b32_e32 v1, 48, v1
	s_waitcnt lgkmcnt(2)
	ds_write_b8 v1, v6
	s_waitcnt lgkmcnt(1)
	ds_write_b64 v1, v[2:3] offset:8
.LBB272_204:
	s_or_b64 exec, exec, s[0:1]
	v_cmp_gt_u32_e32 vcc, 64, v0
	s_waitcnt lgkmcnt(0)
	s_barrier
	s_and_saveexec_b64 s[8:9], vcc
	s_cbranch_execz .LBB272_206
; %bb.205:
	v_and_b32_e32 v1, 3, v4
	v_lshlrev_b32_e32 v2, 4, v1
	ds_read_u8 v5, v2
	ds_read_b64 v[2:3], v2 offset:8
	v_cmp_ne_u32_e32 vcc, 3, v1
	v_addc_co_u32_e32 v6, vcc, 0, v4, vcc
	s_waitcnt lgkmcnt(1)
	v_and_b32_e32 v7, 0xff, v5
	v_lshlrev_b32_e32 v8, 2, v6
	ds_bpermute_b32 v9, v8, v7
	s_waitcnt lgkmcnt(1)
	ds_bpermute_b32 v6, v8, v2
	ds_bpermute_b32 v7, v8, v3
	v_and_b32_e32 v8, 1, v5
	s_waitcnt lgkmcnt(2)
	v_and_b32_e32 v10, 1, v9
	v_cmp_eq_u32_e64 s[0:1], 1, v10
	s_waitcnt lgkmcnt(0)
	v_cmp_lt_i64_e32 vcc, v[6:7], v[2:3]
	s_and_b64 vcc, s[0:1], vcc
	v_cndmask_b32_e64 v5, v5, 1, s[0:1]
	v_cndmask_b32_e32 v2, v2, v6, vcc
	v_cndmask_b32_e32 v3, v3, v7, vcc
	v_cmp_eq_u32_e32 vcc, 1, v8
	v_cndmask_b32_e32 v8, v9, v5, vcc
	v_cndmask_b32_e32 v3, v7, v3, vcc
	;; [unrolled: 1-line block ×3, first 2 shown]
	v_cmp_gt_u32_e32 vcc, 2, v1
	v_cndmask_b32_e64 v1, 0, 1, vcc
	v_lshlrev_b32_e32 v1, 1, v1
	v_and_b32_e32 v5, 0xff, v8
	v_add_lshl_u32 v1, v1, v4, 2
	ds_bpermute_b32 v6, v1, v5
	ds_bpermute_b32 v4, v1, v2
	;; [unrolled: 1-line block ×3, first 2 shown]
	v_and_b32_e32 v1, 1, v8
	s_waitcnt lgkmcnt(2)
	v_and_b32_e32 v7, 1, v6
	v_cmp_eq_u32_e64 s[0:1], 1, v7
	s_waitcnt lgkmcnt(0)
	v_cmp_lt_i64_e32 vcc, v[4:5], v[2:3]
	s_and_b64 vcc, s[0:1], vcc
	v_cndmask_b32_e64 v7, v8, 1, s[0:1]
	v_cndmask_b32_e32 v2, v2, v4, vcc
	v_cndmask_b32_e32 v3, v3, v5, vcc
	v_cmp_eq_u32_e32 vcc, 1, v1
	v_cndmask_b32_e32 v1, v6, v7, vcc
	v_cndmask_b32_e32 v3, v5, v3, vcc
	v_cndmask_b32_e32 v2, v4, v2, vcc
	v_and_b32_e32 v6, 0xff, v1
.LBB272_206:
	s_or_b64 exec, exec, s[8:9]
	s_branch .LBB272_235
.LBB272_207:
                                        ; implicit-def: $vgpr4_vgpr5
                                        ; implicit-def: $vgpr1
                                        ; implicit-def: $sgpr6_sgpr7
.LBB272_208:
	s_and_saveexec_b64 s[0:1], s[10:11]
	s_cbranch_execz .LBB272_210
.LBB272_209:
	s_load_dwordx2 s[0:1], s[4:5], 0x38
	s_lshl_b64 s[2:3], s[6:7], 4
	v_mov_b32_e32 v0, 0
	s_waitcnt lgkmcnt(0)
	s_add_u32 s0, s0, s2
	s_addc_u32 s1, s1, s3
	global_store_byte v0, v1, s[0:1]
	global_store_dwordx2 v0, v[4:5], s[0:1] offset:8
.LBB272_210:
	s_endpgm
.LBB272_211:
                                        ; implicit-def: $vgpr2_vgpr3
                                        ; implicit-def: $vgpr6
	s_cbranch_execz .LBB272_235
; %bb.212:
	s_sub_i32 s8, s22, s2
	v_cmp_gt_u32_e32 vcc, s8, v0
	v_pk_mov_b32 v[2:3], 0, 0
	v_mov_b32_e32 v7, 0
	s_and_saveexec_b64 s[0:1], vcc
	s_cbranch_execz .LBB272_214
; %bb.213:
	s_lshl_b64 s[12:13], s[2:3], 2
	s_add_u32 s14, s26, s12
	s_addc_u32 s15, s27, s13
	s_add_u32 s12, s24, s12
	s_addc_u32 s13, s25, s13
	s_waitcnt lgkmcnt(2)
	v_lshlrev_b32_e32 v1, 2, v0
	s_waitcnt lgkmcnt(1)
	global_load_dword v4, v1, s[12:13]
	s_waitcnt lgkmcnt(0)
	global_load_dword v5, v1, s[14:15]
	s_add_u32 s2, s20, s2
	s_addc_u32 s3, s21, 0
	v_mov_b32_e32 v1, s3
	v_add_co_u32_e32 v2, vcc, s2, v0
	v_addc_co_u32_e32 v3, vcc, 0, v1, vcc
	s_waitcnt vmcnt(0)
	v_cmp_ne_u32_e32 vcc, v4, v5
	v_cndmask_b32_e64 v7, 0, 1, vcc
.LBB272_214:
	s_or_b64 exec, exec, s[0:1]
	s_waitcnt lgkmcnt(2)
	v_mbcnt_lo_u32_b32 v1, -1, 0
	v_mbcnt_hi_u32_b32 v1, -1, v1
	v_and_b32_e32 v8, 63, v1
	v_cmp_ne_u32_e32 vcc, 63, v8
	s_waitcnt lgkmcnt(1)
	v_addc_co_u32_e32 v4, vcc, 0, v1, vcc
	v_and_b32_e32 v6, 0xffff, v7
	s_waitcnt lgkmcnt(0)
	v_lshlrev_b32_e32 v5, 2, v4
	ds_bpermute_b32 v10, v5, v6
	ds_bpermute_b32 v4, v5, v2
	;; [unrolled: 1-line block ×3, first 2 shown]
	s_min_u32 s8, s8, 0x100
	v_and_b32_e32 v9, 0xc0, v0
	v_sub_u32_e64 v9, s8, v9 clamp
	v_add_u32_e32 v11, 1, v8
	v_cmp_lt_u32_e32 vcc, v11, v9
	s_and_saveexec_b64 s[2:3], vcc
	s_cbranch_execz .LBB272_216
; %bb.215:
	s_waitcnt lgkmcnt(2)
	v_and_b32_e32 v11, 1, v10
	s_waitcnt lgkmcnt(0)
	v_cmp_lt_i64_e32 vcc, v[4:5], v[2:3]
	v_cmp_eq_u32_e64 s[0:1], 1, v11
	v_and_b32_e32 v6, 1, v7
	s_and_b64 vcc, s[0:1], vcc
	v_cndmask_b32_e64 v7, v7, 1, s[0:1]
	v_cndmask_b32_e32 v2, v2, v4, vcc
	v_cndmask_b32_e32 v3, v3, v5, vcc
	v_cmp_eq_u32_e32 vcc, 1, v6
	v_cndmask_b32_e32 v7, v10, v7, vcc
	v_cndmask_b32_e32 v3, v5, v3, vcc
	v_cndmask_b32_e32 v2, v4, v2, vcc
	v_and_b32_e32 v6, 0xff, v7
.LBB272_216:
	s_or_b64 exec, exec, s[2:3]
	v_cmp_gt_u32_e32 vcc, 62, v8
	s_waitcnt lgkmcnt(1)
	v_cndmask_b32_e64 v4, 0, 1, vcc
	v_lshlrev_b32_e32 v4, 1, v4
	s_waitcnt lgkmcnt(0)
	v_add_lshl_u32 v5, v4, v1, 2
	ds_bpermute_b32 v10, v5, v6
	ds_bpermute_b32 v4, v5, v2
	ds_bpermute_b32 v5, v5, v3
	v_add_u32_e32 v11, 2, v8
	v_cmp_lt_u32_e32 vcc, v11, v9
	s_and_saveexec_b64 s[2:3], vcc
	s_cbranch_execz .LBB272_218
; %bb.217:
	s_waitcnt lgkmcnt(2)
	v_and_b32_e32 v11, 1, v10
	s_waitcnt lgkmcnt(0)
	v_cmp_lt_i64_e32 vcc, v[4:5], v[2:3]
	v_cmp_eq_u32_e64 s[0:1], 1, v11
	v_and_b32_e32 v6, 1, v7
	s_and_b64 vcc, s[0:1], vcc
	v_cndmask_b32_e64 v7, v7, 1, s[0:1]
	v_cndmask_b32_e32 v2, v2, v4, vcc
	v_cndmask_b32_e32 v3, v3, v5, vcc
	v_cmp_eq_u32_e32 vcc, 1, v6
	v_cndmask_b32_e32 v7, v10, v7, vcc
	v_cndmask_b32_e32 v3, v5, v3, vcc
	v_cndmask_b32_e32 v2, v4, v2, vcc
	v_and_b32_e32 v6, 0xff, v7
.LBB272_218:
	s_or_b64 exec, exec, s[2:3]
	v_cmp_gt_u32_e32 vcc, 60, v8
	s_waitcnt lgkmcnt(1)
	v_cndmask_b32_e64 v4, 0, 1, vcc
	v_lshlrev_b32_e32 v4, 2, v4
	s_waitcnt lgkmcnt(0)
	v_add_lshl_u32 v5, v4, v1, 2
	ds_bpermute_b32 v10, v5, v6
	ds_bpermute_b32 v4, v5, v2
	ds_bpermute_b32 v5, v5, v3
	;; [unrolled: 31-line block ×5, first 2 shown]
	v_add_u32_e32 v8, 32, v8
	v_cmp_lt_u32_e32 vcc, v8, v9
	s_and_saveexec_b64 s[2:3], vcc
	s_cbranch_execz .LBB272_226
; %bb.225:
	s_waitcnt lgkmcnt(2)
	v_and_b32_e32 v8, 1, v10
	s_waitcnt lgkmcnt(0)
	v_cmp_lt_i64_e32 vcc, v[4:5], v[2:3]
	v_cmp_eq_u32_e64 s[0:1], 1, v8
	v_and_b32_e32 v6, 1, v7
	s_and_b64 vcc, s[0:1], vcc
	v_cndmask_b32_e64 v7, v7, 1, s[0:1]
	v_cndmask_b32_e32 v2, v2, v4, vcc
	v_cndmask_b32_e32 v3, v3, v5, vcc
	v_cmp_eq_u32_e32 vcc, 1, v6
	v_cndmask_b32_e32 v7, v10, v7, vcc
	v_cndmask_b32_e32 v3, v5, v3, vcc
	;; [unrolled: 1-line block ×3, first 2 shown]
	v_and_b32_e32 v6, 0xff, v7
.LBB272_226:
	s_or_b64 exec, exec, s[2:3]
	v_cmp_eq_u32_e32 vcc, 0, v1
	s_and_saveexec_b64 s[0:1], vcc
	s_cbranch_execz .LBB272_228
; %bb.227:
	s_waitcnt lgkmcnt(1)
	v_lshrrev_b32_e32 v4, 2, v0
	v_and_b32_e32 v4, 48, v4
	ds_write_b8 v4, v7 offset:256
	ds_write_b64 v4, v[2:3] offset:264
.LBB272_228:
	s_or_b64 exec, exec, s[0:1]
	v_cmp_gt_u32_e32 vcc, 4, v0
	s_waitcnt lgkmcnt(0)
	s_barrier
	s_and_saveexec_b64 s[2:3], vcc
	s_cbranch_execz .LBB272_234
; %bb.229:
	v_lshlrev_b32_e32 v2, 4, v1
	ds_read_u8 v7, v2 offset:256
	ds_read_b64 v[2:3], v2 offset:264
	v_and_b32_e32 v8, 3, v1
	v_cmp_ne_u32_e32 vcc, 3, v8
	v_addc_co_u32_e32 v4, vcc, 0, v1, vcc
	s_waitcnt lgkmcnt(1)
	v_and_b32_e32 v6, 0xff, v7
	v_lshlrev_b32_e32 v5, 2, v4
	ds_bpermute_b32 v9, v5, v6
	s_waitcnt lgkmcnt(1)
	ds_bpermute_b32 v4, v5, v2
	ds_bpermute_b32 v5, v5, v3
	s_add_i32 s8, s8, 63
	s_lshr_b32 s12, s8, 6
	v_add_u32_e32 v10, 1, v8
	v_cmp_gt_u32_e32 vcc, s12, v10
	s_and_saveexec_b64 s[8:9], vcc
	s_cbranch_execz .LBB272_231
; %bb.230:
	s_waitcnt lgkmcnt(2)
	v_and_b32_e32 v10, 1, v9
	s_waitcnt lgkmcnt(0)
	v_cmp_lt_i64_e32 vcc, v[4:5], v[2:3]
	v_cmp_eq_u32_e64 s[0:1], 1, v10
	v_and_b32_e32 v6, 1, v7
	s_and_b64 vcc, s[0:1], vcc
	v_cndmask_b32_e64 v7, v7, 1, s[0:1]
	v_cndmask_b32_e32 v2, v2, v4, vcc
	v_cndmask_b32_e32 v3, v3, v5, vcc
	v_cmp_eq_u32_e32 vcc, 1, v6
	v_cndmask_b32_e32 v7, v9, v7, vcc
	v_cndmask_b32_e32 v3, v5, v3, vcc
	;; [unrolled: 1-line block ×3, first 2 shown]
	v_and_b32_e32 v6, 0xff, v7
.LBB272_231:
	s_or_b64 exec, exec, s[8:9]
	v_cmp_gt_u32_e32 vcc, 2, v8
	s_waitcnt lgkmcnt(1)
	v_cndmask_b32_e64 v4, 0, 1, vcc
	v_lshlrev_b32_e32 v4, 1, v4
	s_waitcnt lgkmcnt(0)
	v_add_lshl_u32 v5, v4, v1, 2
	ds_bpermute_b32 v1, v5, v6
	ds_bpermute_b32 v4, v5, v2
	;; [unrolled: 1-line block ×3, first 2 shown]
	v_add_u32_e32 v8, 2, v8
	v_cmp_gt_u32_e32 vcc, s12, v8
	s_and_saveexec_b64 s[8:9], vcc
	s_cbranch_execz .LBB272_233
; %bb.232:
	s_waitcnt lgkmcnt(2)
	v_and_b32_e32 v8, 1, v1
	s_waitcnt lgkmcnt(0)
	v_cmp_lt_i64_e32 vcc, v[4:5], v[2:3]
	v_cmp_eq_u32_e64 s[0:1], 1, v8
	v_and_b32_e32 v6, 1, v7
	s_and_b64 vcc, s[0:1], vcc
	v_cndmask_b32_e64 v7, v7, 1, s[0:1]
	v_cndmask_b32_e32 v2, v2, v4, vcc
	v_cndmask_b32_e32 v3, v3, v5, vcc
	v_cmp_eq_u32_e32 vcc, 1, v6
	v_cndmask_b32_e32 v1, v1, v7, vcc
	v_cndmask_b32_e32 v3, v5, v3, vcc
	;; [unrolled: 1-line block ×3, first 2 shown]
	v_and_b32_e32 v6, 0xff, v1
.LBB272_233:
	s_or_b64 exec, exec, s[8:9]
.LBB272_234:
	s_or_b64 exec, exec, s[2:3]
.LBB272_235:
	v_cmp_eq_u32_e32 vcc, 0, v0
                                        ; implicit-def: $vgpr4_vgpr5
                                        ; implicit-def: $vgpr1
	s_and_saveexec_b64 s[8:9], vcc
	s_cbranch_execz .LBB272_239
; %bb.236:
	s_cmp_eq_u64 s[22:23], 0
	s_waitcnt lgkmcnt(0)
	v_pk_mov_b32 v[4:5], s[18:19], s[18:19] op_sel:[0,1]
	v_mov_b32_e32 v1, s33
	s_cbranch_scc1 .LBB272_238
; %bb.237:
	v_and_b32_e32 v0, 1, v6
	s_bitcmp1_b32 s33, 0
	v_mov_b32_e32 v1, s33
	v_cmp_eq_u32_e32 vcc, 1, v0
	v_cmp_gt_i64_e64 s[2:3], s[18:19], v[2:3]
	v_cndmask_b32_e64 v0, v1, 1, vcc
	s_cselect_b64 s[0:1], -1, 0
	v_mov_b32_e32 v1, s18
	s_and_b64 vcc, vcc, s[2:3]
	v_cndmask_b32_e32 v4, v1, v2, vcc
	v_mov_b32_e32 v1, s19
	v_cndmask_b32_e32 v5, v1, v3, vcc
	v_cndmask_b32_e64 v1, v6, v0, s[0:1]
	v_cndmask_b32_e64 v5, v3, v5, s[0:1]
	;; [unrolled: 1-line block ×3, first 2 shown]
.LBB272_238:
	s_or_b64 s[10:11], s[10:11], exec
.LBB272_239:
	s_or_b64 exec, exec, s[8:9]
	s_and_saveexec_b64 s[0:1], s[10:11]
	s_cbranch_execnz .LBB272_209
	s_branch .LBB272_210
.LBB272_240:
	v_lshlrev_b32_e32 v10, 2, v25
	global_load_dword v21, v10, s[16:17]
	global_load_dword v26, v10, s[30:31]
	v_mov_b32_e32 v11, s38
	v_add_co_u32_e64 v10, s[16:17], s37, v25
	v_addc_co_u32_e64 v11, s[16:17], 0, v11, s[16:17]
	s_waitcnt vmcnt(0)
	v_cmp_ne_u32_e64 s[16:17], v21, v26
	v_cndmask_b32_e64 v21, 0, 1, s[16:17]
	s_or_b64 exec, exec, s[34:35]
	s_and_saveexec_b64 s[30:31], s[8:9]
	s_cbranch_execz .LBB272_61
.LBB272_241:
	v_and_b32_e32 v26, 1, v18
	v_cmp_lt_i64_e64 s[8:9], v[4:5], v[2:3]
	v_cmp_eq_u32_e64 s[16:17], 1, v26
	v_and_b32_e32 v25, 1, v1
	s_and_b64 s[8:9], s[16:17], s[8:9]
	v_cndmask_b32_e64 v1, v1, 1, s[16:17]
	v_cndmask_b32_e64 v2, v2, v4, s[8:9]
	;; [unrolled: 1-line block ×3, first 2 shown]
	v_cmp_eq_u32_e64 s[8:9], 1, v25
	v_cndmask_b32_e64 v1, v18, v1, s[8:9]
	v_cndmask_b32_e64 v3, v5, v3, s[8:9]
	;; [unrolled: 1-line block ×3, first 2 shown]
	s_or_b64 exec, exec, s[30:31]
	s_and_saveexec_b64 s[16:17], vcc
	s_cbranch_execz .LBB272_62
.LBB272_242:
	v_and_b32_e32 v5, 1, v23
	v_cmp_lt_i64_e32 vcc, v[12:13], v[2:3]
	v_cmp_eq_u32_e64 s[8:9], 1, v5
	v_and_b32_e32 v4, 1, v1
	s_and_b64 vcc, s[8:9], vcc
	v_cndmask_b32_e64 v1, v1, 1, s[8:9]
	v_cndmask_b32_e32 v2, v2, v12, vcc
	v_cndmask_b32_e32 v3, v3, v13, vcc
	v_cmp_eq_u32_e32 vcc, 1, v4
	v_cndmask_b32_e32 v1, v23, v1, vcc
	v_cndmask_b32_e32 v3, v13, v3, vcc
	;; [unrolled: 1-line block ×3, first 2 shown]
	s_or_b64 exec, exec, s[16:17]
	s_and_saveexec_b64 s[16:17], s[10:11]
	s_cbranch_execz .LBB272_63
.LBB272_243:
	v_and_b32_e32 v5, 1, v19
	v_cmp_lt_i64_e32 vcc, v[6:7], v[2:3]
	v_cmp_eq_u32_e64 s[8:9], 1, v5
	v_and_b32_e32 v4, 1, v1
	s_and_b64 vcc, s[8:9], vcc
	v_cndmask_b32_e64 v1, v1, 1, s[8:9]
	v_cndmask_b32_e32 v2, v2, v6, vcc
	v_cndmask_b32_e32 v3, v3, v7, vcc
	v_cmp_eq_u32_e32 vcc, 1, v4
	v_cndmask_b32_e32 v1, v19, v1, vcc
	v_cndmask_b32_e32 v3, v7, v3, vcc
	;; [unrolled: 1-line block ×3, first 2 shown]
	s_or_b64 exec, exec, s[16:17]
	s_and_saveexec_b64 s[8:9], s[0:1]
	s_cbranch_execz .LBB272_64
.LBB272_244:
	v_and_b32_e32 v5, 1, v24
	v_cmp_lt_i64_e32 vcc, v[14:15], v[2:3]
	v_cmp_eq_u32_e64 s[0:1], 1, v5
	v_and_b32_e32 v4, 1, v1
	s_and_b64 vcc, s[0:1], vcc
	v_cndmask_b32_e64 v1, v1, 1, s[0:1]
	v_cndmask_b32_e32 v2, v2, v14, vcc
	v_cndmask_b32_e32 v3, v3, v15, vcc
	v_cmp_eq_u32_e32 vcc, 1, v4
	v_cndmask_b32_e32 v1, v24, v1, vcc
	v_cndmask_b32_e32 v3, v15, v3, vcc
	v_cndmask_b32_e32 v2, v14, v2, vcc
	s_or_b64 exec, exec, s[8:9]
	s_and_saveexec_b64 s[8:9], s[12:13]
	s_cbranch_execz .LBB272_65
.LBB272_245:
	v_and_b32_e32 v5, 1, v20
	v_cmp_lt_i64_e32 vcc, v[8:9], v[2:3]
	v_cmp_eq_u32_e64 s[0:1], 1, v5
	v_and_b32_e32 v4, 1, v1
	s_and_b64 vcc, s[0:1], vcc
	v_cndmask_b32_e64 v1, v1, 1, s[0:1]
	v_cndmask_b32_e32 v2, v2, v8, vcc
	v_cndmask_b32_e32 v3, v3, v9, vcc
	v_cmp_eq_u32_e32 vcc, 1, v4
	v_cndmask_b32_e32 v1, v20, v1, vcc
	v_cndmask_b32_e32 v3, v9, v3, vcc
	;; [unrolled: 1-line block ×3, first 2 shown]
	s_or_b64 exec, exec, s[8:9]
	s_and_saveexec_b64 s[8:9], s[2:3]
	s_cbranch_execz .LBB272_66
.LBB272_246:
	v_and_b32_e32 v5, 1, v22
	v_cmp_lt_i64_e32 vcc, v[16:17], v[2:3]
	v_cmp_eq_u32_e64 s[0:1], 1, v5
	v_and_b32_e32 v4, 1, v1
	s_and_b64 vcc, s[0:1], vcc
	v_cndmask_b32_e64 v1, v1, 1, s[0:1]
	v_cndmask_b32_e32 v2, v2, v16, vcc
	v_cndmask_b32_e32 v3, v3, v17, vcc
	v_cmp_eq_u32_e32 vcc, 1, v4
	v_cndmask_b32_e32 v1, v22, v1, vcc
	v_cndmask_b32_e32 v3, v17, v3, vcc
	;; [unrolled: 1-line block ×3, first 2 shown]
	s_or_b64 exec, exec, s[8:9]
	s_and_saveexec_b64 s[2:3], s[14:15]
	s_cbranch_execnz .LBB272_67
	s_branch .LBB272_68
.LBB272_247:
	v_lshlrev_b32_e32 v6, 2, v0
	global_load_dword v11, v6, s[12:13] offset:3072
	global_load_dword v14, v6, s[14:15] offset:3072
	v_mov_b32_e32 v7, s29
	v_add_co_u32_e64 v6, s[8:9], s28, v13
	v_addc_co_u32_e64 v7, s[8:9], 0, v7, s[8:9]
	s_waitcnt vmcnt(0)
	v_cmp_ne_u32_e64 s[8:9], v11, v14
	v_cndmask_b32_e64 v11, 0, 1, s[8:9]
	s_or_b64 exec, exec, s[16:17]
	s_and_saveexec_b64 s[12:13], s[0:1]
	s_cbranch_execz .LBB272_104
.LBB272_248:
	v_and_b32_e32 v14, 1, v1
	v_cmp_lt_i64_e64 s[0:1], v[4:5], v[2:3]
	v_cmp_eq_u32_e64 s[8:9], 1, v14
	v_and_b32_e32 v13, 1, v10
	s_and_b64 s[0:1], s[8:9], s[0:1]
	v_cndmask_b32_e64 v10, v10, 1, s[8:9]
	v_cndmask_b32_e64 v2, v2, v4, s[0:1]
	;; [unrolled: 1-line block ×3, first 2 shown]
	v_cmp_eq_u32_e64 s[0:1], 1, v13
	v_cndmask_b32_e64 v10, v1, v10, s[0:1]
	v_cndmask_b32_e64 v3, v5, v3, s[0:1]
	;; [unrolled: 1-line block ×3, first 2 shown]
	s_or_b64 exec, exec, s[12:13]
	s_and_saveexec_b64 s[8:9], vcc
	s_cbranch_execz .LBB272_105
.LBB272_249:
	v_and_b32_e32 v4, 1, v12
	v_cmp_lt_i64_e32 vcc, v[8:9], v[2:3]
	v_cmp_eq_u32_e64 s[0:1], 1, v4
	v_and_b32_e32 v1, 1, v10
	s_and_b64 vcc, s[0:1], vcc
	v_cndmask_b32_e64 v4, v10, 1, s[0:1]
	v_cndmask_b32_e32 v2, v2, v8, vcc
	v_cndmask_b32_e32 v3, v3, v9, vcc
	v_cmp_eq_u32_e32 vcc, 1, v1
	v_cndmask_b32_e32 v10, v12, v4, vcc
	v_cndmask_b32_e32 v3, v9, v3, vcc
	;; [unrolled: 1-line block ×3, first 2 shown]
	s_or_b64 exec, exec, s[8:9]
	s_and_saveexec_b64 s[8:9], s[2:3]
	s_cbranch_execnz .LBB272_106
	s_branch .LBB272_107
	.section	.rodata,"a",@progbits
	.p2align	6, 0x0
	.amdhsa_kernel _ZN7rocprim17ROCPRIM_400000_NS6detail17trampoline_kernelINS0_14default_configENS1_22reduce_config_selectorIN6thrust23THRUST_200600_302600_NS5tupleIblNS6_9null_typeES8_S8_S8_S8_S8_S8_S8_EEEEZNS1_11reduce_implILb1ES3_NS6_12zip_iteratorINS7_INS6_11hip_rocprim26transform_input_iterator_tIbNSD_35transform_pair_of_input_iterators_tIbNS6_6detail15normal_iteratorINS6_10device_ptrIKiEEEESL_NS6_8equal_toIiEEEENSG_9not_fun_tINSD_8identityEEEEENSD_19counting_iterator_tIlEES8_S8_S8_S8_S8_S8_S8_S8_EEEEPS9_S9_NSD_9__find_if7functorIS9_EEEE10hipError_tPvRmT1_T2_T3_mT4_P12ihipStream_tbEUlT_E1_NS1_11comp_targetILNS1_3genE4ELNS1_11target_archE910ELNS1_3gpuE8ELNS1_3repE0EEENS1_30default_config_static_selectorELNS0_4arch9wavefront6targetE1EEEvS14_
		.amdhsa_group_segment_fixed_size 320
		.amdhsa_private_segment_fixed_size 0
		.amdhsa_kernarg_size 88
		.amdhsa_user_sgpr_count 6
		.amdhsa_user_sgpr_private_segment_buffer 1
		.amdhsa_user_sgpr_dispatch_ptr 0
		.amdhsa_user_sgpr_queue_ptr 0
		.amdhsa_user_sgpr_kernarg_segment_ptr 1
		.amdhsa_user_sgpr_dispatch_id 0
		.amdhsa_user_sgpr_flat_scratch_init 0
		.amdhsa_user_sgpr_kernarg_preload_length 0
		.amdhsa_user_sgpr_kernarg_preload_offset 0
		.amdhsa_user_sgpr_private_segment_size 0
		.amdhsa_uses_dynamic_stack 0
		.amdhsa_system_sgpr_private_segment_wavefront_offset 0
		.amdhsa_system_sgpr_workgroup_id_x 1
		.amdhsa_system_sgpr_workgroup_id_y 0
		.amdhsa_system_sgpr_workgroup_id_z 0
		.amdhsa_system_sgpr_workgroup_info 0
		.amdhsa_system_vgpr_workitem_id 0
		.amdhsa_next_free_vgpr 27
		.amdhsa_next_free_sgpr 40
		.amdhsa_accum_offset 28
		.amdhsa_reserve_vcc 1
		.amdhsa_reserve_flat_scratch 0
		.amdhsa_float_round_mode_32 0
		.amdhsa_float_round_mode_16_64 0
		.amdhsa_float_denorm_mode_32 3
		.amdhsa_float_denorm_mode_16_64 3
		.amdhsa_dx10_clamp 1
		.amdhsa_ieee_mode 1
		.amdhsa_fp16_overflow 0
		.amdhsa_tg_split 0
		.amdhsa_exception_fp_ieee_invalid_op 0
		.amdhsa_exception_fp_denorm_src 0
		.amdhsa_exception_fp_ieee_div_zero 0
		.amdhsa_exception_fp_ieee_overflow 0
		.amdhsa_exception_fp_ieee_underflow 0
		.amdhsa_exception_fp_ieee_inexact 0
		.amdhsa_exception_int_div_zero 0
	.end_amdhsa_kernel
	.section	.text._ZN7rocprim17ROCPRIM_400000_NS6detail17trampoline_kernelINS0_14default_configENS1_22reduce_config_selectorIN6thrust23THRUST_200600_302600_NS5tupleIblNS6_9null_typeES8_S8_S8_S8_S8_S8_S8_EEEEZNS1_11reduce_implILb1ES3_NS6_12zip_iteratorINS7_INS6_11hip_rocprim26transform_input_iterator_tIbNSD_35transform_pair_of_input_iterators_tIbNS6_6detail15normal_iteratorINS6_10device_ptrIKiEEEESL_NS6_8equal_toIiEEEENSG_9not_fun_tINSD_8identityEEEEENSD_19counting_iterator_tIlEES8_S8_S8_S8_S8_S8_S8_S8_EEEEPS9_S9_NSD_9__find_if7functorIS9_EEEE10hipError_tPvRmT1_T2_T3_mT4_P12ihipStream_tbEUlT_E1_NS1_11comp_targetILNS1_3genE4ELNS1_11target_archE910ELNS1_3gpuE8ELNS1_3repE0EEENS1_30default_config_static_selectorELNS0_4arch9wavefront6targetE1EEEvS14_,"axG",@progbits,_ZN7rocprim17ROCPRIM_400000_NS6detail17trampoline_kernelINS0_14default_configENS1_22reduce_config_selectorIN6thrust23THRUST_200600_302600_NS5tupleIblNS6_9null_typeES8_S8_S8_S8_S8_S8_S8_EEEEZNS1_11reduce_implILb1ES3_NS6_12zip_iteratorINS7_INS6_11hip_rocprim26transform_input_iterator_tIbNSD_35transform_pair_of_input_iterators_tIbNS6_6detail15normal_iteratorINS6_10device_ptrIKiEEEESL_NS6_8equal_toIiEEEENSG_9not_fun_tINSD_8identityEEEEENSD_19counting_iterator_tIlEES8_S8_S8_S8_S8_S8_S8_S8_EEEEPS9_S9_NSD_9__find_if7functorIS9_EEEE10hipError_tPvRmT1_T2_T3_mT4_P12ihipStream_tbEUlT_E1_NS1_11comp_targetILNS1_3genE4ELNS1_11target_archE910ELNS1_3gpuE8ELNS1_3repE0EEENS1_30default_config_static_selectorELNS0_4arch9wavefront6targetE1EEEvS14_,comdat
.Lfunc_end272:
	.size	_ZN7rocprim17ROCPRIM_400000_NS6detail17trampoline_kernelINS0_14default_configENS1_22reduce_config_selectorIN6thrust23THRUST_200600_302600_NS5tupleIblNS6_9null_typeES8_S8_S8_S8_S8_S8_S8_EEEEZNS1_11reduce_implILb1ES3_NS6_12zip_iteratorINS7_INS6_11hip_rocprim26transform_input_iterator_tIbNSD_35transform_pair_of_input_iterators_tIbNS6_6detail15normal_iteratorINS6_10device_ptrIKiEEEESL_NS6_8equal_toIiEEEENSG_9not_fun_tINSD_8identityEEEEENSD_19counting_iterator_tIlEES8_S8_S8_S8_S8_S8_S8_S8_EEEEPS9_S9_NSD_9__find_if7functorIS9_EEEE10hipError_tPvRmT1_T2_T3_mT4_P12ihipStream_tbEUlT_E1_NS1_11comp_targetILNS1_3genE4ELNS1_11target_archE910ELNS1_3gpuE8ELNS1_3repE0EEENS1_30default_config_static_selectorELNS0_4arch9wavefront6targetE1EEEvS14_, .Lfunc_end272-_ZN7rocprim17ROCPRIM_400000_NS6detail17trampoline_kernelINS0_14default_configENS1_22reduce_config_selectorIN6thrust23THRUST_200600_302600_NS5tupleIblNS6_9null_typeES8_S8_S8_S8_S8_S8_S8_EEEEZNS1_11reduce_implILb1ES3_NS6_12zip_iteratorINS7_INS6_11hip_rocprim26transform_input_iterator_tIbNSD_35transform_pair_of_input_iterators_tIbNS6_6detail15normal_iteratorINS6_10device_ptrIKiEEEESL_NS6_8equal_toIiEEEENSG_9not_fun_tINSD_8identityEEEEENSD_19counting_iterator_tIlEES8_S8_S8_S8_S8_S8_S8_S8_EEEEPS9_S9_NSD_9__find_if7functorIS9_EEEE10hipError_tPvRmT1_T2_T3_mT4_P12ihipStream_tbEUlT_E1_NS1_11comp_targetILNS1_3genE4ELNS1_11target_archE910ELNS1_3gpuE8ELNS1_3repE0EEENS1_30default_config_static_selectorELNS0_4arch9wavefront6targetE1EEEvS14_
                                        ; -- End function
	.section	.AMDGPU.csdata,"",@progbits
; Kernel info:
; codeLenInByte = 13144
; NumSgprs: 44
; NumVgprs: 27
; NumAgprs: 0
; TotalNumVgprs: 27
; ScratchSize: 0
; MemoryBound: 0
; FloatMode: 240
; IeeeMode: 1
; LDSByteSize: 320 bytes/workgroup (compile time only)
; SGPRBlocks: 5
; VGPRBlocks: 3
; NumSGPRsForWavesPerEU: 44
; NumVGPRsForWavesPerEU: 27
; AccumOffset: 28
; Occupancy: 8
; WaveLimiterHint : 0
; COMPUTE_PGM_RSRC2:SCRATCH_EN: 0
; COMPUTE_PGM_RSRC2:USER_SGPR: 6
; COMPUTE_PGM_RSRC2:TRAP_HANDLER: 0
; COMPUTE_PGM_RSRC2:TGID_X_EN: 1
; COMPUTE_PGM_RSRC2:TGID_Y_EN: 0
; COMPUTE_PGM_RSRC2:TGID_Z_EN: 0
; COMPUTE_PGM_RSRC2:TIDIG_COMP_CNT: 0
; COMPUTE_PGM_RSRC3_GFX90A:ACCUM_OFFSET: 6
; COMPUTE_PGM_RSRC3_GFX90A:TG_SPLIT: 0
	.section	.text._ZN7rocprim17ROCPRIM_400000_NS6detail17trampoline_kernelINS0_14default_configENS1_22reduce_config_selectorIN6thrust23THRUST_200600_302600_NS5tupleIblNS6_9null_typeES8_S8_S8_S8_S8_S8_S8_EEEEZNS1_11reduce_implILb1ES3_NS6_12zip_iteratorINS7_INS6_11hip_rocprim26transform_input_iterator_tIbNSD_35transform_pair_of_input_iterators_tIbNS6_6detail15normal_iteratorINS6_10device_ptrIKiEEEESL_NS6_8equal_toIiEEEENSG_9not_fun_tINSD_8identityEEEEENSD_19counting_iterator_tIlEES8_S8_S8_S8_S8_S8_S8_S8_EEEEPS9_S9_NSD_9__find_if7functorIS9_EEEE10hipError_tPvRmT1_T2_T3_mT4_P12ihipStream_tbEUlT_E1_NS1_11comp_targetILNS1_3genE3ELNS1_11target_archE908ELNS1_3gpuE7ELNS1_3repE0EEENS1_30default_config_static_selectorELNS0_4arch9wavefront6targetE1EEEvS14_,"axG",@progbits,_ZN7rocprim17ROCPRIM_400000_NS6detail17trampoline_kernelINS0_14default_configENS1_22reduce_config_selectorIN6thrust23THRUST_200600_302600_NS5tupleIblNS6_9null_typeES8_S8_S8_S8_S8_S8_S8_EEEEZNS1_11reduce_implILb1ES3_NS6_12zip_iteratorINS7_INS6_11hip_rocprim26transform_input_iterator_tIbNSD_35transform_pair_of_input_iterators_tIbNS6_6detail15normal_iteratorINS6_10device_ptrIKiEEEESL_NS6_8equal_toIiEEEENSG_9not_fun_tINSD_8identityEEEEENSD_19counting_iterator_tIlEES8_S8_S8_S8_S8_S8_S8_S8_EEEEPS9_S9_NSD_9__find_if7functorIS9_EEEE10hipError_tPvRmT1_T2_T3_mT4_P12ihipStream_tbEUlT_E1_NS1_11comp_targetILNS1_3genE3ELNS1_11target_archE908ELNS1_3gpuE7ELNS1_3repE0EEENS1_30default_config_static_selectorELNS0_4arch9wavefront6targetE1EEEvS14_,comdat
	.protected	_ZN7rocprim17ROCPRIM_400000_NS6detail17trampoline_kernelINS0_14default_configENS1_22reduce_config_selectorIN6thrust23THRUST_200600_302600_NS5tupleIblNS6_9null_typeES8_S8_S8_S8_S8_S8_S8_EEEEZNS1_11reduce_implILb1ES3_NS6_12zip_iteratorINS7_INS6_11hip_rocprim26transform_input_iterator_tIbNSD_35transform_pair_of_input_iterators_tIbNS6_6detail15normal_iteratorINS6_10device_ptrIKiEEEESL_NS6_8equal_toIiEEEENSG_9not_fun_tINSD_8identityEEEEENSD_19counting_iterator_tIlEES8_S8_S8_S8_S8_S8_S8_S8_EEEEPS9_S9_NSD_9__find_if7functorIS9_EEEE10hipError_tPvRmT1_T2_T3_mT4_P12ihipStream_tbEUlT_E1_NS1_11comp_targetILNS1_3genE3ELNS1_11target_archE908ELNS1_3gpuE7ELNS1_3repE0EEENS1_30default_config_static_selectorELNS0_4arch9wavefront6targetE1EEEvS14_ ; -- Begin function _ZN7rocprim17ROCPRIM_400000_NS6detail17trampoline_kernelINS0_14default_configENS1_22reduce_config_selectorIN6thrust23THRUST_200600_302600_NS5tupleIblNS6_9null_typeES8_S8_S8_S8_S8_S8_S8_EEEEZNS1_11reduce_implILb1ES3_NS6_12zip_iteratorINS7_INS6_11hip_rocprim26transform_input_iterator_tIbNSD_35transform_pair_of_input_iterators_tIbNS6_6detail15normal_iteratorINS6_10device_ptrIKiEEEESL_NS6_8equal_toIiEEEENSG_9not_fun_tINSD_8identityEEEEENSD_19counting_iterator_tIlEES8_S8_S8_S8_S8_S8_S8_S8_EEEEPS9_S9_NSD_9__find_if7functorIS9_EEEE10hipError_tPvRmT1_T2_T3_mT4_P12ihipStream_tbEUlT_E1_NS1_11comp_targetILNS1_3genE3ELNS1_11target_archE908ELNS1_3gpuE7ELNS1_3repE0EEENS1_30default_config_static_selectorELNS0_4arch9wavefront6targetE1EEEvS14_
	.globl	_ZN7rocprim17ROCPRIM_400000_NS6detail17trampoline_kernelINS0_14default_configENS1_22reduce_config_selectorIN6thrust23THRUST_200600_302600_NS5tupleIblNS6_9null_typeES8_S8_S8_S8_S8_S8_S8_EEEEZNS1_11reduce_implILb1ES3_NS6_12zip_iteratorINS7_INS6_11hip_rocprim26transform_input_iterator_tIbNSD_35transform_pair_of_input_iterators_tIbNS6_6detail15normal_iteratorINS6_10device_ptrIKiEEEESL_NS6_8equal_toIiEEEENSG_9not_fun_tINSD_8identityEEEEENSD_19counting_iterator_tIlEES8_S8_S8_S8_S8_S8_S8_S8_EEEEPS9_S9_NSD_9__find_if7functorIS9_EEEE10hipError_tPvRmT1_T2_T3_mT4_P12ihipStream_tbEUlT_E1_NS1_11comp_targetILNS1_3genE3ELNS1_11target_archE908ELNS1_3gpuE7ELNS1_3repE0EEENS1_30default_config_static_selectorELNS0_4arch9wavefront6targetE1EEEvS14_
	.p2align	8
	.type	_ZN7rocprim17ROCPRIM_400000_NS6detail17trampoline_kernelINS0_14default_configENS1_22reduce_config_selectorIN6thrust23THRUST_200600_302600_NS5tupleIblNS6_9null_typeES8_S8_S8_S8_S8_S8_S8_EEEEZNS1_11reduce_implILb1ES3_NS6_12zip_iteratorINS7_INS6_11hip_rocprim26transform_input_iterator_tIbNSD_35transform_pair_of_input_iterators_tIbNS6_6detail15normal_iteratorINS6_10device_ptrIKiEEEESL_NS6_8equal_toIiEEEENSG_9not_fun_tINSD_8identityEEEEENSD_19counting_iterator_tIlEES8_S8_S8_S8_S8_S8_S8_S8_EEEEPS9_S9_NSD_9__find_if7functorIS9_EEEE10hipError_tPvRmT1_T2_T3_mT4_P12ihipStream_tbEUlT_E1_NS1_11comp_targetILNS1_3genE3ELNS1_11target_archE908ELNS1_3gpuE7ELNS1_3repE0EEENS1_30default_config_static_selectorELNS0_4arch9wavefront6targetE1EEEvS14_,@function
_ZN7rocprim17ROCPRIM_400000_NS6detail17trampoline_kernelINS0_14default_configENS1_22reduce_config_selectorIN6thrust23THRUST_200600_302600_NS5tupleIblNS6_9null_typeES8_S8_S8_S8_S8_S8_S8_EEEEZNS1_11reduce_implILb1ES3_NS6_12zip_iteratorINS7_INS6_11hip_rocprim26transform_input_iterator_tIbNSD_35transform_pair_of_input_iterators_tIbNS6_6detail15normal_iteratorINS6_10device_ptrIKiEEEESL_NS6_8equal_toIiEEEENSG_9not_fun_tINSD_8identityEEEEENSD_19counting_iterator_tIlEES8_S8_S8_S8_S8_S8_S8_S8_EEEEPS9_S9_NSD_9__find_if7functorIS9_EEEE10hipError_tPvRmT1_T2_T3_mT4_P12ihipStream_tbEUlT_E1_NS1_11comp_targetILNS1_3genE3ELNS1_11target_archE908ELNS1_3gpuE7ELNS1_3repE0EEENS1_30default_config_static_selectorELNS0_4arch9wavefront6targetE1EEEvS14_: ; @_ZN7rocprim17ROCPRIM_400000_NS6detail17trampoline_kernelINS0_14default_configENS1_22reduce_config_selectorIN6thrust23THRUST_200600_302600_NS5tupleIblNS6_9null_typeES8_S8_S8_S8_S8_S8_S8_EEEEZNS1_11reduce_implILb1ES3_NS6_12zip_iteratorINS7_INS6_11hip_rocprim26transform_input_iterator_tIbNSD_35transform_pair_of_input_iterators_tIbNS6_6detail15normal_iteratorINS6_10device_ptrIKiEEEESL_NS6_8equal_toIiEEEENSG_9not_fun_tINSD_8identityEEEEENSD_19counting_iterator_tIlEES8_S8_S8_S8_S8_S8_S8_S8_EEEEPS9_S9_NSD_9__find_if7functorIS9_EEEE10hipError_tPvRmT1_T2_T3_mT4_P12ihipStream_tbEUlT_E1_NS1_11comp_targetILNS1_3genE3ELNS1_11target_archE908ELNS1_3gpuE7ELNS1_3repE0EEENS1_30default_config_static_selectorELNS0_4arch9wavefront6targetE1EEEvS14_
; %bb.0:
	.section	.rodata,"a",@progbits
	.p2align	6, 0x0
	.amdhsa_kernel _ZN7rocprim17ROCPRIM_400000_NS6detail17trampoline_kernelINS0_14default_configENS1_22reduce_config_selectorIN6thrust23THRUST_200600_302600_NS5tupleIblNS6_9null_typeES8_S8_S8_S8_S8_S8_S8_EEEEZNS1_11reduce_implILb1ES3_NS6_12zip_iteratorINS7_INS6_11hip_rocprim26transform_input_iterator_tIbNSD_35transform_pair_of_input_iterators_tIbNS6_6detail15normal_iteratorINS6_10device_ptrIKiEEEESL_NS6_8equal_toIiEEEENSG_9not_fun_tINSD_8identityEEEEENSD_19counting_iterator_tIlEES8_S8_S8_S8_S8_S8_S8_S8_EEEEPS9_S9_NSD_9__find_if7functorIS9_EEEE10hipError_tPvRmT1_T2_T3_mT4_P12ihipStream_tbEUlT_E1_NS1_11comp_targetILNS1_3genE3ELNS1_11target_archE908ELNS1_3gpuE7ELNS1_3repE0EEENS1_30default_config_static_selectorELNS0_4arch9wavefront6targetE1EEEvS14_
		.amdhsa_group_segment_fixed_size 0
		.amdhsa_private_segment_fixed_size 0
		.amdhsa_kernarg_size 88
		.amdhsa_user_sgpr_count 6
		.amdhsa_user_sgpr_private_segment_buffer 1
		.amdhsa_user_sgpr_dispatch_ptr 0
		.amdhsa_user_sgpr_queue_ptr 0
		.amdhsa_user_sgpr_kernarg_segment_ptr 1
		.amdhsa_user_sgpr_dispatch_id 0
		.amdhsa_user_sgpr_flat_scratch_init 0
		.amdhsa_user_sgpr_kernarg_preload_length 0
		.amdhsa_user_sgpr_kernarg_preload_offset 0
		.amdhsa_user_sgpr_private_segment_size 0
		.amdhsa_uses_dynamic_stack 0
		.amdhsa_system_sgpr_private_segment_wavefront_offset 0
		.amdhsa_system_sgpr_workgroup_id_x 1
		.amdhsa_system_sgpr_workgroup_id_y 0
		.amdhsa_system_sgpr_workgroup_id_z 0
		.amdhsa_system_sgpr_workgroup_info 0
		.amdhsa_system_vgpr_workitem_id 0
		.amdhsa_next_free_vgpr 1
		.amdhsa_next_free_sgpr 0
		.amdhsa_accum_offset 4
		.amdhsa_reserve_vcc 0
		.amdhsa_reserve_flat_scratch 0
		.amdhsa_float_round_mode_32 0
		.amdhsa_float_round_mode_16_64 0
		.amdhsa_float_denorm_mode_32 3
		.amdhsa_float_denorm_mode_16_64 3
		.amdhsa_dx10_clamp 1
		.amdhsa_ieee_mode 1
		.amdhsa_fp16_overflow 0
		.amdhsa_tg_split 0
		.amdhsa_exception_fp_ieee_invalid_op 0
		.amdhsa_exception_fp_denorm_src 0
		.amdhsa_exception_fp_ieee_div_zero 0
		.amdhsa_exception_fp_ieee_overflow 0
		.amdhsa_exception_fp_ieee_underflow 0
		.amdhsa_exception_fp_ieee_inexact 0
		.amdhsa_exception_int_div_zero 0
	.end_amdhsa_kernel
	.section	.text._ZN7rocprim17ROCPRIM_400000_NS6detail17trampoline_kernelINS0_14default_configENS1_22reduce_config_selectorIN6thrust23THRUST_200600_302600_NS5tupleIblNS6_9null_typeES8_S8_S8_S8_S8_S8_S8_EEEEZNS1_11reduce_implILb1ES3_NS6_12zip_iteratorINS7_INS6_11hip_rocprim26transform_input_iterator_tIbNSD_35transform_pair_of_input_iterators_tIbNS6_6detail15normal_iteratorINS6_10device_ptrIKiEEEESL_NS6_8equal_toIiEEEENSG_9not_fun_tINSD_8identityEEEEENSD_19counting_iterator_tIlEES8_S8_S8_S8_S8_S8_S8_S8_EEEEPS9_S9_NSD_9__find_if7functorIS9_EEEE10hipError_tPvRmT1_T2_T3_mT4_P12ihipStream_tbEUlT_E1_NS1_11comp_targetILNS1_3genE3ELNS1_11target_archE908ELNS1_3gpuE7ELNS1_3repE0EEENS1_30default_config_static_selectorELNS0_4arch9wavefront6targetE1EEEvS14_,"axG",@progbits,_ZN7rocprim17ROCPRIM_400000_NS6detail17trampoline_kernelINS0_14default_configENS1_22reduce_config_selectorIN6thrust23THRUST_200600_302600_NS5tupleIblNS6_9null_typeES8_S8_S8_S8_S8_S8_S8_EEEEZNS1_11reduce_implILb1ES3_NS6_12zip_iteratorINS7_INS6_11hip_rocprim26transform_input_iterator_tIbNSD_35transform_pair_of_input_iterators_tIbNS6_6detail15normal_iteratorINS6_10device_ptrIKiEEEESL_NS6_8equal_toIiEEEENSG_9not_fun_tINSD_8identityEEEEENSD_19counting_iterator_tIlEES8_S8_S8_S8_S8_S8_S8_S8_EEEEPS9_S9_NSD_9__find_if7functorIS9_EEEE10hipError_tPvRmT1_T2_T3_mT4_P12ihipStream_tbEUlT_E1_NS1_11comp_targetILNS1_3genE3ELNS1_11target_archE908ELNS1_3gpuE7ELNS1_3repE0EEENS1_30default_config_static_selectorELNS0_4arch9wavefront6targetE1EEEvS14_,comdat
.Lfunc_end273:
	.size	_ZN7rocprim17ROCPRIM_400000_NS6detail17trampoline_kernelINS0_14default_configENS1_22reduce_config_selectorIN6thrust23THRUST_200600_302600_NS5tupleIblNS6_9null_typeES8_S8_S8_S8_S8_S8_S8_EEEEZNS1_11reduce_implILb1ES3_NS6_12zip_iteratorINS7_INS6_11hip_rocprim26transform_input_iterator_tIbNSD_35transform_pair_of_input_iterators_tIbNS6_6detail15normal_iteratorINS6_10device_ptrIKiEEEESL_NS6_8equal_toIiEEEENSG_9not_fun_tINSD_8identityEEEEENSD_19counting_iterator_tIlEES8_S8_S8_S8_S8_S8_S8_S8_EEEEPS9_S9_NSD_9__find_if7functorIS9_EEEE10hipError_tPvRmT1_T2_T3_mT4_P12ihipStream_tbEUlT_E1_NS1_11comp_targetILNS1_3genE3ELNS1_11target_archE908ELNS1_3gpuE7ELNS1_3repE0EEENS1_30default_config_static_selectorELNS0_4arch9wavefront6targetE1EEEvS14_, .Lfunc_end273-_ZN7rocprim17ROCPRIM_400000_NS6detail17trampoline_kernelINS0_14default_configENS1_22reduce_config_selectorIN6thrust23THRUST_200600_302600_NS5tupleIblNS6_9null_typeES8_S8_S8_S8_S8_S8_S8_EEEEZNS1_11reduce_implILb1ES3_NS6_12zip_iteratorINS7_INS6_11hip_rocprim26transform_input_iterator_tIbNSD_35transform_pair_of_input_iterators_tIbNS6_6detail15normal_iteratorINS6_10device_ptrIKiEEEESL_NS6_8equal_toIiEEEENSG_9not_fun_tINSD_8identityEEEEENSD_19counting_iterator_tIlEES8_S8_S8_S8_S8_S8_S8_S8_EEEEPS9_S9_NSD_9__find_if7functorIS9_EEEE10hipError_tPvRmT1_T2_T3_mT4_P12ihipStream_tbEUlT_E1_NS1_11comp_targetILNS1_3genE3ELNS1_11target_archE908ELNS1_3gpuE7ELNS1_3repE0EEENS1_30default_config_static_selectorELNS0_4arch9wavefront6targetE1EEEvS14_
                                        ; -- End function
	.section	.AMDGPU.csdata,"",@progbits
; Kernel info:
; codeLenInByte = 0
; NumSgprs: 4
; NumVgprs: 0
; NumAgprs: 0
; TotalNumVgprs: 0
; ScratchSize: 0
; MemoryBound: 0
; FloatMode: 240
; IeeeMode: 1
; LDSByteSize: 0 bytes/workgroup (compile time only)
; SGPRBlocks: 0
; VGPRBlocks: 0
; NumSGPRsForWavesPerEU: 4
; NumVGPRsForWavesPerEU: 1
; AccumOffset: 4
; Occupancy: 8
; WaveLimiterHint : 0
; COMPUTE_PGM_RSRC2:SCRATCH_EN: 0
; COMPUTE_PGM_RSRC2:USER_SGPR: 6
; COMPUTE_PGM_RSRC2:TRAP_HANDLER: 0
; COMPUTE_PGM_RSRC2:TGID_X_EN: 1
; COMPUTE_PGM_RSRC2:TGID_Y_EN: 0
; COMPUTE_PGM_RSRC2:TGID_Z_EN: 0
; COMPUTE_PGM_RSRC2:TIDIG_COMP_CNT: 0
; COMPUTE_PGM_RSRC3_GFX90A:ACCUM_OFFSET: 0
; COMPUTE_PGM_RSRC3_GFX90A:TG_SPLIT: 0
	.section	.text._ZN7rocprim17ROCPRIM_400000_NS6detail17trampoline_kernelINS0_14default_configENS1_22reduce_config_selectorIN6thrust23THRUST_200600_302600_NS5tupleIblNS6_9null_typeES8_S8_S8_S8_S8_S8_S8_EEEEZNS1_11reduce_implILb1ES3_NS6_12zip_iteratorINS7_INS6_11hip_rocprim26transform_input_iterator_tIbNSD_35transform_pair_of_input_iterators_tIbNS6_6detail15normal_iteratorINS6_10device_ptrIKiEEEESL_NS6_8equal_toIiEEEENSG_9not_fun_tINSD_8identityEEEEENSD_19counting_iterator_tIlEES8_S8_S8_S8_S8_S8_S8_S8_EEEEPS9_S9_NSD_9__find_if7functorIS9_EEEE10hipError_tPvRmT1_T2_T3_mT4_P12ihipStream_tbEUlT_E1_NS1_11comp_targetILNS1_3genE2ELNS1_11target_archE906ELNS1_3gpuE6ELNS1_3repE0EEENS1_30default_config_static_selectorELNS0_4arch9wavefront6targetE1EEEvS14_,"axG",@progbits,_ZN7rocprim17ROCPRIM_400000_NS6detail17trampoline_kernelINS0_14default_configENS1_22reduce_config_selectorIN6thrust23THRUST_200600_302600_NS5tupleIblNS6_9null_typeES8_S8_S8_S8_S8_S8_S8_EEEEZNS1_11reduce_implILb1ES3_NS6_12zip_iteratorINS7_INS6_11hip_rocprim26transform_input_iterator_tIbNSD_35transform_pair_of_input_iterators_tIbNS6_6detail15normal_iteratorINS6_10device_ptrIKiEEEESL_NS6_8equal_toIiEEEENSG_9not_fun_tINSD_8identityEEEEENSD_19counting_iterator_tIlEES8_S8_S8_S8_S8_S8_S8_S8_EEEEPS9_S9_NSD_9__find_if7functorIS9_EEEE10hipError_tPvRmT1_T2_T3_mT4_P12ihipStream_tbEUlT_E1_NS1_11comp_targetILNS1_3genE2ELNS1_11target_archE906ELNS1_3gpuE6ELNS1_3repE0EEENS1_30default_config_static_selectorELNS0_4arch9wavefront6targetE1EEEvS14_,comdat
	.protected	_ZN7rocprim17ROCPRIM_400000_NS6detail17trampoline_kernelINS0_14default_configENS1_22reduce_config_selectorIN6thrust23THRUST_200600_302600_NS5tupleIblNS6_9null_typeES8_S8_S8_S8_S8_S8_S8_EEEEZNS1_11reduce_implILb1ES3_NS6_12zip_iteratorINS7_INS6_11hip_rocprim26transform_input_iterator_tIbNSD_35transform_pair_of_input_iterators_tIbNS6_6detail15normal_iteratorINS6_10device_ptrIKiEEEESL_NS6_8equal_toIiEEEENSG_9not_fun_tINSD_8identityEEEEENSD_19counting_iterator_tIlEES8_S8_S8_S8_S8_S8_S8_S8_EEEEPS9_S9_NSD_9__find_if7functorIS9_EEEE10hipError_tPvRmT1_T2_T3_mT4_P12ihipStream_tbEUlT_E1_NS1_11comp_targetILNS1_3genE2ELNS1_11target_archE906ELNS1_3gpuE6ELNS1_3repE0EEENS1_30default_config_static_selectorELNS0_4arch9wavefront6targetE1EEEvS14_ ; -- Begin function _ZN7rocprim17ROCPRIM_400000_NS6detail17trampoline_kernelINS0_14default_configENS1_22reduce_config_selectorIN6thrust23THRUST_200600_302600_NS5tupleIblNS6_9null_typeES8_S8_S8_S8_S8_S8_S8_EEEEZNS1_11reduce_implILb1ES3_NS6_12zip_iteratorINS7_INS6_11hip_rocprim26transform_input_iterator_tIbNSD_35transform_pair_of_input_iterators_tIbNS6_6detail15normal_iteratorINS6_10device_ptrIKiEEEESL_NS6_8equal_toIiEEEENSG_9not_fun_tINSD_8identityEEEEENSD_19counting_iterator_tIlEES8_S8_S8_S8_S8_S8_S8_S8_EEEEPS9_S9_NSD_9__find_if7functorIS9_EEEE10hipError_tPvRmT1_T2_T3_mT4_P12ihipStream_tbEUlT_E1_NS1_11comp_targetILNS1_3genE2ELNS1_11target_archE906ELNS1_3gpuE6ELNS1_3repE0EEENS1_30default_config_static_selectorELNS0_4arch9wavefront6targetE1EEEvS14_
	.globl	_ZN7rocprim17ROCPRIM_400000_NS6detail17trampoline_kernelINS0_14default_configENS1_22reduce_config_selectorIN6thrust23THRUST_200600_302600_NS5tupleIblNS6_9null_typeES8_S8_S8_S8_S8_S8_S8_EEEEZNS1_11reduce_implILb1ES3_NS6_12zip_iteratorINS7_INS6_11hip_rocprim26transform_input_iterator_tIbNSD_35transform_pair_of_input_iterators_tIbNS6_6detail15normal_iteratorINS6_10device_ptrIKiEEEESL_NS6_8equal_toIiEEEENSG_9not_fun_tINSD_8identityEEEEENSD_19counting_iterator_tIlEES8_S8_S8_S8_S8_S8_S8_S8_EEEEPS9_S9_NSD_9__find_if7functorIS9_EEEE10hipError_tPvRmT1_T2_T3_mT4_P12ihipStream_tbEUlT_E1_NS1_11comp_targetILNS1_3genE2ELNS1_11target_archE906ELNS1_3gpuE6ELNS1_3repE0EEENS1_30default_config_static_selectorELNS0_4arch9wavefront6targetE1EEEvS14_
	.p2align	8
	.type	_ZN7rocprim17ROCPRIM_400000_NS6detail17trampoline_kernelINS0_14default_configENS1_22reduce_config_selectorIN6thrust23THRUST_200600_302600_NS5tupleIblNS6_9null_typeES8_S8_S8_S8_S8_S8_S8_EEEEZNS1_11reduce_implILb1ES3_NS6_12zip_iteratorINS7_INS6_11hip_rocprim26transform_input_iterator_tIbNSD_35transform_pair_of_input_iterators_tIbNS6_6detail15normal_iteratorINS6_10device_ptrIKiEEEESL_NS6_8equal_toIiEEEENSG_9not_fun_tINSD_8identityEEEEENSD_19counting_iterator_tIlEES8_S8_S8_S8_S8_S8_S8_S8_EEEEPS9_S9_NSD_9__find_if7functorIS9_EEEE10hipError_tPvRmT1_T2_T3_mT4_P12ihipStream_tbEUlT_E1_NS1_11comp_targetILNS1_3genE2ELNS1_11target_archE906ELNS1_3gpuE6ELNS1_3repE0EEENS1_30default_config_static_selectorELNS0_4arch9wavefront6targetE1EEEvS14_,@function
_ZN7rocprim17ROCPRIM_400000_NS6detail17trampoline_kernelINS0_14default_configENS1_22reduce_config_selectorIN6thrust23THRUST_200600_302600_NS5tupleIblNS6_9null_typeES8_S8_S8_S8_S8_S8_S8_EEEEZNS1_11reduce_implILb1ES3_NS6_12zip_iteratorINS7_INS6_11hip_rocprim26transform_input_iterator_tIbNSD_35transform_pair_of_input_iterators_tIbNS6_6detail15normal_iteratorINS6_10device_ptrIKiEEEESL_NS6_8equal_toIiEEEENSG_9not_fun_tINSD_8identityEEEEENSD_19counting_iterator_tIlEES8_S8_S8_S8_S8_S8_S8_S8_EEEEPS9_S9_NSD_9__find_if7functorIS9_EEEE10hipError_tPvRmT1_T2_T3_mT4_P12ihipStream_tbEUlT_E1_NS1_11comp_targetILNS1_3genE2ELNS1_11target_archE906ELNS1_3gpuE6ELNS1_3repE0EEENS1_30default_config_static_selectorELNS0_4arch9wavefront6targetE1EEEvS14_: ; @_ZN7rocprim17ROCPRIM_400000_NS6detail17trampoline_kernelINS0_14default_configENS1_22reduce_config_selectorIN6thrust23THRUST_200600_302600_NS5tupleIblNS6_9null_typeES8_S8_S8_S8_S8_S8_S8_EEEEZNS1_11reduce_implILb1ES3_NS6_12zip_iteratorINS7_INS6_11hip_rocprim26transform_input_iterator_tIbNSD_35transform_pair_of_input_iterators_tIbNS6_6detail15normal_iteratorINS6_10device_ptrIKiEEEESL_NS6_8equal_toIiEEEENSG_9not_fun_tINSD_8identityEEEEENSD_19counting_iterator_tIlEES8_S8_S8_S8_S8_S8_S8_S8_EEEEPS9_S9_NSD_9__find_if7functorIS9_EEEE10hipError_tPvRmT1_T2_T3_mT4_P12ihipStream_tbEUlT_E1_NS1_11comp_targetILNS1_3genE2ELNS1_11target_archE906ELNS1_3gpuE6ELNS1_3repE0EEENS1_30default_config_static_selectorELNS0_4arch9wavefront6targetE1EEEvS14_
; %bb.0:
	.section	.rodata,"a",@progbits
	.p2align	6, 0x0
	.amdhsa_kernel _ZN7rocprim17ROCPRIM_400000_NS6detail17trampoline_kernelINS0_14default_configENS1_22reduce_config_selectorIN6thrust23THRUST_200600_302600_NS5tupleIblNS6_9null_typeES8_S8_S8_S8_S8_S8_S8_EEEEZNS1_11reduce_implILb1ES3_NS6_12zip_iteratorINS7_INS6_11hip_rocprim26transform_input_iterator_tIbNSD_35transform_pair_of_input_iterators_tIbNS6_6detail15normal_iteratorINS6_10device_ptrIKiEEEESL_NS6_8equal_toIiEEEENSG_9not_fun_tINSD_8identityEEEEENSD_19counting_iterator_tIlEES8_S8_S8_S8_S8_S8_S8_S8_EEEEPS9_S9_NSD_9__find_if7functorIS9_EEEE10hipError_tPvRmT1_T2_T3_mT4_P12ihipStream_tbEUlT_E1_NS1_11comp_targetILNS1_3genE2ELNS1_11target_archE906ELNS1_3gpuE6ELNS1_3repE0EEENS1_30default_config_static_selectorELNS0_4arch9wavefront6targetE1EEEvS14_
		.amdhsa_group_segment_fixed_size 0
		.amdhsa_private_segment_fixed_size 0
		.amdhsa_kernarg_size 88
		.amdhsa_user_sgpr_count 6
		.amdhsa_user_sgpr_private_segment_buffer 1
		.amdhsa_user_sgpr_dispatch_ptr 0
		.amdhsa_user_sgpr_queue_ptr 0
		.amdhsa_user_sgpr_kernarg_segment_ptr 1
		.amdhsa_user_sgpr_dispatch_id 0
		.amdhsa_user_sgpr_flat_scratch_init 0
		.amdhsa_user_sgpr_kernarg_preload_length 0
		.amdhsa_user_sgpr_kernarg_preload_offset 0
		.amdhsa_user_sgpr_private_segment_size 0
		.amdhsa_uses_dynamic_stack 0
		.amdhsa_system_sgpr_private_segment_wavefront_offset 0
		.amdhsa_system_sgpr_workgroup_id_x 1
		.amdhsa_system_sgpr_workgroup_id_y 0
		.amdhsa_system_sgpr_workgroup_id_z 0
		.amdhsa_system_sgpr_workgroup_info 0
		.amdhsa_system_vgpr_workitem_id 0
		.amdhsa_next_free_vgpr 1
		.amdhsa_next_free_sgpr 0
		.amdhsa_accum_offset 4
		.amdhsa_reserve_vcc 0
		.amdhsa_reserve_flat_scratch 0
		.amdhsa_float_round_mode_32 0
		.amdhsa_float_round_mode_16_64 0
		.amdhsa_float_denorm_mode_32 3
		.amdhsa_float_denorm_mode_16_64 3
		.amdhsa_dx10_clamp 1
		.amdhsa_ieee_mode 1
		.amdhsa_fp16_overflow 0
		.amdhsa_tg_split 0
		.amdhsa_exception_fp_ieee_invalid_op 0
		.amdhsa_exception_fp_denorm_src 0
		.amdhsa_exception_fp_ieee_div_zero 0
		.amdhsa_exception_fp_ieee_overflow 0
		.amdhsa_exception_fp_ieee_underflow 0
		.amdhsa_exception_fp_ieee_inexact 0
		.amdhsa_exception_int_div_zero 0
	.end_amdhsa_kernel
	.section	.text._ZN7rocprim17ROCPRIM_400000_NS6detail17trampoline_kernelINS0_14default_configENS1_22reduce_config_selectorIN6thrust23THRUST_200600_302600_NS5tupleIblNS6_9null_typeES8_S8_S8_S8_S8_S8_S8_EEEEZNS1_11reduce_implILb1ES3_NS6_12zip_iteratorINS7_INS6_11hip_rocprim26transform_input_iterator_tIbNSD_35transform_pair_of_input_iterators_tIbNS6_6detail15normal_iteratorINS6_10device_ptrIKiEEEESL_NS6_8equal_toIiEEEENSG_9not_fun_tINSD_8identityEEEEENSD_19counting_iterator_tIlEES8_S8_S8_S8_S8_S8_S8_S8_EEEEPS9_S9_NSD_9__find_if7functorIS9_EEEE10hipError_tPvRmT1_T2_T3_mT4_P12ihipStream_tbEUlT_E1_NS1_11comp_targetILNS1_3genE2ELNS1_11target_archE906ELNS1_3gpuE6ELNS1_3repE0EEENS1_30default_config_static_selectorELNS0_4arch9wavefront6targetE1EEEvS14_,"axG",@progbits,_ZN7rocprim17ROCPRIM_400000_NS6detail17trampoline_kernelINS0_14default_configENS1_22reduce_config_selectorIN6thrust23THRUST_200600_302600_NS5tupleIblNS6_9null_typeES8_S8_S8_S8_S8_S8_S8_EEEEZNS1_11reduce_implILb1ES3_NS6_12zip_iteratorINS7_INS6_11hip_rocprim26transform_input_iterator_tIbNSD_35transform_pair_of_input_iterators_tIbNS6_6detail15normal_iteratorINS6_10device_ptrIKiEEEESL_NS6_8equal_toIiEEEENSG_9not_fun_tINSD_8identityEEEEENSD_19counting_iterator_tIlEES8_S8_S8_S8_S8_S8_S8_S8_EEEEPS9_S9_NSD_9__find_if7functorIS9_EEEE10hipError_tPvRmT1_T2_T3_mT4_P12ihipStream_tbEUlT_E1_NS1_11comp_targetILNS1_3genE2ELNS1_11target_archE906ELNS1_3gpuE6ELNS1_3repE0EEENS1_30default_config_static_selectorELNS0_4arch9wavefront6targetE1EEEvS14_,comdat
.Lfunc_end274:
	.size	_ZN7rocprim17ROCPRIM_400000_NS6detail17trampoline_kernelINS0_14default_configENS1_22reduce_config_selectorIN6thrust23THRUST_200600_302600_NS5tupleIblNS6_9null_typeES8_S8_S8_S8_S8_S8_S8_EEEEZNS1_11reduce_implILb1ES3_NS6_12zip_iteratorINS7_INS6_11hip_rocprim26transform_input_iterator_tIbNSD_35transform_pair_of_input_iterators_tIbNS6_6detail15normal_iteratorINS6_10device_ptrIKiEEEESL_NS6_8equal_toIiEEEENSG_9not_fun_tINSD_8identityEEEEENSD_19counting_iterator_tIlEES8_S8_S8_S8_S8_S8_S8_S8_EEEEPS9_S9_NSD_9__find_if7functorIS9_EEEE10hipError_tPvRmT1_T2_T3_mT4_P12ihipStream_tbEUlT_E1_NS1_11comp_targetILNS1_3genE2ELNS1_11target_archE906ELNS1_3gpuE6ELNS1_3repE0EEENS1_30default_config_static_selectorELNS0_4arch9wavefront6targetE1EEEvS14_, .Lfunc_end274-_ZN7rocprim17ROCPRIM_400000_NS6detail17trampoline_kernelINS0_14default_configENS1_22reduce_config_selectorIN6thrust23THRUST_200600_302600_NS5tupleIblNS6_9null_typeES8_S8_S8_S8_S8_S8_S8_EEEEZNS1_11reduce_implILb1ES3_NS6_12zip_iteratorINS7_INS6_11hip_rocprim26transform_input_iterator_tIbNSD_35transform_pair_of_input_iterators_tIbNS6_6detail15normal_iteratorINS6_10device_ptrIKiEEEESL_NS6_8equal_toIiEEEENSG_9not_fun_tINSD_8identityEEEEENSD_19counting_iterator_tIlEES8_S8_S8_S8_S8_S8_S8_S8_EEEEPS9_S9_NSD_9__find_if7functorIS9_EEEE10hipError_tPvRmT1_T2_T3_mT4_P12ihipStream_tbEUlT_E1_NS1_11comp_targetILNS1_3genE2ELNS1_11target_archE906ELNS1_3gpuE6ELNS1_3repE0EEENS1_30default_config_static_selectorELNS0_4arch9wavefront6targetE1EEEvS14_
                                        ; -- End function
	.section	.AMDGPU.csdata,"",@progbits
; Kernel info:
; codeLenInByte = 0
; NumSgprs: 4
; NumVgprs: 0
; NumAgprs: 0
; TotalNumVgprs: 0
; ScratchSize: 0
; MemoryBound: 0
; FloatMode: 240
; IeeeMode: 1
; LDSByteSize: 0 bytes/workgroup (compile time only)
; SGPRBlocks: 0
; VGPRBlocks: 0
; NumSGPRsForWavesPerEU: 4
; NumVGPRsForWavesPerEU: 1
; AccumOffset: 4
; Occupancy: 8
; WaveLimiterHint : 0
; COMPUTE_PGM_RSRC2:SCRATCH_EN: 0
; COMPUTE_PGM_RSRC2:USER_SGPR: 6
; COMPUTE_PGM_RSRC2:TRAP_HANDLER: 0
; COMPUTE_PGM_RSRC2:TGID_X_EN: 1
; COMPUTE_PGM_RSRC2:TGID_Y_EN: 0
; COMPUTE_PGM_RSRC2:TGID_Z_EN: 0
; COMPUTE_PGM_RSRC2:TIDIG_COMP_CNT: 0
; COMPUTE_PGM_RSRC3_GFX90A:ACCUM_OFFSET: 0
; COMPUTE_PGM_RSRC3_GFX90A:TG_SPLIT: 0
	.section	.text._ZN7rocprim17ROCPRIM_400000_NS6detail17trampoline_kernelINS0_14default_configENS1_22reduce_config_selectorIN6thrust23THRUST_200600_302600_NS5tupleIblNS6_9null_typeES8_S8_S8_S8_S8_S8_S8_EEEEZNS1_11reduce_implILb1ES3_NS6_12zip_iteratorINS7_INS6_11hip_rocprim26transform_input_iterator_tIbNSD_35transform_pair_of_input_iterators_tIbNS6_6detail15normal_iteratorINS6_10device_ptrIKiEEEESL_NS6_8equal_toIiEEEENSG_9not_fun_tINSD_8identityEEEEENSD_19counting_iterator_tIlEES8_S8_S8_S8_S8_S8_S8_S8_EEEEPS9_S9_NSD_9__find_if7functorIS9_EEEE10hipError_tPvRmT1_T2_T3_mT4_P12ihipStream_tbEUlT_E1_NS1_11comp_targetILNS1_3genE10ELNS1_11target_archE1201ELNS1_3gpuE5ELNS1_3repE0EEENS1_30default_config_static_selectorELNS0_4arch9wavefront6targetE1EEEvS14_,"axG",@progbits,_ZN7rocprim17ROCPRIM_400000_NS6detail17trampoline_kernelINS0_14default_configENS1_22reduce_config_selectorIN6thrust23THRUST_200600_302600_NS5tupleIblNS6_9null_typeES8_S8_S8_S8_S8_S8_S8_EEEEZNS1_11reduce_implILb1ES3_NS6_12zip_iteratorINS7_INS6_11hip_rocprim26transform_input_iterator_tIbNSD_35transform_pair_of_input_iterators_tIbNS6_6detail15normal_iteratorINS6_10device_ptrIKiEEEESL_NS6_8equal_toIiEEEENSG_9not_fun_tINSD_8identityEEEEENSD_19counting_iterator_tIlEES8_S8_S8_S8_S8_S8_S8_S8_EEEEPS9_S9_NSD_9__find_if7functorIS9_EEEE10hipError_tPvRmT1_T2_T3_mT4_P12ihipStream_tbEUlT_E1_NS1_11comp_targetILNS1_3genE10ELNS1_11target_archE1201ELNS1_3gpuE5ELNS1_3repE0EEENS1_30default_config_static_selectorELNS0_4arch9wavefront6targetE1EEEvS14_,comdat
	.protected	_ZN7rocprim17ROCPRIM_400000_NS6detail17trampoline_kernelINS0_14default_configENS1_22reduce_config_selectorIN6thrust23THRUST_200600_302600_NS5tupleIblNS6_9null_typeES8_S8_S8_S8_S8_S8_S8_EEEEZNS1_11reduce_implILb1ES3_NS6_12zip_iteratorINS7_INS6_11hip_rocprim26transform_input_iterator_tIbNSD_35transform_pair_of_input_iterators_tIbNS6_6detail15normal_iteratorINS6_10device_ptrIKiEEEESL_NS6_8equal_toIiEEEENSG_9not_fun_tINSD_8identityEEEEENSD_19counting_iterator_tIlEES8_S8_S8_S8_S8_S8_S8_S8_EEEEPS9_S9_NSD_9__find_if7functorIS9_EEEE10hipError_tPvRmT1_T2_T3_mT4_P12ihipStream_tbEUlT_E1_NS1_11comp_targetILNS1_3genE10ELNS1_11target_archE1201ELNS1_3gpuE5ELNS1_3repE0EEENS1_30default_config_static_selectorELNS0_4arch9wavefront6targetE1EEEvS14_ ; -- Begin function _ZN7rocprim17ROCPRIM_400000_NS6detail17trampoline_kernelINS0_14default_configENS1_22reduce_config_selectorIN6thrust23THRUST_200600_302600_NS5tupleIblNS6_9null_typeES8_S8_S8_S8_S8_S8_S8_EEEEZNS1_11reduce_implILb1ES3_NS6_12zip_iteratorINS7_INS6_11hip_rocprim26transform_input_iterator_tIbNSD_35transform_pair_of_input_iterators_tIbNS6_6detail15normal_iteratorINS6_10device_ptrIKiEEEESL_NS6_8equal_toIiEEEENSG_9not_fun_tINSD_8identityEEEEENSD_19counting_iterator_tIlEES8_S8_S8_S8_S8_S8_S8_S8_EEEEPS9_S9_NSD_9__find_if7functorIS9_EEEE10hipError_tPvRmT1_T2_T3_mT4_P12ihipStream_tbEUlT_E1_NS1_11comp_targetILNS1_3genE10ELNS1_11target_archE1201ELNS1_3gpuE5ELNS1_3repE0EEENS1_30default_config_static_selectorELNS0_4arch9wavefront6targetE1EEEvS14_
	.globl	_ZN7rocprim17ROCPRIM_400000_NS6detail17trampoline_kernelINS0_14default_configENS1_22reduce_config_selectorIN6thrust23THRUST_200600_302600_NS5tupleIblNS6_9null_typeES8_S8_S8_S8_S8_S8_S8_EEEEZNS1_11reduce_implILb1ES3_NS6_12zip_iteratorINS7_INS6_11hip_rocprim26transform_input_iterator_tIbNSD_35transform_pair_of_input_iterators_tIbNS6_6detail15normal_iteratorINS6_10device_ptrIKiEEEESL_NS6_8equal_toIiEEEENSG_9not_fun_tINSD_8identityEEEEENSD_19counting_iterator_tIlEES8_S8_S8_S8_S8_S8_S8_S8_EEEEPS9_S9_NSD_9__find_if7functorIS9_EEEE10hipError_tPvRmT1_T2_T3_mT4_P12ihipStream_tbEUlT_E1_NS1_11comp_targetILNS1_3genE10ELNS1_11target_archE1201ELNS1_3gpuE5ELNS1_3repE0EEENS1_30default_config_static_selectorELNS0_4arch9wavefront6targetE1EEEvS14_
	.p2align	8
	.type	_ZN7rocprim17ROCPRIM_400000_NS6detail17trampoline_kernelINS0_14default_configENS1_22reduce_config_selectorIN6thrust23THRUST_200600_302600_NS5tupleIblNS6_9null_typeES8_S8_S8_S8_S8_S8_S8_EEEEZNS1_11reduce_implILb1ES3_NS6_12zip_iteratorINS7_INS6_11hip_rocprim26transform_input_iterator_tIbNSD_35transform_pair_of_input_iterators_tIbNS6_6detail15normal_iteratorINS6_10device_ptrIKiEEEESL_NS6_8equal_toIiEEEENSG_9not_fun_tINSD_8identityEEEEENSD_19counting_iterator_tIlEES8_S8_S8_S8_S8_S8_S8_S8_EEEEPS9_S9_NSD_9__find_if7functorIS9_EEEE10hipError_tPvRmT1_T2_T3_mT4_P12ihipStream_tbEUlT_E1_NS1_11comp_targetILNS1_3genE10ELNS1_11target_archE1201ELNS1_3gpuE5ELNS1_3repE0EEENS1_30default_config_static_selectorELNS0_4arch9wavefront6targetE1EEEvS14_,@function
_ZN7rocprim17ROCPRIM_400000_NS6detail17trampoline_kernelINS0_14default_configENS1_22reduce_config_selectorIN6thrust23THRUST_200600_302600_NS5tupleIblNS6_9null_typeES8_S8_S8_S8_S8_S8_S8_EEEEZNS1_11reduce_implILb1ES3_NS6_12zip_iteratorINS7_INS6_11hip_rocprim26transform_input_iterator_tIbNSD_35transform_pair_of_input_iterators_tIbNS6_6detail15normal_iteratorINS6_10device_ptrIKiEEEESL_NS6_8equal_toIiEEEENSG_9not_fun_tINSD_8identityEEEEENSD_19counting_iterator_tIlEES8_S8_S8_S8_S8_S8_S8_S8_EEEEPS9_S9_NSD_9__find_if7functorIS9_EEEE10hipError_tPvRmT1_T2_T3_mT4_P12ihipStream_tbEUlT_E1_NS1_11comp_targetILNS1_3genE10ELNS1_11target_archE1201ELNS1_3gpuE5ELNS1_3repE0EEENS1_30default_config_static_selectorELNS0_4arch9wavefront6targetE1EEEvS14_: ; @_ZN7rocprim17ROCPRIM_400000_NS6detail17trampoline_kernelINS0_14default_configENS1_22reduce_config_selectorIN6thrust23THRUST_200600_302600_NS5tupleIblNS6_9null_typeES8_S8_S8_S8_S8_S8_S8_EEEEZNS1_11reduce_implILb1ES3_NS6_12zip_iteratorINS7_INS6_11hip_rocprim26transform_input_iterator_tIbNSD_35transform_pair_of_input_iterators_tIbNS6_6detail15normal_iteratorINS6_10device_ptrIKiEEEESL_NS6_8equal_toIiEEEENSG_9not_fun_tINSD_8identityEEEEENSD_19counting_iterator_tIlEES8_S8_S8_S8_S8_S8_S8_S8_EEEEPS9_S9_NSD_9__find_if7functorIS9_EEEE10hipError_tPvRmT1_T2_T3_mT4_P12ihipStream_tbEUlT_E1_NS1_11comp_targetILNS1_3genE10ELNS1_11target_archE1201ELNS1_3gpuE5ELNS1_3repE0EEENS1_30default_config_static_selectorELNS0_4arch9wavefront6targetE1EEEvS14_
; %bb.0:
	.section	.rodata,"a",@progbits
	.p2align	6, 0x0
	.amdhsa_kernel _ZN7rocprim17ROCPRIM_400000_NS6detail17trampoline_kernelINS0_14default_configENS1_22reduce_config_selectorIN6thrust23THRUST_200600_302600_NS5tupleIblNS6_9null_typeES8_S8_S8_S8_S8_S8_S8_EEEEZNS1_11reduce_implILb1ES3_NS6_12zip_iteratorINS7_INS6_11hip_rocprim26transform_input_iterator_tIbNSD_35transform_pair_of_input_iterators_tIbNS6_6detail15normal_iteratorINS6_10device_ptrIKiEEEESL_NS6_8equal_toIiEEEENSG_9not_fun_tINSD_8identityEEEEENSD_19counting_iterator_tIlEES8_S8_S8_S8_S8_S8_S8_S8_EEEEPS9_S9_NSD_9__find_if7functorIS9_EEEE10hipError_tPvRmT1_T2_T3_mT4_P12ihipStream_tbEUlT_E1_NS1_11comp_targetILNS1_3genE10ELNS1_11target_archE1201ELNS1_3gpuE5ELNS1_3repE0EEENS1_30default_config_static_selectorELNS0_4arch9wavefront6targetE1EEEvS14_
		.amdhsa_group_segment_fixed_size 0
		.amdhsa_private_segment_fixed_size 0
		.amdhsa_kernarg_size 88
		.amdhsa_user_sgpr_count 6
		.amdhsa_user_sgpr_private_segment_buffer 1
		.amdhsa_user_sgpr_dispatch_ptr 0
		.amdhsa_user_sgpr_queue_ptr 0
		.amdhsa_user_sgpr_kernarg_segment_ptr 1
		.amdhsa_user_sgpr_dispatch_id 0
		.amdhsa_user_sgpr_flat_scratch_init 0
		.amdhsa_user_sgpr_kernarg_preload_length 0
		.amdhsa_user_sgpr_kernarg_preload_offset 0
		.amdhsa_user_sgpr_private_segment_size 0
		.amdhsa_uses_dynamic_stack 0
		.amdhsa_system_sgpr_private_segment_wavefront_offset 0
		.amdhsa_system_sgpr_workgroup_id_x 1
		.amdhsa_system_sgpr_workgroup_id_y 0
		.amdhsa_system_sgpr_workgroup_id_z 0
		.amdhsa_system_sgpr_workgroup_info 0
		.amdhsa_system_vgpr_workitem_id 0
		.amdhsa_next_free_vgpr 1
		.amdhsa_next_free_sgpr 0
		.amdhsa_accum_offset 4
		.amdhsa_reserve_vcc 0
		.amdhsa_reserve_flat_scratch 0
		.amdhsa_float_round_mode_32 0
		.amdhsa_float_round_mode_16_64 0
		.amdhsa_float_denorm_mode_32 3
		.amdhsa_float_denorm_mode_16_64 3
		.amdhsa_dx10_clamp 1
		.amdhsa_ieee_mode 1
		.amdhsa_fp16_overflow 0
		.amdhsa_tg_split 0
		.amdhsa_exception_fp_ieee_invalid_op 0
		.amdhsa_exception_fp_denorm_src 0
		.amdhsa_exception_fp_ieee_div_zero 0
		.amdhsa_exception_fp_ieee_overflow 0
		.amdhsa_exception_fp_ieee_underflow 0
		.amdhsa_exception_fp_ieee_inexact 0
		.amdhsa_exception_int_div_zero 0
	.end_amdhsa_kernel
	.section	.text._ZN7rocprim17ROCPRIM_400000_NS6detail17trampoline_kernelINS0_14default_configENS1_22reduce_config_selectorIN6thrust23THRUST_200600_302600_NS5tupleIblNS6_9null_typeES8_S8_S8_S8_S8_S8_S8_EEEEZNS1_11reduce_implILb1ES3_NS6_12zip_iteratorINS7_INS6_11hip_rocprim26transform_input_iterator_tIbNSD_35transform_pair_of_input_iterators_tIbNS6_6detail15normal_iteratorINS6_10device_ptrIKiEEEESL_NS6_8equal_toIiEEEENSG_9not_fun_tINSD_8identityEEEEENSD_19counting_iterator_tIlEES8_S8_S8_S8_S8_S8_S8_S8_EEEEPS9_S9_NSD_9__find_if7functorIS9_EEEE10hipError_tPvRmT1_T2_T3_mT4_P12ihipStream_tbEUlT_E1_NS1_11comp_targetILNS1_3genE10ELNS1_11target_archE1201ELNS1_3gpuE5ELNS1_3repE0EEENS1_30default_config_static_selectorELNS0_4arch9wavefront6targetE1EEEvS14_,"axG",@progbits,_ZN7rocprim17ROCPRIM_400000_NS6detail17trampoline_kernelINS0_14default_configENS1_22reduce_config_selectorIN6thrust23THRUST_200600_302600_NS5tupleIblNS6_9null_typeES8_S8_S8_S8_S8_S8_S8_EEEEZNS1_11reduce_implILb1ES3_NS6_12zip_iteratorINS7_INS6_11hip_rocprim26transform_input_iterator_tIbNSD_35transform_pair_of_input_iterators_tIbNS6_6detail15normal_iteratorINS6_10device_ptrIKiEEEESL_NS6_8equal_toIiEEEENSG_9not_fun_tINSD_8identityEEEEENSD_19counting_iterator_tIlEES8_S8_S8_S8_S8_S8_S8_S8_EEEEPS9_S9_NSD_9__find_if7functorIS9_EEEE10hipError_tPvRmT1_T2_T3_mT4_P12ihipStream_tbEUlT_E1_NS1_11comp_targetILNS1_3genE10ELNS1_11target_archE1201ELNS1_3gpuE5ELNS1_3repE0EEENS1_30default_config_static_selectorELNS0_4arch9wavefront6targetE1EEEvS14_,comdat
.Lfunc_end275:
	.size	_ZN7rocprim17ROCPRIM_400000_NS6detail17trampoline_kernelINS0_14default_configENS1_22reduce_config_selectorIN6thrust23THRUST_200600_302600_NS5tupleIblNS6_9null_typeES8_S8_S8_S8_S8_S8_S8_EEEEZNS1_11reduce_implILb1ES3_NS6_12zip_iteratorINS7_INS6_11hip_rocprim26transform_input_iterator_tIbNSD_35transform_pair_of_input_iterators_tIbNS6_6detail15normal_iteratorINS6_10device_ptrIKiEEEESL_NS6_8equal_toIiEEEENSG_9not_fun_tINSD_8identityEEEEENSD_19counting_iterator_tIlEES8_S8_S8_S8_S8_S8_S8_S8_EEEEPS9_S9_NSD_9__find_if7functorIS9_EEEE10hipError_tPvRmT1_T2_T3_mT4_P12ihipStream_tbEUlT_E1_NS1_11comp_targetILNS1_3genE10ELNS1_11target_archE1201ELNS1_3gpuE5ELNS1_3repE0EEENS1_30default_config_static_selectorELNS0_4arch9wavefront6targetE1EEEvS14_, .Lfunc_end275-_ZN7rocprim17ROCPRIM_400000_NS6detail17trampoline_kernelINS0_14default_configENS1_22reduce_config_selectorIN6thrust23THRUST_200600_302600_NS5tupleIblNS6_9null_typeES8_S8_S8_S8_S8_S8_S8_EEEEZNS1_11reduce_implILb1ES3_NS6_12zip_iteratorINS7_INS6_11hip_rocprim26transform_input_iterator_tIbNSD_35transform_pair_of_input_iterators_tIbNS6_6detail15normal_iteratorINS6_10device_ptrIKiEEEESL_NS6_8equal_toIiEEEENSG_9not_fun_tINSD_8identityEEEEENSD_19counting_iterator_tIlEES8_S8_S8_S8_S8_S8_S8_S8_EEEEPS9_S9_NSD_9__find_if7functorIS9_EEEE10hipError_tPvRmT1_T2_T3_mT4_P12ihipStream_tbEUlT_E1_NS1_11comp_targetILNS1_3genE10ELNS1_11target_archE1201ELNS1_3gpuE5ELNS1_3repE0EEENS1_30default_config_static_selectorELNS0_4arch9wavefront6targetE1EEEvS14_
                                        ; -- End function
	.section	.AMDGPU.csdata,"",@progbits
; Kernel info:
; codeLenInByte = 0
; NumSgprs: 4
; NumVgprs: 0
; NumAgprs: 0
; TotalNumVgprs: 0
; ScratchSize: 0
; MemoryBound: 0
; FloatMode: 240
; IeeeMode: 1
; LDSByteSize: 0 bytes/workgroup (compile time only)
; SGPRBlocks: 0
; VGPRBlocks: 0
; NumSGPRsForWavesPerEU: 4
; NumVGPRsForWavesPerEU: 1
; AccumOffset: 4
; Occupancy: 8
; WaveLimiterHint : 0
; COMPUTE_PGM_RSRC2:SCRATCH_EN: 0
; COMPUTE_PGM_RSRC2:USER_SGPR: 6
; COMPUTE_PGM_RSRC2:TRAP_HANDLER: 0
; COMPUTE_PGM_RSRC2:TGID_X_EN: 1
; COMPUTE_PGM_RSRC2:TGID_Y_EN: 0
; COMPUTE_PGM_RSRC2:TGID_Z_EN: 0
; COMPUTE_PGM_RSRC2:TIDIG_COMP_CNT: 0
; COMPUTE_PGM_RSRC3_GFX90A:ACCUM_OFFSET: 0
; COMPUTE_PGM_RSRC3_GFX90A:TG_SPLIT: 0
	.section	.text._ZN7rocprim17ROCPRIM_400000_NS6detail17trampoline_kernelINS0_14default_configENS1_22reduce_config_selectorIN6thrust23THRUST_200600_302600_NS5tupleIblNS6_9null_typeES8_S8_S8_S8_S8_S8_S8_EEEEZNS1_11reduce_implILb1ES3_NS6_12zip_iteratorINS7_INS6_11hip_rocprim26transform_input_iterator_tIbNSD_35transform_pair_of_input_iterators_tIbNS6_6detail15normal_iteratorINS6_10device_ptrIKiEEEESL_NS6_8equal_toIiEEEENSG_9not_fun_tINSD_8identityEEEEENSD_19counting_iterator_tIlEES8_S8_S8_S8_S8_S8_S8_S8_EEEEPS9_S9_NSD_9__find_if7functorIS9_EEEE10hipError_tPvRmT1_T2_T3_mT4_P12ihipStream_tbEUlT_E1_NS1_11comp_targetILNS1_3genE10ELNS1_11target_archE1200ELNS1_3gpuE4ELNS1_3repE0EEENS1_30default_config_static_selectorELNS0_4arch9wavefront6targetE1EEEvS14_,"axG",@progbits,_ZN7rocprim17ROCPRIM_400000_NS6detail17trampoline_kernelINS0_14default_configENS1_22reduce_config_selectorIN6thrust23THRUST_200600_302600_NS5tupleIblNS6_9null_typeES8_S8_S8_S8_S8_S8_S8_EEEEZNS1_11reduce_implILb1ES3_NS6_12zip_iteratorINS7_INS6_11hip_rocprim26transform_input_iterator_tIbNSD_35transform_pair_of_input_iterators_tIbNS6_6detail15normal_iteratorINS6_10device_ptrIKiEEEESL_NS6_8equal_toIiEEEENSG_9not_fun_tINSD_8identityEEEEENSD_19counting_iterator_tIlEES8_S8_S8_S8_S8_S8_S8_S8_EEEEPS9_S9_NSD_9__find_if7functorIS9_EEEE10hipError_tPvRmT1_T2_T3_mT4_P12ihipStream_tbEUlT_E1_NS1_11comp_targetILNS1_3genE10ELNS1_11target_archE1200ELNS1_3gpuE4ELNS1_3repE0EEENS1_30default_config_static_selectorELNS0_4arch9wavefront6targetE1EEEvS14_,comdat
	.protected	_ZN7rocprim17ROCPRIM_400000_NS6detail17trampoline_kernelINS0_14default_configENS1_22reduce_config_selectorIN6thrust23THRUST_200600_302600_NS5tupleIblNS6_9null_typeES8_S8_S8_S8_S8_S8_S8_EEEEZNS1_11reduce_implILb1ES3_NS6_12zip_iteratorINS7_INS6_11hip_rocprim26transform_input_iterator_tIbNSD_35transform_pair_of_input_iterators_tIbNS6_6detail15normal_iteratorINS6_10device_ptrIKiEEEESL_NS6_8equal_toIiEEEENSG_9not_fun_tINSD_8identityEEEEENSD_19counting_iterator_tIlEES8_S8_S8_S8_S8_S8_S8_S8_EEEEPS9_S9_NSD_9__find_if7functorIS9_EEEE10hipError_tPvRmT1_T2_T3_mT4_P12ihipStream_tbEUlT_E1_NS1_11comp_targetILNS1_3genE10ELNS1_11target_archE1200ELNS1_3gpuE4ELNS1_3repE0EEENS1_30default_config_static_selectorELNS0_4arch9wavefront6targetE1EEEvS14_ ; -- Begin function _ZN7rocprim17ROCPRIM_400000_NS6detail17trampoline_kernelINS0_14default_configENS1_22reduce_config_selectorIN6thrust23THRUST_200600_302600_NS5tupleIblNS6_9null_typeES8_S8_S8_S8_S8_S8_S8_EEEEZNS1_11reduce_implILb1ES3_NS6_12zip_iteratorINS7_INS6_11hip_rocprim26transform_input_iterator_tIbNSD_35transform_pair_of_input_iterators_tIbNS6_6detail15normal_iteratorINS6_10device_ptrIKiEEEESL_NS6_8equal_toIiEEEENSG_9not_fun_tINSD_8identityEEEEENSD_19counting_iterator_tIlEES8_S8_S8_S8_S8_S8_S8_S8_EEEEPS9_S9_NSD_9__find_if7functorIS9_EEEE10hipError_tPvRmT1_T2_T3_mT4_P12ihipStream_tbEUlT_E1_NS1_11comp_targetILNS1_3genE10ELNS1_11target_archE1200ELNS1_3gpuE4ELNS1_3repE0EEENS1_30default_config_static_selectorELNS0_4arch9wavefront6targetE1EEEvS14_
	.globl	_ZN7rocprim17ROCPRIM_400000_NS6detail17trampoline_kernelINS0_14default_configENS1_22reduce_config_selectorIN6thrust23THRUST_200600_302600_NS5tupleIblNS6_9null_typeES8_S8_S8_S8_S8_S8_S8_EEEEZNS1_11reduce_implILb1ES3_NS6_12zip_iteratorINS7_INS6_11hip_rocprim26transform_input_iterator_tIbNSD_35transform_pair_of_input_iterators_tIbNS6_6detail15normal_iteratorINS6_10device_ptrIKiEEEESL_NS6_8equal_toIiEEEENSG_9not_fun_tINSD_8identityEEEEENSD_19counting_iterator_tIlEES8_S8_S8_S8_S8_S8_S8_S8_EEEEPS9_S9_NSD_9__find_if7functorIS9_EEEE10hipError_tPvRmT1_T2_T3_mT4_P12ihipStream_tbEUlT_E1_NS1_11comp_targetILNS1_3genE10ELNS1_11target_archE1200ELNS1_3gpuE4ELNS1_3repE0EEENS1_30default_config_static_selectorELNS0_4arch9wavefront6targetE1EEEvS14_
	.p2align	8
	.type	_ZN7rocprim17ROCPRIM_400000_NS6detail17trampoline_kernelINS0_14default_configENS1_22reduce_config_selectorIN6thrust23THRUST_200600_302600_NS5tupleIblNS6_9null_typeES8_S8_S8_S8_S8_S8_S8_EEEEZNS1_11reduce_implILb1ES3_NS6_12zip_iteratorINS7_INS6_11hip_rocprim26transform_input_iterator_tIbNSD_35transform_pair_of_input_iterators_tIbNS6_6detail15normal_iteratorINS6_10device_ptrIKiEEEESL_NS6_8equal_toIiEEEENSG_9not_fun_tINSD_8identityEEEEENSD_19counting_iterator_tIlEES8_S8_S8_S8_S8_S8_S8_S8_EEEEPS9_S9_NSD_9__find_if7functorIS9_EEEE10hipError_tPvRmT1_T2_T3_mT4_P12ihipStream_tbEUlT_E1_NS1_11comp_targetILNS1_3genE10ELNS1_11target_archE1200ELNS1_3gpuE4ELNS1_3repE0EEENS1_30default_config_static_selectorELNS0_4arch9wavefront6targetE1EEEvS14_,@function
_ZN7rocprim17ROCPRIM_400000_NS6detail17trampoline_kernelINS0_14default_configENS1_22reduce_config_selectorIN6thrust23THRUST_200600_302600_NS5tupleIblNS6_9null_typeES8_S8_S8_S8_S8_S8_S8_EEEEZNS1_11reduce_implILb1ES3_NS6_12zip_iteratorINS7_INS6_11hip_rocprim26transform_input_iterator_tIbNSD_35transform_pair_of_input_iterators_tIbNS6_6detail15normal_iteratorINS6_10device_ptrIKiEEEESL_NS6_8equal_toIiEEEENSG_9not_fun_tINSD_8identityEEEEENSD_19counting_iterator_tIlEES8_S8_S8_S8_S8_S8_S8_S8_EEEEPS9_S9_NSD_9__find_if7functorIS9_EEEE10hipError_tPvRmT1_T2_T3_mT4_P12ihipStream_tbEUlT_E1_NS1_11comp_targetILNS1_3genE10ELNS1_11target_archE1200ELNS1_3gpuE4ELNS1_3repE0EEENS1_30default_config_static_selectorELNS0_4arch9wavefront6targetE1EEEvS14_: ; @_ZN7rocprim17ROCPRIM_400000_NS6detail17trampoline_kernelINS0_14default_configENS1_22reduce_config_selectorIN6thrust23THRUST_200600_302600_NS5tupleIblNS6_9null_typeES8_S8_S8_S8_S8_S8_S8_EEEEZNS1_11reduce_implILb1ES3_NS6_12zip_iteratorINS7_INS6_11hip_rocprim26transform_input_iterator_tIbNSD_35transform_pair_of_input_iterators_tIbNS6_6detail15normal_iteratorINS6_10device_ptrIKiEEEESL_NS6_8equal_toIiEEEENSG_9not_fun_tINSD_8identityEEEEENSD_19counting_iterator_tIlEES8_S8_S8_S8_S8_S8_S8_S8_EEEEPS9_S9_NSD_9__find_if7functorIS9_EEEE10hipError_tPvRmT1_T2_T3_mT4_P12ihipStream_tbEUlT_E1_NS1_11comp_targetILNS1_3genE10ELNS1_11target_archE1200ELNS1_3gpuE4ELNS1_3repE0EEENS1_30default_config_static_selectorELNS0_4arch9wavefront6targetE1EEEvS14_
; %bb.0:
	.section	.rodata,"a",@progbits
	.p2align	6, 0x0
	.amdhsa_kernel _ZN7rocprim17ROCPRIM_400000_NS6detail17trampoline_kernelINS0_14default_configENS1_22reduce_config_selectorIN6thrust23THRUST_200600_302600_NS5tupleIblNS6_9null_typeES8_S8_S8_S8_S8_S8_S8_EEEEZNS1_11reduce_implILb1ES3_NS6_12zip_iteratorINS7_INS6_11hip_rocprim26transform_input_iterator_tIbNSD_35transform_pair_of_input_iterators_tIbNS6_6detail15normal_iteratorINS6_10device_ptrIKiEEEESL_NS6_8equal_toIiEEEENSG_9not_fun_tINSD_8identityEEEEENSD_19counting_iterator_tIlEES8_S8_S8_S8_S8_S8_S8_S8_EEEEPS9_S9_NSD_9__find_if7functorIS9_EEEE10hipError_tPvRmT1_T2_T3_mT4_P12ihipStream_tbEUlT_E1_NS1_11comp_targetILNS1_3genE10ELNS1_11target_archE1200ELNS1_3gpuE4ELNS1_3repE0EEENS1_30default_config_static_selectorELNS0_4arch9wavefront6targetE1EEEvS14_
		.amdhsa_group_segment_fixed_size 0
		.amdhsa_private_segment_fixed_size 0
		.amdhsa_kernarg_size 88
		.amdhsa_user_sgpr_count 6
		.amdhsa_user_sgpr_private_segment_buffer 1
		.amdhsa_user_sgpr_dispatch_ptr 0
		.amdhsa_user_sgpr_queue_ptr 0
		.amdhsa_user_sgpr_kernarg_segment_ptr 1
		.amdhsa_user_sgpr_dispatch_id 0
		.amdhsa_user_sgpr_flat_scratch_init 0
		.amdhsa_user_sgpr_kernarg_preload_length 0
		.amdhsa_user_sgpr_kernarg_preload_offset 0
		.amdhsa_user_sgpr_private_segment_size 0
		.amdhsa_uses_dynamic_stack 0
		.amdhsa_system_sgpr_private_segment_wavefront_offset 0
		.amdhsa_system_sgpr_workgroup_id_x 1
		.amdhsa_system_sgpr_workgroup_id_y 0
		.amdhsa_system_sgpr_workgroup_id_z 0
		.amdhsa_system_sgpr_workgroup_info 0
		.amdhsa_system_vgpr_workitem_id 0
		.amdhsa_next_free_vgpr 1
		.amdhsa_next_free_sgpr 0
		.amdhsa_accum_offset 4
		.amdhsa_reserve_vcc 0
		.amdhsa_reserve_flat_scratch 0
		.amdhsa_float_round_mode_32 0
		.amdhsa_float_round_mode_16_64 0
		.amdhsa_float_denorm_mode_32 3
		.amdhsa_float_denorm_mode_16_64 3
		.amdhsa_dx10_clamp 1
		.amdhsa_ieee_mode 1
		.amdhsa_fp16_overflow 0
		.amdhsa_tg_split 0
		.amdhsa_exception_fp_ieee_invalid_op 0
		.amdhsa_exception_fp_denorm_src 0
		.amdhsa_exception_fp_ieee_div_zero 0
		.amdhsa_exception_fp_ieee_overflow 0
		.amdhsa_exception_fp_ieee_underflow 0
		.amdhsa_exception_fp_ieee_inexact 0
		.amdhsa_exception_int_div_zero 0
	.end_amdhsa_kernel
	.section	.text._ZN7rocprim17ROCPRIM_400000_NS6detail17trampoline_kernelINS0_14default_configENS1_22reduce_config_selectorIN6thrust23THRUST_200600_302600_NS5tupleIblNS6_9null_typeES8_S8_S8_S8_S8_S8_S8_EEEEZNS1_11reduce_implILb1ES3_NS6_12zip_iteratorINS7_INS6_11hip_rocprim26transform_input_iterator_tIbNSD_35transform_pair_of_input_iterators_tIbNS6_6detail15normal_iteratorINS6_10device_ptrIKiEEEESL_NS6_8equal_toIiEEEENSG_9not_fun_tINSD_8identityEEEEENSD_19counting_iterator_tIlEES8_S8_S8_S8_S8_S8_S8_S8_EEEEPS9_S9_NSD_9__find_if7functorIS9_EEEE10hipError_tPvRmT1_T2_T3_mT4_P12ihipStream_tbEUlT_E1_NS1_11comp_targetILNS1_3genE10ELNS1_11target_archE1200ELNS1_3gpuE4ELNS1_3repE0EEENS1_30default_config_static_selectorELNS0_4arch9wavefront6targetE1EEEvS14_,"axG",@progbits,_ZN7rocprim17ROCPRIM_400000_NS6detail17trampoline_kernelINS0_14default_configENS1_22reduce_config_selectorIN6thrust23THRUST_200600_302600_NS5tupleIblNS6_9null_typeES8_S8_S8_S8_S8_S8_S8_EEEEZNS1_11reduce_implILb1ES3_NS6_12zip_iteratorINS7_INS6_11hip_rocprim26transform_input_iterator_tIbNSD_35transform_pair_of_input_iterators_tIbNS6_6detail15normal_iteratorINS6_10device_ptrIKiEEEESL_NS6_8equal_toIiEEEENSG_9not_fun_tINSD_8identityEEEEENSD_19counting_iterator_tIlEES8_S8_S8_S8_S8_S8_S8_S8_EEEEPS9_S9_NSD_9__find_if7functorIS9_EEEE10hipError_tPvRmT1_T2_T3_mT4_P12ihipStream_tbEUlT_E1_NS1_11comp_targetILNS1_3genE10ELNS1_11target_archE1200ELNS1_3gpuE4ELNS1_3repE0EEENS1_30default_config_static_selectorELNS0_4arch9wavefront6targetE1EEEvS14_,comdat
.Lfunc_end276:
	.size	_ZN7rocprim17ROCPRIM_400000_NS6detail17trampoline_kernelINS0_14default_configENS1_22reduce_config_selectorIN6thrust23THRUST_200600_302600_NS5tupleIblNS6_9null_typeES8_S8_S8_S8_S8_S8_S8_EEEEZNS1_11reduce_implILb1ES3_NS6_12zip_iteratorINS7_INS6_11hip_rocprim26transform_input_iterator_tIbNSD_35transform_pair_of_input_iterators_tIbNS6_6detail15normal_iteratorINS6_10device_ptrIKiEEEESL_NS6_8equal_toIiEEEENSG_9not_fun_tINSD_8identityEEEEENSD_19counting_iterator_tIlEES8_S8_S8_S8_S8_S8_S8_S8_EEEEPS9_S9_NSD_9__find_if7functorIS9_EEEE10hipError_tPvRmT1_T2_T3_mT4_P12ihipStream_tbEUlT_E1_NS1_11comp_targetILNS1_3genE10ELNS1_11target_archE1200ELNS1_3gpuE4ELNS1_3repE0EEENS1_30default_config_static_selectorELNS0_4arch9wavefront6targetE1EEEvS14_, .Lfunc_end276-_ZN7rocprim17ROCPRIM_400000_NS6detail17trampoline_kernelINS0_14default_configENS1_22reduce_config_selectorIN6thrust23THRUST_200600_302600_NS5tupleIblNS6_9null_typeES8_S8_S8_S8_S8_S8_S8_EEEEZNS1_11reduce_implILb1ES3_NS6_12zip_iteratorINS7_INS6_11hip_rocprim26transform_input_iterator_tIbNSD_35transform_pair_of_input_iterators_tIbNS6_6detail15normal_iteratorINS6_10device_ptrIKiEEEESL_NS6_8equal_toIiEEEENSG_9not_fun_tINSD_8identityEEEEENSD_19counting_iterator_tIlEES8_S8_S8_S8_S8_S8_S8_S8_EEEEPS9_S9_NSD_9__find_if7functorIS9_EEEE10hipError_tPvRmT1_T2_T3_mT4_P12ihipStream_tbEUlT_E1_NS1_11comp_targetILNS1_3genE10ELNS1_11target_archE1200ELNS1_3gpuE4ELNS1_3repE0EEENS1_30default_config_static_selectorELNS0_4arch9wavefront6targetE1EEEvS14_
                                        ; -- End function
	.section	.AMDGPU.csdata,"",@progbits
; Kernel info:
; codeLenInByte = 0
; NumSgprs: 4
; NumVgprs: 0
; NumAgprs: 0
; TotalNumVgprs: 0
; ScratchSize: 0
; MemoryBound: 0
; FloatMode: 240
; IeeeMode: 1
; LDSByteSize: 0 bytes/workgroup (compile time only)
; SGPRBlocks: 0
; VGPRBlocks: 0
; NumSGPRsForWavesPerEU: 4
; NumVGPRsForWavesPerEU: 1
; AccumOffset: 4
; Occupancy: 8
; WaveLimiterHint : 0
; COMPUTE_PGM_RSRC2:SCRATCH_EN: 0
; COMPUTE_PGM_RSRC2:USER_SGPR: 6
; COMPUTE_PGM_RSRC2:TRAP_HANDLER: 0
; COMPUTE_PGM_RSRC2:TGID_X_EN: 1
; COMPUTE_PGM_RSRC2:TGID_Y_EN: 0
; COMPUTE_PGM_RSRC2:TGID_Z_EN: 0
; COMPUTE_PGM_RSRC2:TIDIG_COMP_CNT: 0
; COMPUTE_PGM_RSRC3_GFX90A:ACCUM_OFFSET: 0
; COMPUTE_PGM_RSRC3_GFX90A:TG_SPLIT: 0
	.section	.text._ZN7rocprim17ROCPRIM_400000_NS6detail17trampoline_kernelINS0_14default_configENS1_22reduce_config_selectorIN6thrust23THRUST_200600_302600_NS5tupleIblNS6_9null_typeES8_S8_S8_S8_S8_S8_S8_EEEEZNS1_11reduce_implILb1ES3_NS6_12zip_iteratorINS7_INS6_11hip_rocprim26transform_input_iterator_tIbNSD_35transform_pair_of_input_iterators_tIbNS6_6detail15normal_iteratorINS6_10device_ptrIKiEEEESL_NS6_8equal_toIiEEEENSG_9not_fun_tINSD_8identityEEEEENSD_19counting_iterator_tIlEES8_S8_S8_S8_S8_S8_S8_S8_EEEEPS9_S9_NSD_9__find_if7functorIS9_EEEE10hipError_tPvRmT1_T2_T3_mT4_P12ihipStream_tbEUlT_E1_NS1_11comp_targetILNS1_3genE9ELNS1_11target_archE1100ELNS1_3gpuE3ELNS1_3repE0EEENS1_30default_config_static_selectorELNS0_4arch9wavefront6targetE1EEEvS14_,"axG",@progbits,_ZN7rocprim17ROCPRIM_400000_NS6detail17trampoline_kernelINS0_14default_configENS1_22reduce_config_selectorIN6thrust23THRUST_200600_302600_NS5tupleIblNS6_9null_typeES8_S8_S8_S8_S8_S8_S8_EEEEZNS1_11reduce_implILb1ES3_NS6_12zip_iteratorINS7_INS6_11hip_rocprim26transform_input_iterator_tIbNSD_35transform_pair_of_input_iterators_tIbNS6_6detail15normal_iteratorINS6_10device_ptrIKiEEEESL_NS6_8equal_toIiEEEENSG_9not_fun_tINSD_8identityEEEEENSD_19counting_iterator_tIlEES8_S8_S8_S8_S8_S8_S8_S8_EEEEPS9_S9_NSD_9__find_if7functorIS9_EEEE10hipError_tPvRmT1_T2_T3_mT4_P12ihipStream_tbEUlT_E1_NS1_11comp_targetILNS1_3genE9ELNS1_11target_archE1100ELNS1_3gpuE3ELNS1_3repE0EEENS1_30default_config_static_selectorELNS0_4arch9wavefront6targetE1EEEvS14_,comdat
	.protected	_ZN7rocprim17ROCPRIM_400000_NS6detail17trampoline_kernelINS0_14default_configENS1_22reduce_config_selectorIN6thrust23THRUST_200600_302600_NS5tupleIblNS6_9null_typeES8_S8_S8_S8_S8_S8_S8_EEEEZNS1_11reduce_implILb1ES3_NS6_12zip_iteratorINS7_INS6_11hip_rocprim26transform_input_iterator_tIbNSD_35transform_pair_of_input_iterators_tIbNS6_6detail15normal_iteratorINS6_10device_ptrIKiEEEESL_NS6_8equal_toIiEEEENSG_9not_fun_tINSD_8identityEEEEENSD_19counting_iterator_tIlEES8_S8_S8_S8_S8_S8_S8_S8_EEEEPS9_S9_NSD_9__find_if7functorIS9_EEEE10hipError_tPvRmT1_T2_T3_mT4_P12ihipStream_tbEUlT_E1_NS1_11comp_targetILNS1_3genE9ELNS1_11target_archE1100ELNS1_3gpuE3ELNS1_3repE0EEENS1_30default_config_static_selectorELNS0_4arch9wavefront6targetE1EEEvS14_ ; -- Begin function _ZN7rocprim17ROCPRIM_400000_NS6detail17trampoline_kernelINS0_14default_configENS1_22reduce_config_selectorIN6thrust23THRUST_200600_302600_NS5tupleIblNS6_9null_typeES8_S8_S8_S8_S8_S8_S8_EEEEZNS1_11reduce_implILb1ES3_NS6_12zip_iteratorINS7_INS6_11hip_rocprim26transform_input_iterator_tIbNSD_35transform_pair_of_input_iterators_tIbNS6_6detail15normal_iteratorINS6_10device_ptrIKiEEEESL_NS6_8equal_toIiEEEENSG_9not_fun_tINSD_8identityEEEEENSD_19counting_iterator_tIlEES8_S8_S8_S8_S8_S8_S8_S8_EEEEPS9_S9_NSD_9__find_if7functorIS9_EEEE10hipError_tPvRmT1_T2_T3_mT4_P12ihipStream_tbEUlT_E1_NS1_11comp_targetILNS1_3genE9ELNS1_11target_archE1100ELNS1_3gpuE3ELNS1_3repE0EEENS1_30default_config_static_selectorELNS0_4arch9wavefront6targetE1EEEvS14_
	.globl	_ZN7rocprim17ROCPRIM_400000_NS6detail17trampoline_kernelINS0_14default_configENS1_22reduce_config_selectorIN6thrust23THRUST_200600_302600_NS5tupleIblNS6_9null_typeES8_S8_S8_S8_S8_S8_S8_EEEEZNS1_11reduce_implILb1ES3_NS6_12zip_iteratorINS7_INS6_11hip_rocprim26transform_input_iterator_tIbNSD_35transform_pair_of_input_iterators_tIbNS6_6detail15normal_iteratorINS6_10device_ptrIKiEEEESL_NS6_8equal_toIiEEEENSG_9not_fun_tINSD_8identityEEEEENSD_19counting_iterator_tIlEES8_S8_S8_S8_S8_S8_S8_S8_EEEEPS9_S9_NSD_9__find_if7functorIS9_EEEE10hipError_tPvRmT1_T2_T3_mT4_P12ihipStream_tbEUlT_E1_NS1_11comp_targetILNS1_3genE9ELNS1_11target_archE1100ELNS1_3gpuE3ELNS1_3repE0EEENS1_30default_config_static_selectorELNS0_4arch9wavefront6targetE1EEEvS14_
	.p2align	8
	.type	_ZN7rocprim17ROCPRIM_400000_NS6detail17trampoline_kernelINS0_14default_configENS1_22reduce_config_selectorIN6thrust23THRUST_200600_302600_NS5tupleIblNS6_9null_typeES8_S8_S8_S8_S8_S8_S8_EEEEZNS1_11reduce_implILb1ES3_NS6_12zip_iteratorINS7_INS6_11hip_rocprim26transform_input_iterator_tIbNSD_35transform_pair_of_input_iterators_tIbNS6_6detail15normal_iteratorINS6_10device_ptrIKiEEEESL_NS6_8equal_toIiEEEENSG_9not_fun_tINSD_8identityEEEEENSD_19counting_iterator_tIlEES8_S8_S8_S8_S8_S8_S8_S8_EEEEPS9_S9_NSD_9__find_if7functorIS9_EEEE10hipError_tPvRmT1_T2_T3_mT4_P12ihipStream_tbEUlT_E1_NS1_11comp_targetILNS1_3genE9ELNS1_11target_archE1100ELNS1_3gpuE3ELNS1_3repE0EEENS1_30default_config_static_selectorELNS0_4arch9wavefront6targetE1EEEvS14_,@function
_ZN7rocprim17ROCPRIM_400000_NS6detail17trampoline_kernelINS0_14default_configENS1_22reduce_config_selectorIN6thrust23THRUST_200600_302600_NS5tupleIblNS6_9null_typeES8_S8_S8_S8_S8_S8_S8_EEEEZNS1_11reduce_implILb1ES3_NS6_12zip_iteratorINS7_INS6_11hip_rocprim26transform_input_iterator_tIbNSD_35transform_pair_of_input_iterators_tIbNS6_6detail15normal_iteratorINS6_10device_ptrIKiEEEESL_NS6_8equal_toIiEEEENSG_9not_fun_tINSD_8identityEEEEENSD_19counting_iterator_tIlEES8_S8_S8_S8_S8_S8_S8_S8_EEEEPS9_S9_NSD_9__find_if7functorIS9_EEEE10hipError_tPvRmT1_T2_T3_mT4_P12ihipStream_tbEUlT_E1_NS1_11comp_targetILNS1_3genE9ELNS1_11target_archE1100ELNS1_3gpuE3ELNS1_3repE0EEENS1_30default_config_static_selectorELNS0_4arch9wavefront6targetE1EEEvS14_: ; @_ZN7rocprim17ROCPRIM_400000_NS6detail17trampoline_kernelINS0_14default_configENS1_22reduce_config_selectorIN6thrust23THRUST_200600_302600_NS5tupleIblNS6_9null_typeES8_S8_S8_S8_S8_S8_S8_EEEEZNS1_11reduce_implILb1ES3_NS6_12zip_iteratorINS7_INS6_11hip_rocprim26transform_input_iterator_tIbNSD_35transform_pair_of_input_iterators_tIbNS6_6detail15normal_iteratorINS6_10device_ptrIKiEEEESL_NS6_8equal_toIiEEEENSG_9not_fun_tINSD_8identityEEEEENSD_19counting_iterator_tIlEES8_S8_S8_S8_S8_S8_S8_S8_EEEEPS9_S9_NSD_9__find_if7functorIS9_EEEE10hipError_tPvRmT1_T2_T3_mT4_P12ihipStream_tbEUlT_E1_NS1_11comp_targetILNS1_3genE9ELNS1_11target_archE1100ELNS1_3gpuE3ELNS1_3repE0EEENS1_30default_config_static_selectorELNS0_4arch9wavefront6targetE1EEEvS14_
; %bb.0:
	.section	.rodata,"a",@progbits
	.p2align	6, 0x0
	.amdhsa_kernel _ZN7rocprim17ROCPRIM_400000_NS6detail17trampoline_kernelINS0_14default_configENS1_22reduce_config_selectorIN6thrust23THRUST_200600_302600_NS5tupleIblNS6_9null_typeES8_S8_S8_S8_S8_S8_S8_EEEEZNS1_11reduce_implILb1ES3_NS6_12zip_iteratorINS7_INS6_11hip_rocprim26transform_input_iterator_tIbNSD_35transform_pair_of_input_iterators_tIbNS6_6detail15normal_iteratorINS6_10device_ptrIKiEEEESL_NS6_8equal_toIiEEEENSG_9not_fun_tINSD_8identityEEEEENSD_19counting_iterator_tIlEES8_S8_S8_S8_S8_S8_S8_S8_EEEEPS9_S9_NSD_9__find_if7functorIS9_EEEE10hipError_tPvRmT1_T2_T3_mT4_P12ihipStream_tbEUlT_E1_NS1_11comp_targetILNS1_3genE9ELNS1_11target_archE1100ELNS1_3gpuE3ELNS1_3repE0EEENS1_30default_config_static_selectorELNS0_4arch9wavefront6targetE1EEEvS14_
		.amdhsa_group_segment_fixed_size 0
		.amdhsa_private_segment_fixed_size 0
		.amdhsa_kernarg_size 88
		.amdhsa_user_sgpr_count 6
		.amdhsa_user_sgpr_private_segment_buffer 1
		.amdhsa_user_sgpr_dispatch_ptr 0
		.amdhsa_user_sgpr_queue_ptr 0
		.amdhsa_user_sgpr_kernarg_segment_ptr 1
		.amdhsa_user_sgpr_dispatch_id 0
		.amdhsa_user_sgpr_flat_scratch_init 0
		.amdhsa_user_sgpr_kernarg_preload_length 0
		.amdhsa_user_sgpr_kernarg_preload_offset 0
		.amdhsa_user_sgpr_private_segment_size 0
		.amdhsa_uses_dynamic_stack 0
		.amdhsa_system_sgpr_private_segment_wavefront_offset 0
		.amdhsa_system_sgpr_workgroup_id_x 1
		.amdhsa_system_sgpr_workgroup_id_y 0
		.amdhsa_system_sgpr_workgroup_id_z 0
		.amdhsa_system_sgpr_workgroup_info 0
		.amdhsa_system_vgpr_workitem_id 0
		.amdhsa_next_free_vgpr 1
		.amdhsa_next_free_sgpr 0
		.amdhsa_accum_offset 4
		.amdhsa_reserve_vcc 0
		.amdhsa_reserve_flat_scratch 0
		.amdhsa_float_round_mode_32 0
		.amdhsa_float_round_mode_16_64 0
		.amdhsa_float_denorm_mode_32 3
		.amdhsa_float_denorm_mode_16_64 3
		.amdhsa_dx10_clamp 1
		.amdhsa_ieee_mode 1
		.amdhsa_fp16_overflow 0
		.amdhsa_tg_split 0
		.amdhsa_exception_fp_ieee_invalid_op 0
		.amdhsa_exception_fp_denorm_src 0
		.amdhsa_exception_fp_ieee_div_zero 0
		.amdhsa_exception_fp_ieee_overflow 0
		.amdhsa_exception_fp_ieee_underflow 0
		.amdhsa_exception_fp_ieee_inexact 0
		.amdhsa_exception_int_div_zero 0
	.end_amdhsa_kernel
	.section	.text._ZN7rocprim17ROCPRIM_400000_NS6detail17trampoline_kernelINS0_14default_configENS1_22reduce_config_selectorIN6thrust23THRUST_200600_302600_NS5tupleIblNS6_9null_typeES8_S8_S8_S8_S8_S8_S8_EEEEZNS1_11reduce_implILb1ES3_NS6_12zip_iteratorINS7_INS6_11hip_rocprim26transform_input_iterator_tIbNSD_35transform_pair_of_input_iterators_tIbNS6_6detail15normal_iteratorINS6_10device_ptrIKiEEEESL_NS6_8equal_toIiEEEENSG_9not_fun_tINSD_8identityEEEEENSD_19counting_iterator_tIlEES8_S8_S8_S8_S8_S8_S8_S8_EEEEPS9_S9_NSD_9__find_if7functorIS9_EEEE10hipError_tPvRmT1_T2_T3_mT4_P12ihipStream_tbEUlT_E1_NS1_11comp_targetILNS1_3genE9ELNS1_11target_archE1100ELNS1_3gpuE3ELNS1_3repE0EEENS1_30default_config_static_selectorELNS0_4arch9wavefront6targetE1EEEvS14_,"axG",@progbits,_ZN7rocprim17ROCPRIM_400000_NS6detail17trampoline_kernelINS0_14default_configENS1_22reduce_config_selectorIN6thrust23THRUST_200600_302600_NS5tupleIblNS6_9null_typeES8_S8_S8_S8_S8_S8_S8_EEEEZNS1_11reduce_implILb1ES3_NS6_12zip_iteratorINS7_INS6_11hip_rocprim26transform_input_iterator_tIbNSD_35transform_pair_of_input_iterators_tIbNS6_6detail15normal_iteratorINS6_10device_ptrIKiEEEESL_NS6_8equal_toIiEEEENSG_9not_fun_tINSD_8identityEEEEENSD_19counting_iterator_tIlEES8_S8_S8_S8_S8_S8_S8_S8_EEEEPS9_S9_NSD_9__find_if7functorIS9_EEEE10hipError_tPvRmT1_T2_T3_mT4_P12ihipStream_tbEUlT_E1_NS1_11comp_targetILNS1_3genE9ELNS1_11target_archE1100ELNS1_3gpuE3ELNS1_3repE0EEENS1_30default_config_static_selectorELNS0_4arch9wavefront6targetE1EEEvS14_,comdat
.Lfunc_end277:
	.size	_ZN7rocprim17ROCPRIM_400000_NS6detail17trampoline_kernelINS0_14default_configENS1_22reduce_config_selectorIN6thrust23THRUST_200600_302600_NS5tupleIblNS6_9null_typeES8_S8_S8_S8_S8_S8_S8_EEEEZNS1_11reduce_implILb1ES3_NS6_12zip_iteratorINS7_INS6_11hip_rocprim26transform_input_iterator_tIbNSD_35transform_pair_of_input_iterators_tIbNS6_6detail15normal_iteratorINS6_10device_ptrIKiEEEESL_NS6_8equal_toIiEEEENSG_9not_fun_tINSD_8identityEEEEENSD_19counting_iterator_tIlEES8_S8_S8_S8_S8_S8_S8_S8_EEEEPS9_S9_NSD_9__find_if7functorIS9_EEEE10hipError_tPvRmT1_T2_T3_mT4_P12ihipStream_tbEUlT_E1_NS1_11comp_targetILNS1_3genE9ELNS1_11target_archE1100ELNS1_3gpuE3ELNS1_3repE0EEENS1_30default_config_static_selectorELNS0_4arch9wavefront6targetE1EEEvS14_, .Lfunc_end277-_ZN7rocprim17ROCPRIM_400000_NS6detail17trampoline_kernelINS0_14default_configENS1_22reduce_config_selectorIN6thrust23THRUST_200600_302600_NS5tupleIblNS6_9null_typeES8_S8_S8_S8_S8_S8_S8_EEEEZNS1_11reduce_implILb1ES3_NS6_12zip_iteratorINS7_INS6_11hip_rocprim26transform_input_iterator_tIbNSD_35transform_pair_of_input_iterators_tIbNS6_6detail15normal_iteratorINS6_10device_ptrIKiEEEESL_NS6_8equal_toIiEEEENSG_9not_fun_tINSD_8identityEEEEENSD_19counting_iterator_tIlEES8_S8_S8_S8_S8_S8_S8_S8_EEEEPS9_S9_NSD_9__find_if7functorIS9_EEEE10hipError_tPvRmT1_T2_T3_mT4_P12ihipStream_tbEUlT_E1_NS1_11comp_targetILNS1_3genE9ELNS1_11target_archE1100ELNS1_3gpuE3ELNS1_3repE0EEENS1_30default_config_static_selectorELNS0_4arch9wavefront6targetE1EEEvS14_
                                        ; -- End function
	.section	.AMDGPU.csdata,"",@progbits
; Kernel info:
; codeLenInByte = 0
; NumSgprs: 4
; NumVgprs: 0
; NumAgprs: 0
; TotalNumVgprs: 0
; ScratchSize: 0
; MemoryBound: 0
; FloatMode: 240
; IeeeMode: 1
; LDSByteSize: 0 bytes/workgroup (compile time only)
; SGPRBlocks: 0
; VGPRBlocks: 0
; NumSGPRsForWavesPerEU: 4
; NumVGPRsForWavesPerEU: 1
; AccumOffset: 4
; Occupancy: 8
; WaveLimiterHint : 0
; COMPUTE_PGM_RSRC2:SCRATCH_EN: 0
; COMPUTE_PGM_RSRC2:USER_SGPR: 6
; COMPUTE_PGM_RSRC2:TRAP_HANDLER: 0
; COMPUTE_PGM_RSRC2:TGID_X_EN: 1
; COMPUTE_PGM_RSRC2:TGID_Y_EN: 0
; COMPUTE_PGM_RSRC2:TGID_Z_EN: 0
; COMPUTE_PGM_RSRC2:TIDIG_COMP_CNT: 0
; COMPUTE_PGM_RSRC3_GFX90A:ACCUM_OFFSET: 0
; COMPUTE_PGM_RSRC3_GFX90A:TG_SPLIT: 0
	.section	.text._ZN7rocprim17ROCPRIM_400000_NS6detail17trampoline_kernelINS0_14default_configENS1_22reduce_config_selectorIN6thrust23THRUST_200600_302600_NS5tupleIblNS6_9null_typeES8_S8_S8_S8_S8_S8_S8_EEEEZNS1_11reduce_implILb1ES3_NS6_12zip_iteratorINS7_INS6_11hip_rocprim26transform_input_iterator_tIbNSD_35transform_pair_of_input_iterators_tIbNS6_6detail15normal_iteratorINS6_10device_ptrIKiEEEESL_NS6_8equal_toIiEEEENSG_9not_fun_tINSD_8identityEEEEENSD_19counting_iterator_tIlEES8_S8_S8_S8_S8_S8_S8_S8_EEEEPS9_S9_NSD_9__find_if7functorIS9_EEEE10hipError_tPvRmT1_T2_T3_mT4_P12ihipStream_tbEUlT_E1_NS1_11comp_targetILNS1_3genE8ELNS1_11target_archE1030ELNS1_3gpuE2ELNS1_3repE0EEENS1_30default_config_static_selectorELNS0_4arch9wavefront6targetE1EEEvS14_,"axG",@progbits,_ZN7rocprim17ROCPRIM_400000_NS6detail17trampoline_kernelINS0_14default_configENS1_22reduce_config_selectorIN6thrust23THRUST_200600_302600_NS5tupleIblNS6_9null_typeES8_S8_S8_S8_S8_S8_S8_EEEEZNS1_11reduce_implILb1ES3_NS6_12zip_iteratorINS7_INS6_11hip_rocprim26transform_input_iterator_tIbNSD_35transform_pair_of_input_iterators_tIbNS6_6detail15normal_iteratorINS6_10device_ptrIKiEEEESL_NS6_8equal_toIiEEEENSG_9not_fun_tINSD_8identityEEEEENSD_19counting_iterator_tIlEES8_S8_S8_S8_S8_S8_S8_S8_EEEEPS9_S9_NSD_9__find_if7functorIS9_EEEE10hipError_tPvRmT1_T2_T3_mT4_P12ihipStream_tbEUlT_E1_NS1_11comp_targetILNS1_3genE8ELNS1_11target_archE1030ELNS1_3gpuE2ELNS1_3repE0EEENS1_30default_config_static_selectorELNS0_4arch9wavefront6targetE1EEEvS14_,comdat
	.protected	_ZN7rocprim17ROCPRIM_400000_NS6detail17trampoline_kernelINS0_14default_configENS1_22reduce_config_selectorIN6thrust23THRUST_200600_302600_NS5tupleIblNS6_9null_typeES8_S8_S8_S8_S8_S8_S8_EEEEZNS1_11reduce_implILb1ES3_NS6_12zip_iteratorINS7_INS6_11hip_rocprim26transform_input_iterator_tIbNSD_35transform_pair_of_input_iterators_tIbNS6_6detail15normal_iteratorINS6_10device_ptrIKiEEEESL_NS6_8equal_toIiEEEENSG_9not_fun_tINSD_8identityEEEEENSD_19counting_iterator_tIlEES8_S8_S8_S8_S8_S8_S8_S8_EEEEPS9_S9_NSD_9__find_if7functorIS9_EEEE10hipError_tPvRmT1_T2_T3_mT4_P12ihipStream_tbEUlT_E1_NS1_11comp_targetILNS1_3genE8ELNS1_11target_archE1030ELNS1_3gpuE2ELNS1_3repE0EEENS1_30default_config_static_selectorELNS0_4arch9wavefront6targetE1EEEvS14_ ; -- Begin function _ZN7rocprim17ROCPRIM_400000_NS6detail17trampoline_kernelINS0_14default_configENS1_22reduce_config_selectorIN6thrust23THRUST_200600_302600_NS5tupleIblNS6_9null_typeES8_S8_S8_S8_S8_S8_S8_EEEEZNS1_11reduce_implILb1ES3_NS6_12zip_iteratorINS7_INS6_11hip_rocprim26transform_input_iterator_tIbNSD_35transform_pair_of_input_iterators_tIbNS6_6detail15normal_iteratorINS6_10device_ptrIKiEEEESL_NS6_8equal_toIiEEEENSG_9not_fun_tINSD_8identityEEEEENSD_19counting_iterator_tIlEES8_S8_S8_S8_S8_S8_S8_S8_EEEEPS9_S9_NSD_9__find_if7functorIS9_EEEE10hipError_tPvRmT1_T2_T3_mT4_P12ihipStream_tbEUlT_E1_NS1_11comp_targetILNS1_3genE8ELNS1_11target_archE1030ELNS1_3gpuE2ELNS1_3repE0EEENS1_30default_config_static_selectorELNS0_4arch9wavefront6targetE1EEEvS14_
	.globl	_ZN7rocprim17ROCPRIM_400000_NS6detail17trampoline_kernelINS0_14default_configENS1_22reduce_config_selectorIN6thrust23THRUST_200600_302600_NS5tupleIblNS6_9null_typeES8_S8_S8_S8_S8_S8_S8_EEEEZNS1_11reduce_implILb1ES3_NS6_12zip_iteratorINS7_INS6_11hip_rocprim26transform_input_iterator_tIbNSD_35transform_pair_of_input_iterators_tIbNS6_6detail15normal_iteratorINS6_10device_ptrIKiEEEESL_NS6_8equal_toIiEEEENSG_9not_fun_tINSD_8identityEEEEENSD_19counting_iterator_tIlEES8_S8_S8_S8_S8_S8_S8_S8_EEEEPS9_S9_NSD_9__find_if7functorIS9_EEEE10hipError_tPvRmT1_T2_T3_mT4_P12ihipStream_tbEUlT_E1_NS1_11comp_targetILNS1_3genE8ELNS1_11target_archE1030ELNS1_3gpuE2ELNS1_3repE0EEENS1_30default_config_static_selectorELNS0_4arch9wavefront6targetE1EEEvS14_
	.p2align	8
	.type	_ZN7rocprim17ROCPRIM_400000_NS6detail17trampoline_kernelINS0_14default_configENS1_22reduce_config_selectorIN6thrust23THRUST_200600_302600_NS5tupleIblNS6_9null_typeES8_S8_S8_S8_S8_S8_S8_EEEEZNS1_11reduce_implILb1ES3_NS6_12zip_iteratorINS7_INS6_11hip_rocprim26transform_input_iterator_tIbNSD_35transform_pair_of_input_iterators_tIbNS6_6detail15normal_iteratorINS6_10device_ptrIKiEEEESL_NS6_8equal_toIiEEEENSG_9not_fun_tINSD_8identityEEEEENSD_19counting_iterator_tIlEES8_S8_S8_S8_S8_S8_S8_S8_EEEEPS9_S9_NSD_9__find_if7functorIS9_EEEE10hipError_tPvRmT1_T2_T3_mT4_P12ihipStream_tbEUlT_E1_NS1_11comp_targetILNS1_3genE8ELNS1_11target_archE1030ELNS1_3gpuE2ELNS1_3repE0EEENS1_30default_config_static_selectorELNS0_4arch9wavefront6targetE1EEEvS14_,@function
_ZN7rocprim17ROCPRIM_400000_NS6detail17trampoline_kernelINS0_14default_configENS1_22reduce_config_selectorIN6thrust23THRUST_200600_302600_NS5tupleIblNS6_9null_typeES8_S8_S8_S8_S8_S8_S8_EEEEZNS1_11reduce_implILb1ES3_NS6_12zip_iteratorINS7_INS6_11hip_rocprim26transform_input_iterator_tIbNSD_35transform_pair_of_input_iterators_tIbNS6_6detail15normal_iteratorINS6_10device_ptrIKiEEEESL_NS6_8equal_toIiEEEENSG_9not_fun_tINSD_8identityEEEEENSD_19counting_iterator_tIlEES8_S8_S8_S8_S8_S8_S8_S8_EEEEPS9_S9_NSD_9__find_if7functorIS9_EEEE10hipError_tPvRmT1_T2_T3_mT4_P12ihipStream_tbEUlT_E1_NS1_11comp_targetILNS1_3genE8ELNS1_11target_archE1030ELNS1_3gpuE2ELNS1_3repE0EEENS1_30default_config_static_selectorELNS0_4arch9wavefront6targetE1EEEvS14_: ; @_ZN7rocprim17ROCPRIM_400000_NS6detail17trampoline_kernelINS0_14default_configENS1_22reduce_config_selectorIN6thrust23THRUST_200600_302600_NS5tupleIblNS6_9null_typeES8_S8_S8_S8_S8_S8_S8_EEEEZNS1_11reduce_implILb1ES3_NS6_12zip_iteratorINS7_INS6_11hip_rocprim26transform_input_iterator_tIbNSD_35transform_pair_of_input_iterators_tIbNS6_6detail15normal_iteratorINS6_10device_ptrIKiEEEESL_NS6_8equal_toIiEEEENSG_9not_fun_tINSD_8identityEEEEENSD_19counting_iterator_tIlEES8_S8_S8_S8_S8_S8_S8_S8_EEEEPS9_S9_NSD_9__find_if7functorIS9_EEEE10hipError_tPvRmT1_T2_T3_mT4_P12ihipStream_tbEUlT_E1_NS1_11comp_targetILNS1_3genE8ELNS1_11target_archE1030ELNS1_3gpuE2ELNS1_3repE0EEENS1_30default_config_static_selectorELNS0_4arch9wavefront6targetE1EEEvS14_
; %bb.0:
	.section	.rodata,"a",@progbits
	.p2align	6, 0x0
	.amdhsa_kernel _ZN7rocprim17ROCPRIM_400000_NS6detail17trampoline_kernelINS0_14default_configENS1_22reduce_config_selectorIN6thrust23THRUST_200600_302600_NS5tupleIblNS6_9null_typeES8_S8_S8_S8_S8_S8_S8_EEEEZNS1_11reduce_implILb1ES3_NS6_12zip_iteratorINS7_INS6_11hip_rocprim26transform_input_iterator_tIbNSD_35transform_pair_of_input_iterators_tIbNS6_6detail15normal_iteratorINS6_10device_ptrIKiEEEESL_NS6_8equal_toIiEEEENSG_9not_fun_tINSD_8identityEEEEENSD_19counting_iterator_tIlEES8_S8_S8_S8_S8_S8_S8_S8_EEEEPS9_S9_NSD_9__find_if7functorIS9_EEEE10hipError_tPvRmT1_T2_T3_mT4_P12ihipStream_tbEUlT_E1_NS1_11comp_targetILNS1_3genE8ELNS1_11target_archE1030ELNS1_3gpuE2ELNS1_3repE0EEENS1_30default_config_static_selectorELNS0_4arch9wavefront6targetE1EEEvS14_
		.amdhsa_group_segment_fixed_size 0
		.amdhsa_private_segment_fixed_size 0
		.amdhsa_kernarg_size 88
		.amdhsa_user_sgpr_count 6
		.amdhsa_user_sgpr_private_segment_buffer 1
		.amdhsa_user_sgpr_dispatch_ptr 0
		.amdhsa_user_sgpr_queue_ptr 0
		.amdhsa_user_sgpr_kernarg_segment_ptr 1
		.amdhsa_user_sgpr_dispatch_id 0
		.amdhsa_user_sgpr_flat_scratch_init 0
		.amdhsa_user_sgpr_kernarg_preload_length 0
		.amdhsa_user_sgpr_kernarg_preload_offset 0
		.amdhsa_user_sgpr_private_segment_size 0
		.amdhsa_uses_dynamic_stack 0
		.amdhsa_system_sgpr_private_segment_wavefront_offset 0
		.amdhsa_system_sgpr_workgroup_id_x 1
		.amdhsa_system_sgpr_workgroup_id_y 0
		.amdhsa_system_sgpr_workgroup_id_z 0
		.amdhsa_system_sgpr_workgroup_info 0
		.amdhsa_system_vgpr_workitem_id 0
		.amdhsa_next_free_vgpr 1
		.amdhsa_next_free_sgpr 0
		.amdhsa_accum_offset 4
		.amdhsa_reserve_vcc 0
		.amdhsa_reserve_flat_scratch 0
		.amdhsa_float_round_mode_32 0
		.amdhsa_float_round_mode_16_64 0
		.amdhsa_float_denorm_mode_32 3
		.amdhsa_float_denorm_mode_16_64 3
		.amdhsa_dx10_clamp 1
		.amdhsa_ieee_mode 1
		.amdhsa_fp16_overflow 0
		.amdhsa_tg_split 0
		.amdhsa_exception_fp_ieee_invalid_op 0
		.amdhsa_exception_fp_denorm_src 0
		.amdhsa_exception_fp_ieee_div_zero 0
		.amdhsa_exception_fp_ieee_overflow 0
		.amdhsa_exception_fp_ieee_underflow 0
		.amdhsa_exception_fp_ieee_inexact 0
		.amdhsa_exception_int_div_zero 0
	.end_amdhsa_kernel
	.section	.text._ZN7rocprim17ROCPRIM_400000_NS6detail17trampoline_kernelINS0_14default_configENS1_22reduce_config_selectorIN6thrust23THRUST_200600_302600_NS5tupleIblNS6_9null_typeES8_S8_S8_S8_S8_S8_S8_EEEEZNS1_11reduce_implILb1ES3_NS6_12zip_iteratorINS7_INS6_11hip_rocprim26transform_input_iterator_tIbNSD_35transform_pair_of_input_iterators_tIbNS6_6detail15normal_iteratorINS6_10device_ptrIKiEEEESL_NS6_8equal_toIiEEEENSG_9not_fun_tINSD_8identityEEEEENSD_19counting_iterator_tIlEES8_S8_S8_S8_S8_S8_S8_S8_EEEEPS9_S9_NSD_9__find_if7functorIS9_EEEE10hipError_tPvRmT1_T2_T3_mT4_P12ihipStream_tbEUlT_E1_NS1_11comp_targetILNS1_3genE8ELNS1_11target_archE1030ELNS1_3gpuE2ELNS1_3repE0EEENS1_30default_config_static_selectorELNS0_4arch9wavefront6targetE1EEEvS14_,"axG",@progbits,_ZN7rocprim17ROCPRIM_400000_NS6detail17trampoline_kernelINS0_14default_configENS1_22reduce_config_selectorIN6thrust23THRUST_200600_302600_NS5tupleIblNS6_9null_typeES8_S8_S8_S8_S8_S8_S8_EEEEZNS1_11reduce_implILb1ES3_NS6_12zip_iteratorINS7_INS6_11hip_rocprim26transform_input_iterator_tIbNSD_35transform_pair_of_input_iterators_tIbNS6_6detail15normal_iteratorINS6_10device_ptrIKiEEEESL_NS6_8equal_toIiEEEENSG_9not_fun_tINSD_8identityEEEEENSD_19counting_iterator_tIlEES8_S8_S8_S8_S8_S8_S8_S8_EEEEPS9_S9_NSD_9__find_if7functorIS9_EEEE10hipError_tPvRmT1_T2_T3_mT4_P12ihipStream_tbEUlT_E1_NS1_11comp_targetILNS1_3genE8ELNS1_11target_archE1030ELNS1_3gpuE2ELNS1_3repE0EEENS1_30default_config_static_selectorELNS0_4arch9wavefront6targetE1EEEvS14_,comdat
.Lfunc_end278:
	.size	_ZN7rocprim17ROCPRIM_400000_NS6detail17trampoline_kernelINS0_14default_configENS1_22reduce_config_selectorIN6thrust23THRUST_200600_302600_NS5tupleIblNS6_9null_typeES8_S8_S8_S8_S8_S8_S8_EEEEZNS1_11reduce_implILb1ES3_NS6_12zip_iteratorINS7_INS6_11hip_rocprim26transform_input_iterator_tIbNSD_35transform_pair_of_input_iterators_tIbNS6_6detail15normal_iteratorINS6_10device_ptrIKiEEEESL_NS6_8equal_toIiEEEENSG_9not_fun_tINSD_8identityEEEEENSD_19counting_iterator_tIlEES8_S8_S8_S8_S8_S8_S8_S8_EEEEPS9_S9_NSD_9__find_if7functorIS9_EEEE10hipError_tPvRmT1_T2_T3_mT4_P12ihipStream_tbEUlT_E1_NS1_11comp_targetILNS1_3genE8ELNS1_11target_archE1030ELNS1_3gpuE2ELNS1_3repE0EEENS1_30default_config_static_selectorELNS0_4arch9wavefront6targetE1EEEvS14_, .Lfunc_end278-_ZN7rocprim17ROCPRIM_400000_NS6detail17trampoline_kernelINS0_14default_configENS1_22reduce_config_selectorIN6thrust23THRUST_200600_302600_NS5tupleIblNS6_9null_typeES8_S8_S8_S8_S8_S8_S8_EEEEZNS1_11reduce_implILb1ES3_NS6_12zip_iteratorINS7_INS6_11hip_rocprim26transform_input_iterator_tIbNSD_35transform_pair_of_input_iterators_tIbNS6_6detail15normal_iteratorINS6_10device_ptrIKiEEEESL_NS6_8equal_toIiEEEENSG_9not_fun_tINSD_8identityEEEEENSD_19counting_iterator_tIlEES8_S8_S8_S8_S8_S8_S8_S8_EEEEPS9_S9_NSD_9__find_if7functorIS9_EEEE10hipError_tPvRmT1_T2_T3_mT4_P12ihipStream_tbEUlT_E1_NS1_11comp_targetILNS1_3genE8ELNS1_11target_archE1030ELNS1_3gpuE2ELNS1_3repE0EEENS1_30default_config_static_selectorELNS0_4arch9wavefront6targetE1EEEvS14_
                                        ; -- End function
	.section	.AMDGPU.csdata,"",@progbits
; Kernel info:
; codeLenInByte = 0
; NumSgprs: 4
; NumVgprs: 0
; NumAgprs: 0
; TotalNumVgprs: 0
; ScratchSize: 0
; MemoryBound: 0
; FloatMode: 240
; IeeeMode: 1
; LDSByteSize: 0 bytes/workgroup (compile time only)
; SGPRBlocks: 0
; VGPRBlocks: 0
; NumSGPRsForWavesPerEU: 4
; NumVGPRsForWavesPerEU: 1
; AccumOffset: 4
; Occupancy: 8
; WaveLimiterHint : 0
; COMPUTE_PGM_RSRC2:SCRATCH_EN: 0
; COMPUTE_PGM_RSRC2:USER_SGPR: 6
; COMPUTE_PGM_RSRC2:TRAP_HANDLER: 0
; COMPUTE_PGM_RSRC2:TGID_X_EN: 1
; COMPUTE_PGM_RSRC2:TGID_Y_EN: 0
; COMPUTE_PGM_RSRC2:TGID_Z_EN: 0
; COMPUTE_PGM_RSRC2:TIDIG_COMP_CNT: 0
; COMPUTE_PGM_RSRC3_GFX90A:ACCUM_OFFSET: 0
; COMPUTE_PGM_RSRC3_GFX90A:TG_SPLIT: 0
	.section	.text._ZN6thrust23THRUST_200600_302600_NS11hip_rocprim14__parallel_for6kernelILj256ENS1_20__uninitialized_fill7functorINS0_10device_ptrIsEEsEEmLj1EEEvT0_T1_SA_,"axG",@progbits,_ZN6thrust23THRUST_200600_302600_NS11hip_rocprim14__parallel_for6kernelILj256ENS1_20__uninitialized_fill7functorINS0_10device_ptrIsEEsEEmLj1EEEvT0_T1_SA_,comdat
	.protected	_ZN6thrust23THRUST_200600_302600_NS11hip_rocprim14__parallel_for6kernelILj256ENS1_20__uninitialized_fill7functorINS0_10device_ptrIsEEsEEmLj1EEEvT0_T1_SA_ ; -- Begin function _ZN6thrust23THRUST_200600_302600_NS11hip_rocprim14__parallel_for6kernelILj256ENS1_20__uninitialized_fill7functorINS0_10device_ptrIsEEsEEmLj1EEEvT0_T1_SA_
	.globl	_ZN6thrust23THRUST_200600_302600_NS11hip_rocprim14__parallel_for6kernelILj256ENS1_20__uninitialized_fill7functorINS0_10device_ptrIsEEsEEmLj1EEEvT0_T1_SA_
	.p2align	8
	.type	_ZN6thrust23THRUST_200600_302600_NS11hip_rocprim14__parallel_for6kernelILj256ENS1_20__uninitialized_fill7functorINS0_10device_ptrIsEEsEEmLj1EEEvT0_T1_SA_,@function
_ZN6thrust23THRUST_200600_302600_NS11hip_rocprim14__parallel_for6kernelILj256ENS1_20__uninitialized_fill7functorINS0_10device_ptrIsEEsEEmLj1EEEvT0_T1_SA_: ; @_ZN6thrust23THRUST_200600_302600_NS11hip_rocprim14__parallel_for6kernelILj256ENS1_20__uninitialized_fill7functorINS0_10device_ptrIsEEsEEmLj1EEEvT0_T1_SA_
; %bb.0:
	s_load_dwordx4 s[8:11], s[4:5], 0x10
	s_lshl_b32 s0, s6, 8
	v_mov_b32_e32 v2, 0x100
	v_mov_b32_e32 v3, 0
	s_waitcnt lgkmcnt(0)
	s_add_u32 s0, s0, s10
	s_addc_u32 s1, 0, s11
	s_sub_u32 s2, s8, s0
	s_subb_u32 s3, s9, s1
	v_cmp_lt_u64_e32 vcc, s[2:3], v[2:3]
	s_cbranch_vccz .LBB279_2
; %bb.1:
	v_cmp_gt_u32_e32 vcc, s2, v0
	s_and_b64 s[2:3], vcc, exec
	s_cbranch_execz .LBB279_3
	s_branch .LBB279_4
.LBB279_2:
	s_mov_b64 s[2:3], 0
.LBB279_3:
	s_or_b64 s[2:3], s[2:3], exec
.LBB279_4:
	s_and_saveexec_b64 s[6:7], s[2:3]
	s_cbranch_execnz .LBB279_6
; %bb.5:
	s_endpgm
.LBB279_6:
	s_load_dwordx2 s[2:3], s[4:5], 0x0
	s_load_dword s6, s[4:5], 0x8
	s_lshl_b64 s[0:1], s[0:1], 1
	v_mov_b32_e32 v1, 0
	v_lshlrev_b64 v[0:1], 1, v[0:1]
	s_waitcnt lgkmcnt(0)
	s_add_u32 s0, s2, s0
	s_addc_u32 s1, s3, s1
	v_mov_b32_e32 v2, s1
	v_add_co_u32_e32 v0, vcc, s0, v0
	v_addc_co_u32_e32 v1, vcc, v2, v1, vcc
	v_mov_b32_e32 v2, s6
	flat_store_short v[0:1], v2
	s_endpgm
	.section	.rodata,"a",@progbits
	.p2align	6, 0x0
	.amdhsa_kernel _ZN6thrust23THRUST_200600_302600_NS11hip_rocprim14__parallel_for6kernelILj256ENS1_20__uninitialized_fill7functorINS0_10device_ptrIsEEsEEmLj1EEEvT0_T1_SA_
		.amdhsa_group_segment_fixed_size 0
		.amdhsa_private_segment_fixed_size 0
		.amdhsa_kernarg_size 32
		.amdhsa_user_sgpr_count 6
		.amdhsa_user_sgpr_private_segment_buffer 1
		.amdhsa_user_sgpr_dispatch_ptr 0
		.amdhsa_user_sgpr_queue_ptr 0
		.amdhsa_user_sgpr_kernarg_segment_ptr 1
		.amdhsa_user_sgpr_dispatch_id 0
		.amdhsa_user_sgpr_flat_scratch_init 0
		.amdhsa_user_sgpr_kernarg_preload_length 0
		.amdhsa_user_sgpr_kernarg_preload_offset 0
		.amdhsa_user_sgpr_private_segment_size 0
		.amdhsa_uses_dynamic_stack 0
		.amdhsa_system_sgpr_private_segment_wavefront_offset 0
		.amdhsa_system_sgpr_workgroup_id_x 1
		.amdhsa_system_sgpr_workgroup_id_y 0
		.amdhsa_system_sgpr_workgroup_id_z 0
		.amdhsa_system_sgpr_workgroup_info 0
		.amdhsa_system_vgpr_workitem_id 0
		.amdhsa_next_free_vgpr 4
		.amdhsa_next_free_sgpr 12
		.amdhsa_accum_offset 4
		.amdhsa_reserve_vcc 1
		.amdhsa_reserve_flat_scratch 0
		.amdhsa_float_round_mode_32 0
		.amdhsa_float_round_mode_16_64 0
		.amdhsa_float_denorm_mode_32 3
		.amdhsa_float_denorm_mode_16_64 3
		.amdhsa_dx10_clamp 1
		.amdhsa_ieee_mode 1
		.amdhsa_fp16_overflow 0
		.amdhsa_tg_split 0
		.amdhsa_exception_fp_ieee_invalid_op 0
		.amdhsa_exception_fp_denorm_src 0
		.amdhsa_exception_fp_ieee_div_zero 0
		.amdhsa_exception_fp_ieee_overflow 0
		.amdhsa_exception_fp_ieee_underflow 0
		.amdhsa_exception_fp_ieee_inexact 0
		.amdhsa_exception_int_div_zero 0
	.end_amdhsa_kernel
	.section	.text._ZN6thrust23THRUST_200600_302600_NS11hip_rocprim14__parallel_for6kernelILj256ENS1_20__uninitialized_fill7functorINS0_10device_ptrIsEEsEEmLj1EEEvT0_T1_SA_,"axG",@progbits,_ZN6thrust23THRUST_200600_302600_NS11hip_rocprim14__parallel_for6kernelILj256ENS1_20__uninitialized_fill7functorINS0_10device_ptrIsEEsEEmLj1EEEvT0_T1_SA_,comdat
.Lfunc_end279:
	.size	_ZN6thrust23THRUST_200600_302600_NS11hip_rocprim14__parallel_for6kernelILj256ENS1_20__uninitialized_fill7functorINS0_10device_ptrIsEEsEEmLj1EEEvT0_T1_SA_, .Lfunc_end279-_ZN6thrust23THRUST_200600_302600_NS11hip_rocprim14__parallel_for6kernelILj256ENS1_20__uninitialized_fill7functorINS0_10device_ptrIsEEsEEmLj1EEEvT0_T1_SA_
                                        ; -- End function
	.section	.AMDGPU.csdata,"",@progbits
; Kernel info:
; codeLenInByte = 160
; NumSgprs: 16
; NumVgprs: 4
; NumAgprs: 0
; TotalNumVgprs: 4
; ScratchSize: 0
; MemoryBound: 0
; FloatMode: 240
; IeeeMode: 1
; LDSByteSize: 0 bytes/workgroup (compile time only)
; SGPRBlocks: 1
; VGPRBlocks: 0
; NumSGPRsForWavesPerEU: 16
; NumVGPRsForWavesPerEU: 4
; AccumOffset: 4
; Occupancy: 8
; WaveLimiterHint : 0
; COMPUTE_PGM_RSRC2:SCRATCH_EN: 0
; COMPUTE_PGM_RSRC2:USER_SGPR: 6
; COMPUTE_PGM_RSRC2:TRAP_HANDLER: 0
; COMPUTE_PGM_RSRC2:TGID_X_EN: 1
; COMPUTE_PGM_RSRC2:TGID_Y_EN: 0
; COMPUTE_PGM_RSRC2:TGID_Z_EN: 0
; COMPUTE_PGM_RSRC2:TIDIG_COMP_CNT: 0
; COMPUTE_PGM_RSRC3_GFX90A:ACCUM_OFFSET: 0
; COMPUTE_PGM_RSRC3_GFX90A:TG_SPLIT: 0
	.section	.text._ZN7rocprim17ROCPRIM_400000_NS6detail17trampoline_kernelINS0_14default_configENS1_21merge_config_selectorIsNS0_10empty_typeEEEZNS1_10merge_implIS3_N6thrust23THRUST_200600_302600_NS6detail15normal_iteratorINS9_10device_ptrIKsEEEESF_NSB_INSC_IsEEEEPS5_SI_SI_NS9_4lessIsEEEE10hipError_tPvRmT0_T1_T2_T3_T4_T5_mmT6_P12ihipStream_tbEUlT_E_NS1_11comp_targetILNS1_3genE0ELNS1_11target_archE4294967295ELNS1_3gpuE0ELNS1_3repE0EEENS1_30default_config_static_selectorELNS0_4arch9wavefront6targetE1EEEvSP_,"axG",@progbits,_ZN7rocprim17ROCPRIM_400000_NS6detail17trampoline_kernelINS0_14default_configENS1_21merge_config_selectorIsNS0_10empty_typeEEEZNS1_10merge_implIS3_N6thrust23THRUST_200600_302600_NS6detail15normal_iteratorINS9_10device_ptrIKsEEEESF_NSB_INSC_IsEEEEPS5_SI_SI_NS9_4lessIsEEEE10hipError_tPvRmT0_T1_T2_T3_T4_T5_mmT6_P12ihipStream_tbEUlT_E_NS1_11comp_targetILNS1_3genE0ELNS1_11target_archE4294967295ELNS1_3gpuE0ELNS1_3repE0EEENS1_30default_config_static_selectorELNS0_4arch9wavefront6targetE1EEEvSP_,comdat
	.protected	_ZN7rocprim17ROCPRIM_400000_NS6detail17trampoline_kernelINS0_14default_configENS1_21merge_config_selectorIsNS0_10empty_typeEEEZNS1_10merge_implIS3_N6thrust23THRUST_200600_302600_NS6detail15normal_iteratorINS9_10device_ptrIKsEEEESF_NSB_INSC_IsEEEEPS5_SI_SI_NS9_4lessIsEEEE10hipError_tPvRmT0_T1_T2_T3_T4_T5_mmT6_P12ihipStream_tbEUlT_E_NS1_11comp_targetILNS1_3genE0ELNS1_11target_archE4294967295ELNS1_3gpuE0ELNS1_3repE0EEENS1_30default_config_static_selectorELNS0_4arch9wavefront6targetE1EEEvSP_ ; -- Begin function _ZN7rocprim17ROCPRIM_400000_NS6detail17trampoline_kernelINS0_14default_configENS1_21merge_config_selectorIsNS0_10empty_typeEEEZNS1_10merge_implIS3_N6thrust23THRUST_200600_302600_NS6detail15normal_iteratorINS9_10device_ptrIKsEEEESF_NSB_INSC_IsEEEEPS5_SI_SI_NS9_4lessIsEEEE10hipError_tPvRmT0_T1_T2_T3_T4_T5_mmT6_P12ihipStream_tbEUlT_E_NS1_11comp_targetILNS1_3genE0ELNS1_11target_archE4294967295ELNS1_3gpuE0ELNS1_3repE0EEENS1_30default_config_static_selectorELNS0_4arch9wavefront6targetE1EEEvSP_
	.globl	_ZN7rocprim17ROCPRIM_400000_NS6detail17trampoline_kernelINS0_14default_configENS1_21merge_config_selectorIsNS0_10empty_typeEEEZNS1_10merge_implIS3_N6thrust23THRUST_200600_302600_NS6detail15normal_iteratorINS9_10device_ptrIKsEEEESF_NSB_INSC_IsEEEEPS5_SI_SI_NS9_4lessIsEEEE10hipError_tPvRmT0_T1_T2_T3_T4_T5_mmT6_P12ihipStream_tbEUlT_E_NS1_11comp_targetILNS1_3genE0ELNS1_11target_archE4294967295ELNS1_3gpuE0ELNS1_3repE0EEENS1_30default_config_static_selectorELNS0_4arch9wavefront6targetE1EEEvSP_
	.p2align	8
	.type	_ZN7rocprim17ROCPRIM_400000_NS6detail17trampoline_kernelINS0_14default_configENS1_21merge_config_selectorIsNS0_10empty_typeEEEZNS1_10merge_implIS3_N6thrust23THRUST_200600_302600_NS6detail15normal_iteratorINS9_10device_ptrIKsEEEESF_NSB_INSC_IsEEEEPS5_SI_SI_NS9_4lessIsEEEE10hipError_tPvRmT0_T1_T2_T3_T4_T5_mmT6_P12ihipStream_tbEUlT_E_NS1_11comp_targetILNS1_3genE0ELNS1_11target_archE4294967295ELNS1_3gpuE0ELNS1_3repE0EEENS1_30default_config_static_selectorELNS0_4arch9wavefront6targetE1EEEvSP_,@function
_ZN7rocprim17ROCPRIM_400000_NS6detail17trampoline_kernelINS0_14default_configENS1_21merge_config_selectorIsNS0_10empty_typeEEEZNS1_10merge_implIS3_N6thrust23THRUST_200600_302600_NS6detail15normal_iteratorINS9_10device_ptrIKsEEEESF_NSB_INSC_IsEEEEPS5_SI_SI_NS9_4lessIsEEEE10hipError_tPvRmT0_T1_T2_T3_T4_T5_mmT6_P12ihipStream_tbEUlT_E_NS1_11comp_targetILNS1_3genE0ELNS1_11target_archE4294967295ELNS1_3gpuE0ELNS1_3repE0EEENS1_30default_config_static_selectorELNS0_4arch9wavefront6targetE1EEEvSP_: ; @_ZN7rocprim17ROCPRIM_400000_NS6detail17trampoline_kernelINS0_14default_configENS1_21merge_config_selectorIsNS0_10empty_typeEEEZNS1_10merge_implIS3_N6thrust23THRUST_200600_302600_NS6detail15normal_iteratorINS9_10device_ptrIKsEEEESF_NSB_INSC_IsEEEEPS5_SI_SI_NS9_4lessIsEEEE10hipError_tPvRmT0_T1_T2_T3_T4_T5_mmT6_P12ihipStream_tbEUlT_E_NS1_11comp_targetILNS1_3genE0ELNS1_11target_archE4294967295ELNS1_3gpuE0ELNS1_3repE0EEENS1_30default_config_static_selectorELNS0_4arch9wavefront6targetE1EEEvSP_
; %bb.0:
	.section	.rodata,"a",@progbits
	.p2align	6, 0x0
	.amdhsa_kernel _ZN7rocprim17ROCPRIM_400000_NS6detail17trampoline_kernelINS0_14default_configENS1_21merge_config_selectorIsNS0_10empty_typeEEEZNS1_10merge_implIS3_N6thrust23THRUST_200600_302600_NS6detail15normal_iteratorINS9_10device_ptrIKsEEEESF_NSB_INSC_IsEEEEPS5_SI_SI_NS9_4lessIsEEEE10hipError_tPvRmT0_T1_T2_T3_T4_T5_mmT6_P12ihipStream_tbEUlT_E_NS1_11comp_targetILNS1_3genE0ELNS1_11target_archE4294967295ELNS1_3gpuE0ELNS1_3repE0EEENS1_30default_config_static_selectorELNS0_4arch9wavefront6targetE1EEEvSP_
		.amdhsa_group_segment_fixed_size 0
		.amdhsa_private_segment_fixed_size 0
		.amdhsa_kernarg_size 48
		.amdhsa_user_sgpr_count 6
		.amdhsa_user_sgpr_private_segment_buffer 1
		.amdhsa_user_sgpr_dispatch_ptr 0
		.amdhsa_user_sgpr_queue_ptr 0
		.amdhsa_user_sgpr_kernarg_segment_ptr 1
		.amdhsa_user_sgpr_dispatch_id 0
		.amdhsa_user_sgpr_flat_scratch_init 0
		.amdhsa_user_sgpr_kernarg_preload_length 0
		.amdhsa_user_sgpr_kernarg_preload_offset 0
		.amdhsa_user_sgpr_private_segment_size 0
		.amdhsa_uses_dynamic_stack 0
		.amdhsa_system_sgpr_private_segment_wavefront_offset 0
		.amdhsa_system_sgpr_workgroup_id_x 1
		.amdhsa_system_sgpr_workgroup_id_y 0
		.amdhsa_system_sgpr_workgroup_id_z 0
		.amdhsa_system_sgpr_workgroup_info 0
		.amdhsa_system_vgpr_workitem_id 0
		.amdhsa_next_free_vgpr 1
		.amdhsa_next_free_sgpr 0
		.amdhsa_accum_offset 4
		.amdhsa_reserve_vcc 0
		.amdhsa_reserve_flat_scratch 0
		.amdhsa_float_round_mode_32 0
		.amdhsa_float_round_mode_16_64 0
		.amdhsa_float_denorm_mode_32 3
		.amdhsa_float_denorm_mode_16_64 3
		.amdhsa_dx10_clamp 1
		.amdhsa_ieee_mode 1
		.amdhsa_fp16_overflow 0
		.amdhsa_tg_split 0
		.amdhsa_exception_fp_ieee_invalid_op 0
		.amdhsa_exception_fp_denorm_src 0
		.amdhsa_exception_fp_ieee_div_zero 0
		.amdhsa_exception_fp_ieee_overflow 0
		.amdhsa_exception_fp_ieee_underflow 0
		.amdhsa_exception_fp_ieee_inexact 0
		.amdhsa_exception_int_div_zero 0
	.end_amdhsa_kernel
	.section	.text._ZN7rocprim17ROCPRIM_400000_NS6detail17trampoline_kernelINS0_14default_configENS1_21merge_config_selectorIsNS0_10empty_typeEEEZNS1_10merge_implIS3_N6thrust23THRUST_200600_302600_NS6detail15normal_iteratorINS9_10device_ptrIKsEEEESF_NSB_INSC_IsEEEEPS5_SI_SI_NS9_4lessIsEEEE10hipError_tPvRmT0_T1_T2_T3_T4_T5_mmT6_P12ihipStream_tbEUlT_E_NS1_11comp_targetILNS1_3genE0ELNS1_11target_archE4294967295ELNS1_3gpuE0ELNS1_3repE0EEENS1_30default_config_static_selectorELNS0_4arch9wavefront6targetE1EEEvSP_,"axG",@progbits,_ZN7rocprim17ROCPRIM_400000_NS6detail17trampoline_kernelINS0_14default_configENS1_21merge_config_selectorIsNS0_10empty_typeEEEZNS1_10merge_implIS3_N6thrust23THRUST_200600_302600_NS6detail15normal_iteratorINS9_10device_ptrIKsEEEESF_NSB_INSC_IsEEEEPS5_SI_SI_NS9_4lessIsEEEE10hipError_tPvRmT0_T1_T2_T3_T4_T5_mmT6_P12ihipStream_tbEUlT_E_NS1_11comp_targetILNS1_3genE0ELNS1_11target_archE4294967295ELNS1_3gpuE0ELNS1_3repE0EEENS1_30default_config_static_selectorELNS0_4arch9wavefront6targetE1EEEvSP_,comdat
.Lfunc_end280:
	.size	_ZN7rocprim17ROCPRIM_400000_NS6detail17trampoline_kernelINS0_14default_configENS1_21merge_config_selectorIsNS0_10empty_typeEEEZNS1_10merge_implIS3_N6thrust23THRUST_200600_302600_NS6detail15normal_iteratorINS9_10device_ptrIKsEEEESF_NSB_INSC_IsEEEEPS5_SI_SI_NS9_4lessIsEEEE10hipError_tPvRmT0_T1_T2_T3_T4_T5_mmT6_P12ihipStream_tbEUlT_E_NS1_11comp_targetILNS1_3genE0ELNS1_11target_archE4294967295ELNS1_3gpuE0ELNS1_3repE0EEENS1_30default_config_static_selectorELNS0_4arch9wavefront6targetE1EEEvSP_, .Lfunc_end280-_ZN7rocprim17ROCPRIM_400000_NS6detail17trampoline_kernelINS0_14default_configENS1_21merge_config_selectorIsNS0_10empty_typeEEEZNS1_10merge_implIS3_N6thrust23THRUST_200600_302600_NS6detail15normal_iteratorINS9_10device_ptrIKsEEEESF_NSB_INSC_IsEEEEPS5_SI_SI_NS9_4lessIsEEEE10hipError_tPvRmT0_T1_T2_T3_T4_T5_mmT6_P12ihipStream_tbEUlT_E_NS1_11comp_targetILNS1_3genE0ELNS1_11target_archE4294967295ELNS1_3gpuE0ELNS1_3repE0EEENS1_30default_config_static_selectorELNS0_4arch9wavefront6targetE1EEEvSP_
                                        ; -- End function
	.section	.AMDGPU.csdata,"",@progbits
; Kernel info:
; codeLenInByte = 0
; NumSgprs: 4
; NumVgprs: 0
; NumAgprs: 0
; TotalNumVgprs: 0
; ScratchSize: 0
; MemoryBound: 0
; FloatMode: 240
; IeeeMode: 1
; LDSByteSize: 0 bytes/workgroup (compile time only)
; SGPRBlocks: 0
; VGPRBlocks: 0
; NumSGPRsForWavesPerEU: 4
; NumVGPRsForWavesPerEU: 1
; AccumOffset: 4
; Occupancy: 8
; WaveLimiterHint : 0
; COMPUTE_PGM_RSRC2:SCRATCH_EN: 0
; COMPUTE_PGM_RSRC2:USER_SGPR: 6
; COMPUTE_PGM_RSRC2:TRAP_HANDLER: 0
; COMPUTE_PGM_RSRC2:TGID_X_EN: 1
; COMPUTE_PGM_RSRC2:TGID_Y_EN: 0
; COMPUTE_PGM_RSRC2:TGID_Z_EN: 0
; COMPUTE_PGM_RSRC2:TIDIG_COMP_CNT: 0
; COMPUTE_PGM_RSRC3_GFX90A:ACCUM_OFFSET: 0
; COMPUTE_PGM_RSRC3_GFX90A:TG_SPLIT: 0
	.section	.text._ZN7rocprim17ROCPRIM_400000_NS6detail17trampoline_kernelINS0_14default_configENS1_21merge_config_selectorIsNS0_10empty_typeEEEZNS1_10merge_implIS3_N6thrust23THRUST_200600_302600_NS6detail15normal_iteratorINS9_10device_ptrIKsEEEESF_NSB_INSC_IsEEEEPS5_SI_SI_NS9_4lessIsEEEE10hipError_tPvRmT0_T1_T2_T3_T4_T5_mmT6_P12ihipStream_tbEUlT_E_NS1_11comp_targetILNS1_3genE5ELNS1_11target_archE942ELNS1_3gpuE9ELNS1_3repE0EEENS1_30default_config_static_selectorELNS0_4arch9wavefront6targetE1EEEvSP_,"axG",@progbits,_ZN7rocprim17ROCPRIM_400000_NS6detail17trampoline_kernelINS0_14default_configENS1_21merge_config_selectorIsNS0_10empty_typeEEEZNS1_10merge_implIS3_N6thrust23THRUST_200600_302600_NS6detail15normal_iteratorINS9_10device_ptrIKsEEEESF_NSB_INSC_IsEEEEPS5_SI_SI_NS9_4lessIsEEEE10hipError_tPvRmT0_T1_T2_T3_T4_T5_mmT6_P12ihipStream_tbEUlT_E_NS1_11comp_targetILNS1_3genE5ELNS1_11target_archE942ELNS1_3gpuE9ELNS1_3repE0EEENS1_30default_config_static_selectorELNS0_4arch9wavefront6targetE1EEEvSP_,comdat
	.protected	_ZN7rocprim17ROCPRIM_400000_NS6detail17trampoline_kernelINS0_14default_configENS1_21merge_config_selectorIsNS0_10empty_typeEEEZNS1_10merge_implIS3_N6thrust23THRUST_200600_302600_NS6detail15normal_iteratorINS9_10device_ptrIKsEEEESF_NSB_INSC_IsEEEEPS5_SI_SI_NS9_4lessIsEEEE10hipError_tPvRmT0_T1_T2_T3_T4_T5_mmT6_P12ihipStream_tbEUlT_E_NS1_11comp_targetILNS1_3genE5ELNS1_11target_archE942ELNS1_3gpuE9ELNS1_3repE0EEENS1_30default_config_static_selectorELNS0_4arch9wavefront6targetE1EEEvSP_ ; -- Begin function _ZN7rocprim17ROCPRIM_400000_NS6detail17trampoline_kernelINS0_14default_configENS1_21merge_config_selectorIsNS0_10empty_typeEEEZNS1_10merge_implIS3_N6thrust23THRUST_200600_302600_NS6detail15normal_iteratorINS9_10device_ptrIKsEEEESF_NSB_INSC_IsEEEEPS5_SI_SI_NS9_4lessIsEEEE10hipError_tPvRmT0_T1_T2_T3_T4_T5_mmT6_P12ihipStream_tbEUlT_E_NS1_11comp_targetILNS1_3genE5ELNS1_11target_archE942ELNS1_3gpuE9ELNS1_3repE0EEENS1_30default_config_static_selectorELNS0_4arch9wavefront6targetE1EEEvSP_
	.globl	_ZN7rocprim17ROCPRIM_400000_NS6detail17trampoline_kernelINS0_14default_configENS1_21merge_config_selectorIsNS0_10empty_typeEEEZNS1_10merge_implIS3_N6thrust23THRUST_200600_302600_NS6detail15normal_iteratorINS9_10device_ptrIKsEEEESF_NSB_INSC_IsEEEEPS5_SI_SI_NS9_4lessIsEEEE10hipError_tPvRmT0_T1_T2_T3_T4_T5_mmT6_P12ihipStream_tbEUlT_E_NS1_11comp_targetILNS1_3genE5ELNS1_11target_archE942ELNS1_3gpuE9ELNS1_3repE0EEENS1_30default_config_static_selectorELNS0_4arch9wavefront6targetE1EEEvSP_
	.p2align	8
	.type	_ZN7rocprim17ROCPRIM_400000_NS6detail17trampoline_kernelINS0_14default_configENS1_21merge_config_selectorIsNS0_10empty_typeEEEZNS1_10merge_implIS3_N6thrust23THRUST_200600_302600_NS6detail15normal_iteratorINS9_10device_ptrIKsEEEESF_NSB_INSC_IsEEEEPS5_SI_SI_NS9_4lessIsEEEE10hipError_tPvRmT0_T1_T2_T3_T4_T5_mmT6_P12ihipStream_tbEUlT_E_NS1_11comp_targetILNS1_3genE5ELNS1_11target_archE942ELNS1_3gpuE9ELNS1_3repE0EEENS1_30default_config_static_selectorELNS0_4arch9wavefront6targetE1EEEvSP_,@function
_ZN7rocprim17ROCPRIM_400000_NS6detail17trampoline_kernelINS0_14default_configENS1_21merge_config_selectorIsNS0_10empty_typeEEEZNS1_10merge_implIS3_N6thrust23THRUST_200600_302600_NS6detail15normal_iteratorINS9_10device_ptrIKsEEEESF_NSB_INSC_IsEEEEPS5_SI_SI_NS9_4lessIsEEEE10hipError_tPvRmT0_T1_T2_T3_T4_T5_mmT6_P12ihipStream_tbEUlT_E_NS1_11comp_targetILNS1_3genE5ELNS1_11target_archE942ELNS1_3gpuE9ELNS1_3repE0EEENS1_30default_config_static_selectorELNS0_4arch9wavefront6targetE1EEEvSP_: ; @_ZN7rocprim17ROCPRIM_400000_NS6detail17trampoline_kernelINS0_14default_configENS1_21merge_config_selectorIsNS0_10empty_typeEEEZNS1_10merge_implIS3_N6thrust23THRUST_200600_302600_NS6detail15normal_iteratorINS9_10device_ptrIKsEEEESF_NSB_INSC_IsEEEEPS5_SI_SI_NS9_4lessIsEEEE10hipError_tPvRmT0_T1_T2_T3_T4_T5_mmT6_P12ihipStream_tbEUlT_E_NS1_11comp_targetILNS1_3genE5ELNS1_11target_archE942ELNS1_3gpuE9ELNS1_3repE0EEENS1_30default_config_static_selectorELNS0_4arch9wavefront6targetE1EEEvSP_
; %bb.0:
	.section	.rodata,"a",@progbits
	.p2align	6, 0x0
	.amdhsa_kernel _ZN7rocprim17ROCPRIM_400000_NS6detail17trampoline_kernelINS0_14default_configENS1_21merge_config_selectorIsNS0_10empty_typeEEEZNS1_10merge_implIS3_N6thrust23THRUST_200600_302600_NS6detail15normal_iteratorINS9_10device_ptrIKsEEEESF_NSB_INSC_IsEEEEPS5_SI_SI_NS9_4lessIsEEEE10hipError_tPvRmT0_T1_T2_T3_T4_T5_mmT6_P12ihipStream_tbEUlT_E_NS1_11comp_targetILNS1_3genE5ELNS1_11target_archE942ELNS1_3gpuE9ELNS1_3repE0EEENS1_30default_config_static_selectorELNS0_4arch9wavefront6targetE1EEEvSP_
		.amdhsa_group_segment_fixed_size 0
		.amdhsa_private_segment_fixed_size 0
		.amdhsa_kernarg_size 48
		.amdhsa_user_sgpr_count 6
		.amdhsa_user_sgpr_private_segment_buffer 1
		.amdhsa_user_sgpr_dispatch_ptr 0
		.amdhsa_user_sgpr_queue_ptr 0
		.amdhsa_user_sgpr_kernarg_segment_ptr 1
		.amdhsa_user_sgpr_dispatch_id 0
		.amdhsa_user_sgpr_flat_scratch_init 0
		.amdhsa_user_sgpr_kernarg_preload_length 0
		.amdhsa_user_sgpr_kernarg_preload_offset 0
		.amdhsa_user_sgpr_private_segment_size 0
		.amdhsa_uses_dynamic_stack 0
		.amdhsa_system_sgpr_private_segment_wavefront_offset 0
		.amdhsa_system_sgpr_workgroup_id_x 1
		.amdhsa_system_sgpr_workgroup_id_y 0
		.amdhsa_system_sgpr_workgroup_id_z 0
		.amdhsa_system_sgpr_workgroup_info 0
		.amdhsa_system_vgpr_workitem_id 0
		.amdhsa_next_free_vgpr 1
		.amdhsa_next_free_sgpr 0
		.amdhsa_accum_offset 4
		.amdhsa_reserve_vcc 0
		.amdhsa_reserve_flat_scratch 0
		.amdhsa_float_round_mode_32 0
		.amdhsa_float_round_mode_16_64 0
		.amdhsa_float_denorm_mode_32 3
		.amdhsa_float_denorm_mode_16_64 3
		.amdhsa_dx10_clamp 1
		.amdhsa_ieee_mode 1
		.amdhsa_fp16_overflow 0
		.amdhsa_tg_split 0
		.amdhsa_exception_fp_ieee_invalid_op 0
		.amdhsa_exception_fp_denorm_src 0
		.amdhsa_exception_fp_ieee_div_zero 0
		.amdhsa_exception_fp_ieee_overflow 0
		.amdhsa_exception_fp_ieee_underflow 0
		.amdhsa_exception_fp_ieee_inexact 0
		.amdhsa_exception_int_div_zero 0
	.end_amdhsa_kernel
	.section	.text._ZN7rocprim17ROCPRIM_400000_NS6detail17trampoline_kernelINS0_14default_configENS1_21merge_config_selectorIsNS0_10empty_typeEEEZNS1_10merge_implIS3_N6thrust23THRUST_200600_302600_NS6detail15normal_iteratorINS9_10device_ptrIKsEEEESF_NSB_INSC_IsEEEEPS5_SI_SI_NS9_4lessIsEEEE10hipError_tPvRmT0_T1_T2_T3_T4_T5_mmT6_P12ihipStream_tbEUlT_E_NS1_11comp_targetILNS1_3genE5ELNS1_11target_archE942ELNS1_3gpuE9ELNS1_3repE0EEENS1_30default_config_static_selectorELNS0_4arch9wavefront6targetE1EEEvSP_,"axG",@progbits,_ZN7rocprim17ROCPRIM_400000_NS6detail17trampoline_kernelINS0_14default_configENS1_21merge_config_selectorIsNS0_10empty_typeEEEZNS1_10merge_implIS3_N6thrust23THRUST_200600_302600_NS6detail15normal_iteratorINS9_10device_ptrIKsEEEESF_NSB_INSC_IsEEEEPS5_SI_SI_NS9_4lessIsEEEE10hipError_tPvRmT0_T1_T2_T3_T4_T5_mmT6_P12ihipStream_tbEUlT_E_NS1_11comp_targetILNS1_3genE5ELNS1_11target_archE942ELNS1_3gpuE9ELNS1_3repE0EEENS1_30default_config_static_selectorELNS0_4arch9wavefront6targetE1EEEvSP_,comdat
.Lfunc_end281:
	.size	_ZN7rocprim17ROCPRIM_400000_NS6detail17trampoline_kernelINS0_14default_configENS1_21merge_config_selectorIsNS0_10empty_typeEEEZNS1_10merge_implIS3_N6thrust23THRUST_200600_302600_NS6detail15normal_iteratorINS9_10device_ptrIKsEEEESF_NSB_INSC_IsEEEEPS5_SI_SI_NS9_4lessIsEEEE10hipError_tPvRmT0_T1_T2_T3_T4_T5_mmT6_P12ihipStream_tbEUlT_E_NS1_11comp_targetILNS1_3genE5ELNS1_11target_archE942ELNS1_3gpuE9ELNS1_3repE0EEENS1_30default_config_static_selectorELNS0_4arch9wavefront6targetE1EEEvSP_, .Lfunc_end281-_ZN7rocprim17ROCPRIM_400000_NS6detail17trampoline_kernelINS0_14default_configENS1_21merge_config_selectorIsNS0_10empty_typeEEEZNS1_10merge_implIS3_N6thrust23THRUST_200600_302600_NS6detail15normal_iteratorINS9_10device_ptrIKsEEEESF_NSB_INSC_IsEEEEPS5_SI_SI_NS9_4lessIsEEEE10hipError_tPvRmT0_T1_T2_T3_T4_T5_mmT6_P12ihipStream_tbEUlT_E_NS1_11comp_targetILNS1_3genE5ELNS1_11target_archE942ELNS1_3gpuE9ELNS1_3repE0EEENS1_30default_config_static_selectorELNS0_4arch9wavefront6targetE1EEEvSP_
                                        ; -- End function
	.section	.AMDGPU.csdata,"",@progbits
; Kernel info:
; codeLenInByte = 0
; NumSgprs: 4
; NumVgprs: 0
; NumAgprs: 0
; TotalNumVgprs: 0
; ScratchSize: 0
; MemoryBound: 0
; FloatMode: 240
; IeeeMode: 1
; LDSByteSize: 0 bytes/workgroup (compile time only)
; SGPRBlocks: 0
; VGPRBlocks: 0
; NumSGPRsForWavesPerEU: 4
; NumVGPRsForWavesPerEU: 1
; AccumOffset: 4
; Occupancy: 8
; WaveLimiterHint : 0
; COMPUTE_PGM_RSRC2:SCRATCH_EN: 0
; COMPUTE_PGM_RSRC2:USER_SGPR: 6
; COMPUTE_PGM_RSRC2:TRAP_HANDLER: 0
; COMPUTE_PGM_RSRC2:TGID_X_EN: 1
; COMPUTE_PGM_RSRC2:TGID_Y_EN: 0
; COMPUTE_PGM_RSRC2:TGID_Z_EN: 0
; COMPUTE_PGM_RSRC2:TIDIG_COMP_CNT: 0
; COMPUTE_PGM_RSRC3_GFX90A:ACCUM_OFFSET: 0
; COMPUTE_PGM_RSRC3_GFX90A:TG_SPLIT: 0
	.section	.text._ZN7rocprim17ROCPRIM_400000_NS6detail17trampoline_kernelINS0_14default_configENS1_21merge_config_selectorIsNS0_10empty_typeEEEZNS1_10merge_implIS3_N6thrust23THRUST_200600_302600_NS6detail15normal_iteratorINS9_10device_ptrIKsEEEESF_NSB_INSC_IsEEEEPS5_SI_SI_NS9_4lessIsEEEE10hipError_tPvRmT0_T1_T2_T3_T4_T5_mmT6_P12ihipStream_tbEUlT_E_NS1_11comp_targetILNS1_3genE4ELNS1_11target_archE910ELNS1_3gpuE8ELNS1_3repE0EEENS1_30default_config_static_selectorELNS0_4arch9wavefront6targetE1EEEvSP_,"axG",@progbits,_ZN7rocprim17ROCPRIM_400000_NS6detail17trampoline_kernelINS0_14default_configENS1_21merge_config_selectorIsNS0_10empty_typeEEEZNS1_10merge_implIS3_N6thrust23THRUST_200600_302600_NS6detail15normal_iteratorINS9_10device_ptrIKsEEEESF_NSB_INSC_IsEEEEPS5_SI_SI_NS9_4lessIsEEEE10hipError_tPvRmT0_T1_T2_T3_T4_T5_mmT6_P12ihipStream_tbEUlT_E_NS1_11comp_targetILNS1_3genE4ELNS1_11target_archE910ELNS1_3gpuE8ELNS1_3repE0EEENS1_30default_config_static_selectorELNS0_4arch9wavefront6targetE1EEEvSP_,comdat
	.protected	_ZN7rocprim17ROCPRIM_400000_NS6detail17trampoline_kernelINS0_14default_configENS1_21merge_config_selectorIsNS0_10empty_typeEEEZNS1_10merge_implIS3_N6thrust23THRUST_200600_302600_NS6detail15normal_iteratorINS9_10device_ptrIKsEEEESF_NSB_INSC_IsEEEEPS5_SI_SI_NS9_4lessIsEEEE10hipError_tPvRmT0_T1_T2_T3_T4_T5_mmT6_P12ihipStream_tbEUlT_E_NS1_11comp_targetILNS1_3genE4ELNS1_11target_archE910ELNS1_3gpuE8ELNS1_3repE0EEENS1_30default_config_static_selectorELNS0_4arch9wavefront6targetE1EEEvSP_ ; -- Begin function _ZN7rocprim17ROCPRIM_400000_NS6detail17trampoline_kernelINS0_14default_configENS1_21merge_config_selectorIsNS0_10empty_typeEEEZNS1_10merge_implIS3_N6thrust23THRUST_200600_302600_NS6detail15normal_iteratorINS9_10device_ptrIKsEEEESF_NSB_INSC_IsEEEEPS5_SI_SI_NS9_4lessIsEEEE10hipError_tPvRmT0_T1_T2_T3_T4_T5_mmT6_P12ihipStream_tbEUlT_E_NS1_11comp_targetILNS1_3genE4ELNS1_11target_archE910ELNS1_3gpuE8ELNS1_3repE0EEENS1_30default_config_static_selectorELNS0_4arch9wavefront6targetE1EEEvSP_
	.globl	_ZN7rocprim17ROCPRIM_400000_NS6detail17trampoline_kernelINS0_14default_configENS1_21merge_config_selectorIsNS0_10empty_typeEEEZNS1_10merge_implIS3_N6thrust23THRUST_200600_302600_NS6detail15normal_iteratorINS9_10device_ptrIKsEEEESF_NSB_INSC_IsEEEEPS5_SI_SI_NS9_4lessIsEEEE10hipError_tPvRmT0_T1_T2_T3_T4_T5_mmT6_P12ihipStream_tbEUlT_E_NS1_11comp_targetILNS1_3genE4ELNS1_11target_archE910ELNS1_3gpuE8ELNS1_3repE0EEENS1_30default_config_static_selectorELNS0_4arch9wavefront6targetE1EEEvSP_
	.p2align	8
	.type	_ZN7rocprim17ROCPRIM_400000_NS6detail17trampoline_kernelINS0_14default_configENS1_21merge_config_selectorIsNS0_10empty_typeEEEZNS1_10merge_implIS3_N6thrust23THRUST_200600_302600_NS6detail15normal_iteratorINS9_10device_ptrIKsEEEESF_NSB_INSC_IsEEEEPS5_SI_SI_NS9_4lessIsEEEE10hipError_tPvRmT0_T1_T2_T3_T4_T5_mmT6_P12ihipStream_tbEUlT_E_NS1_11comp_targetILNS1_3genE4ELNS1_11target_archE910ELNS1_3gpuE8ELNS1_3repE0EEENS1_30default_config_static_selectorELNS0_4arch9wavefront6targetE1EEEvSP_,@function
_ZN7rocprim17ROCPRIM_400000_NS6detail17trampoline_kernelINS0_14default_configENS1_21merge_config_selectorIsNS0_10empty_typeEEEZNS1_10merge_implIS3_N6thrust23THRUST_200600_302600_NS6detail15normal_iteratorINS9_10device_ptrIKsEEEESF_NSB_INSC_IsEEEEPS5_SI_SI_NS9_4lessIsEEEE10hipError_tPvRmT0_T1_T2_T3_T4_T5_mmT6_P12ihipStream_tbEUlT_E_NS1_11comp_targetILNS1_3genE4ELNS1_11target_archE910ELNS1_3gpuE8ELNS1_3repE0EEENS1_30default_config_static_selectorELNS0_4arch9wavefront6targetE1EEEvSP_: ; @_ZN7rocprim17ROCPRIM_400000_NS6detail17trampoline_kernelINS0_14default_configENS1_21merge_config_selectorIsNS0_10empty_typeEEEZNS1_10merge_implIS3_N6thrust23THRUST_200600_302600_NS6detail15normal_iteratorINS9_10device_ptrIKsEEEESF_NSB_INSC_IsEEEEPS5_SI_SI_NS9_4lessIsEEEE10hipError_tPvRmT0_T1_T2_T3_T4_T5_mmT6_P12ihipStream_tbEUlT_E_NS1_11comp_targetILNS1_3genE4ELNS1_11target_archE910ELNS1_3gpuE8ELNS1_3repE0EEENS1_30default_config_static_selectorELNS0_4arch9wavefront6targetE1EEEvSP_
; %bb.0:
	s_load_dword s7, s[4:5], 0x28
	s_load_dword s0, s[4:5], 0x3c
	s_load_dwordx4 s[8:11], s[4:5], 0x18
	s_waitcnt lgkmcnt(0)
	v_cvt_f32_u32_e32 v1, s7
	s_and_b32 s0, s0, 0xffff
	s_add_u32 s12, s10, s8
	s_addc_u32 s13, s11, s9
	v_rcp_iflag_f32_e32 v1, v1
	s_sub_i32 s1, 0, s7
	s_mul_i32 s6, s6, s0
	s_add_i32 s0, s7, s12
	v_mul_f32_e32 v1, 0x4f7ffffe, v1
	v_cvt_u32_f32_e32 v1, v1
	s_add_i32 s0, s0, -1
	v_add_u32_e32 v0, s6, v0
	v_readfirstlane_b32 s2, v1
	s_mul_i32 s1, s1, s2
	s_mul_hi_u32 s1, s2, s1
	s_add_i32 s2, s2, s1
	s_mul_hi_u32 s1, s0, s2
	s_mul_i32 s2, s1, s7
	s_sub_i32 s0, s0, s2
	s_add_i32 s3, s1, 1
	s_sub_i32 s2, s0, s7
	s_cmp_ge_u32 s0, s7
	s_cselect_b32 s1, s3, s1
	s_cselect_b32 s0, s2, s0
	s_add_i32 s2, s1, 1
	s_cmp_ge_u32 s0, s7
	s_cselect_b32 s0, s2, s1
	v_cmp_ge_u32_e32 vcc, s0, v0
	s_and_saveexec_b64 s[0:1], vcc
	s_cbranch_execz .LBB282_6
; %bb.1:
	v_mul_lo_u32 v2, v0, s7
	v_mov_b32_e32 v3, 0
	v_mov_b32_e32 v1, s13
	v_cmp_gt_u64_e32 vcc, s[12:13], v[2:3]
	v_cndmask_b32_e64 v7, v1, 0, vcc
	v_mov_b32_e32 v1, s12
	v_cndmask_b32_e32 v6, v1, v2, vcc
	v_mov_b32_e32 v1, s11
	v_subrev_co_u32_e32 v2, vcc, s10, v6
	v_subb_co_u32_e32 v3, vcc, v7, v1, vcc
	s_load_dwordx4 s[0:3], s[4:5], 0x0
	v_cmp_gt_u64_e32 vcc, v[2:3], v[6:7]
	v_cndmask_b32_e64 v3, v3, 0, vcc
	v_cndmask_b32_e64 v2, v2, 0, vcc
	v_mov_b32_e32 v1, s9
	v_cmp_gt_u64_e32 vcc, s[8:9], v[6:7]
	v_cndmask_b32_e32 v5, v1, v7, vcc
	v_mov_b32_e32 v1, s8
	v_cndmask_b32_e32 v4, v1, v6, vcc
	v_cmp_lt_u64_e32 vcc, v[2:3], v[4:5]
	s_and_saveexec_b64 s[6:7], vcc
	s_cbranch_execz .LBB282_5
; %bb.2:
	s_load_dwordx2 s[4:5], s[4:5], 0x10
	v_lshlrev_b64 v[6:7], 1, v[6:7]
	s_waitcnt lgkmcnt(0)
	v_mov_b32_e32 v8, s5
	v_add_co_u32_e32 v1, vcc, s4, v6
	v_addc_co_u32_e32 v6, vcc, v8, v7, vcc
	s_mov_b64 s[4:5], 0
	v_mov_b32_e32 v7, s3
.LBB282_3:                              ; =>This Inner Loop Header: Depth=1
	v_add_co_u32_e32 v8, vcc, v4, v2
	v_addc_co_u32_e32 v9, vcc, v5, v3, vcc
	v_lshrrev_b64 v[10:11], 1, v[8:9]
	v_and_b32_e32 v8, -2, v8
	v_add_co_u32_e32 v8, vcc, s2, v8
	v_not_b32_e32 v13, v11
	v_not_b32_e32 v12, v10
	v_addc_co_u32_e32 v9, vcc, v7, v9, vcc
	global_load_ushort v14, v[8:9], off
	v_lshlrev_b64 v[8:9], 1, v[12:13]
	v_add_co_u32_e32 v8, vcc, v1, v8
	v_addc_co_u32_e32 v9, vcc, v6, v9, vcc
	global_load_ushort v8, v[8:9], off
	v_add_co_u32_e32 v9, vcc, 1, v10
	v_addc_co_u32_e32 v12, vcc, 0, v11, vcc
	s_waitcnt vmcnt(0)
	v_cmp_lt_i16_e32 vcc, v8, v14
	v_cndmask_b32_e32 v5, v5, v11, vcc
	v_cndmask_b32_e32 v4, v4, v10, vcc
	;; [unrolled: 1-line block ×4, first 2 shown]
	v_cmp_ge_u64_e32 vcc, v[2:3], v[4:5]
	s_or_b64 s[4:5], vcc, s[4:5]
	s_andn2_b64 exec, exec, s[4:5]
	s_cbranch_execnz .LBB282_3
; %bb.4:
	s_or_b64 exec, exec, s[4:5]
.LBB282_5:
	s_or_b64 exec, exec, s[6:7]
	v_mov_b32_e32 v1, 0
	v_lshlrev_b64 v[0:1], 2, v[0:1]
	s_waitcnt lgkmcnt(0)
	v_mov_b32_e32 v3, s1
	v_add_co_u32_e32 v0, vcc, s0, v0
	v_addc_co_u32_e32 v1, vcc, v3, v1, vcc
	global_store_dword v[0:1], v2, off
.LBB282_6:
	s_endpgm
	.section	.rodata,"a",@progbits
	.p2align	6, 0x0
	.amdhsa_kernel _ZN7rocprim17ROCPRIM_400000_NS6detail17trampoline_kernelINS0_14default_configENS1_21merge_config_selectorIsNS0_10empty_typeEEEZNS1_10merge_implIS3_N6thrust23THRUST_200600_302600_NS6detail15normal_iteratorINS9_10device_ptrIKsEEEESF_NSB_INSC_IsEEEEPS5_SI_SI_NS9_4lessIsEEEE10hipError_tPvRmT0_T1_T2_T3_T4_T5_mmT6_P12ihipStream_tbEUlT_E_NS1_11comp_targetILNS1_3genE4ELNS1_11target_archE910ELNS1_3gpuE8ELNS1_3repE0EEENS1_30default_config_static_selectorELNS0_4arch9wavefront6targetE1EEEvSP_
		.amdhsa_group_segment_fixed_size 0
		.amdhsa_private_segment_fixed_size 0
		.amdhsa_kernarg_size 304
		.amdhsa_user_sgpr_count 6
		.amdhsa_user_sgpr_private_segment_buffer 1
		.amdhsa_user_sgpr_dispatch_ptr 0
		.amdhsa_user_sgpr_queue_ptr 0
		.amdhsa_user_sgpr_kernarg_segment_ptr 1
		.amdhsa_user_sgpr_dispatch_id 0
		.amdhsa_user_sgpr_flat_scratch_init 0
		.amdhsa_user_sgpr_kernarg_preload_length 0
		.amdhsa_user_sgpr_kernarg_preload_offset 0
		.amdhsa_user_sgpr_private_segment_size 0
		.amdhsa_uses_dynamic_stack 0
		.amdhsa_system_sgpr_private_segment_wavefront_offset 0
		.amdhsa_system_sgpr_workgroup_id_x 1
		.amdhsa_system_sgpr_workgroup_id_y 0
		.amdhsa_system_sgpr_workgroup_id_z 0
		.amdhsa_system_sgpr_workgroup_info 0
		.amdhsa_system_vgpr_workitem_id 0
		.amdhsa_next_free_vgpr 15
		.amdhsa_next_free_sgpr 14
		.amdhsa_accum_offset 16
		.amdhsa_reserve_vcc 1
		.amdhsa_reserve_flat_scratch 0
		.amdhsa_float_round_mode_32 0
		.amdhsa_float_round_mode_16_64 0
		.amdhsa_float_denorm_mode_32 3
		.amdhsa_float_denorm_mode_16_64 3
		.amdhsa_dx10_clamp 1
		.amdhsa_ieee_mode 1
		.amdhsa_fp16_overflow 0
		.amdhsa_tg_split 0
		.amdhsa_exception_fp_ieee_invalid_op 0
		.amdhsa_exception_fp_denorm_src 0
		.amdhsa_exception_fp_ieee_div_zero 0
		.amdhsa_exception_fp_ieee_overflow 0
		.amdhsa_exception_fp_ieee_underflow 0
		.amdhsa_exception_fp_ieee_inexact 0
		.amdhsa_exception_int_div_zero 0
	.end_amdhsa_kernel
	.section	.text._ZN7rocprim17ROCPRIM_400000_NS6detail17trampoline_kernelINS0_14default_configENS1_21merge_config_selectorIsNS0_10empty_typeEEEZNS1_10merge_implIS3_N6thrust23THRUST_200600_302600_NS6detail15normal_iteratorINS9_10device_ptrIKsEEEESF_NSB_INSC_IsEEEEPS5_SI_SI_NS9_4lessIsEEEE10hipError_tPvRmT0_T1_T2_T3_T4_T5_mmT6_P12ihipStream_tbEUlT_E_NS1_11comp_targetILNS1_3genE4ELNS1_11target_archE910ELNS1_3gpuE8ELNS1_3repE0EEENS1_30default_config_static_selectorELNS0_4arch9wavefront6targetE1EEEvSP_,"axG",@progbits,_ZN7rocprim17ROCPRIM_400000_NS6detail17trampoline_kernelINS0_14default_configENS1_21merge_config_selectorIsNS0_10empty_typeEEEZNS1_10merge_implIS3_N6thrust23THRUST_200600_302600_NS6detail15normal_iteratorINS9_10device_ptrIKsEEEESF_NSB_INSC_IsEEEEPS5_SI_SI_NS9_4lessIsEEEE10hipError_tPvRmT0_T1_T2_T3_T4_T5_mmT6_P12ihipStream_tbEUlT_E_NS1_11comp_targetILNS1_3genE4ELNS1_11target_archE910ELNS1_3gpuE8ELNS1_3repE0EEENS1_30default_config_static_selectorELNS0_4arch9wavefront6targetE1EEEvSP_,comdat
.Lfunc_end282:
	.size	_ZN7rocprim17ROCPRIM_400000_NS6detail17trampoline_kernelINS0_14default_configENS1_21merge_config_selectorIsNS0_10empty_typeEEEZNS1_10merge_implIS3_N6thrust23THRUST_200600_302600_NS6detail15normal_iteratorINS9_10device_ptrIKsEEEESF_NSB_INSC_IsEEEEPS5_SI_SI_NS9_4lessIsEEEE10hipError_tPvRmT0_T1_T2_T3_T4_T5_mmT6_P12ihipStream_tbEUlT_E_NS1_11comp_targetILNS1_3genE4ELNS1_11target_archE910ELNS1_3gpuE8ELNS1_3repE0EEENS1_30default_config_static_selectorELNS0_4arch9wavefront6targetE1EEEvSP_, .Lfunc_end282-_ZN7rocprim17ROCPRIM_400000_NS6detail17trampoline_kernelINS0_14default_configENS1_21merge_config_selectorIsNS0_10empty_typeEEEZNS1_10merge_implIS3_N6thrust23THRUST_200600_302600_NS6detail15normal_iteratorINS9_10device_ptrIKsEEEESF_NSB_INSC_IsEEEEPS5_SI_SI_NS9_4lessIsEEEE10hipError_tPvRmT0_T1_T2_T3_T4_T5_mmT6_P12ihipStream_tbEUlT_E_NS1_11comp_targetILNS1_3genE4ELNS1_11target_archE910ELNS1_3gpuE8ELNS1_3repE0EEENS1_30default_config_static_selectorELNS0_4arch9wavefront6targetE1EEEvSP_
                                        ; -- End function
	.section	.AMDGPU.csdata,"",@progbits
; Kernel info:
; codeLenInByte = 468
; NumSgprs: 18
; NumVgprs: 15
; NumAgprs: 0
; TotalNumVgprs: 15
; ScratchSize: 0
; MemoryBound: 0
; FloatMode: 240
; IeeeMode: 1
; LDSByteSize: 0 bytes/workgroup (compile time only)
; SGPRBlocks: 2
; VGPRBlocks: 1
; NumSGPRsForWavesPerEU: 18
; NumVGPRsForWavesPerEU: 15
; AccumOffset: 16
; Occupancy: 8
; WaveLimiterHint : 0
; COMPUTE_PGM_RSRC2:SCRATCH_EN: 0
; COMPUTE_PGM_RSRC2:USER_SGPR: 6
; COMPUTE_PGM_RSRC2:TRAP_HANDLER: 0
; COMPUTE_PGM_RSRC2:TGID_X_EN: 1
; COMPUTE_PGM_RSRC2:TGID_Y_EN: 0
; COMPUTE_PGM_RSRC2:TGID_Z_EN: 0
; COMPUTE_PGM_RSRC2:TIDIG_COMP_CNT: 0
; COMPUTE_PGM_RSRC3_GFX90A:ACCUM_OFFSET: 3
; COMPUTE_PGM_RSRC3_GFX90A:TG_SPLIT: 0
	.section	.text._ZN7rocprim17ROCPRIM_400000_NS6detail17trampoline_kernelINS0_14default_configENS1_21merge_config_selectorIsNS0_10empty_typeEEEZNS1_10merge_implIS3_N6thrust23THRUST_200600_302600_NS6detail15normal_iteratorINS9_10device_ptrIKsEEEESF_NSB_INSC_IsEEEEPS5_SI_SI_NS9_4lessIsEEEE10hipError_tPvRmT0_T1_T2_T3_T4_T5_mmT6_P12ihipStream_tbEUlT_E_NS1_11comp_targetILNS1_3genE3ELNS1_11target_archE908ELNS1_3gpuE7ELNS1_3repE0EEENS1_30default_config_static_selectorELNS0_4arch9wavefront6targetE1EEEvSP_,"axG",@progbits,_ZN7rocprim17ROCPRIM_400000_NS6detail17trampoline_kernelINS0_14default_configENS1_21merge_config_selectorIsNS0_10empty_typeEEEZNS1_10merge_implIS3_N6thrust23THRUST_200600_302600_NS6detail15normal_iteratorINS9_10device_ptrIKsEEEESF_NSB_INSC_IsEEEEPS5_SI_SI_NS9_4lessIsEEEE10hipError_tPvRmT0_T1_T2_T3_T4_T5_mmT6_P12ihipStream_tbEUlT_E_NS1_11comp_targetILNS1_3genE3ELNS1_11target_archE908ELNS1_3gpuE7ELNS1_3repE0EEENS1_30default_config_static_selectorELNS0_4arch9wavefront6targetE1EEEvSP_,comdat
	.protected	_ZN7rocprim17ROCPRIM_400000_NS6detail17trampoline_kernelINS0_14default_configENS1_21merge_config_selectorIsNS0_10empty_typeEEEZNS1_10merge_implIS3_N6thrust23THRUST_200600_302600_NS6detail15normal_iteratorINS9_10device_ptrIKsEEEESF_NSB_INSC_IsEEEEPS5_SI_SI_NS9_4lessIsEEEE10hipError_tPvRmT0_T1_T2_T3_T4_T5_mmT6_P12ihipStream_tbEUlT_E_NS1_11comp_targetILNS1_3genE3ELNS1_11target_archE908ELNS1_3gpuE7ELNS1_3repE0EEENS1_30default_config_static_selectorELNS0_4arch9wavefront6targetE1EEEvSP_ ; -- Begin function _ZN7rocprim17ROCPRIM_400000_NS6detail17trampoline_kernelINS0_14default_configENS1_21merge_config_selectorIsNS0_10empty_typeEEEZNS1_10merge_implIS3_N6thrust23THRUST_200600_302600_NS6detail15normal_iteratorINS9_10device_ptrIKsEEEESF_NSB_INSC_IsEEEEPS5_SI_SI_NS9_4lessIsEEEE10hipError_tPvRmT0_T1_T2_T3_T4_T5_mmT6_P12ihipStream_tbEUlT_E_NS1_11comp_targetILNS1_3genE3ELNS1_11target_archE908ELNS1_3gpuE7ELNS1_3repE0EEENS1_30default_config_static_selectorELNS0_4arch9wavefront6targetE1EEEvSP_
	.globl	_ZN7rocprim17ROCPRIM_400000_NS6detail17trampoline_kernelINS0_14default_configENS1_21merge_config_selectorIsNS0_10empty_typeEEEZNS1_10merge_implIS3_N6thrust23THRUST_200600_302600_NS6detail15normal_iteratorINS9_10device_ptrIKsEEEESF_NSB_INSC_IsEEEEPS5_SI_SI_NS9_4lessIsEEEE10hipError_tPvRmT0_T1_T2_T3_T4_T5_mmT6_P12ihipStream_tbEUlT_E_NS1_11comp_targetILNS1_3genE3ELNS1_11target_archE908ELNS1_3gpuE7ELNS1_3repE0EEENS1_30default_config_static_selectorELNS0_4arch9wavefront6targetE1EEEvSP_
	.p2align	8
	.type	_ZN7rocprim17ROCPRIM_400000_NS6detail17trampoline_kernelINS0_14default_configENS1_21merge_config_selectorIsNS0_10empty_typeEEEZNS1_10merge_implIS3_N6thrust23THRUST_200600_302600_NS6detail15normal_iteratorINS9_10device_ptrIKsEEEESF_NSB_INSC_IsEEEEPS5_SI_SI_NS9_4lessIsEEEE10hipError_tPvRmT0_T1_T2_T3_T4_T5_mmT6_P12ihipStream_tbEUlT_E_NS1_11comp_targetILNS1_3genE3ELNS1_11target_archE908ELNS1_3gpuE7ELNS1_3repE0EEENS1_30default_config_static_selectorELNS0_4arch9wavefront6targetE1EEEvSP_,@function
_ZN7rocprim17ROCPRIM_400000_NS6detail17trampoline_kernelINS0_14default_configENS1_21merge_config_selectorIsNS0_10empty_typeEEEZNS1_10merge_implIS3_N6thrust23THRUST_200600_302600_NS6detail15normal_iteratorINS9_10device_ptrIKsEEEESF_NSB_INSC_IsEEEEPS5_SI_SI_NS9_4lessIsEEEE10hipError_tPvRmT0_T1_T2_T3_T4_T5_mmT6_P12ihipStream_tbEUlT_E_NS1_11comp_targetILNS1_3genE3ELNS1_11target_archE908ELNS1_3gpuE7ELNS1_3repE0EEENS1_30default_config_static_selectorELNS0_4arch9wavefront6targetE1EEEvSP_: ; @_ZN7rocprim17ROCPRIM_400000_NS6detail17trampoline_kernelINS0_14default_configENS1_21merge_config_selectorIsNS0_10empty_typeEEEZNS1_10merge_implIS3_N6thrust23THRUST_200600_302600_NS6detail15normal_iteratorINS9_10device_ptrIKsEEEESF_NSB_INSC_IsEEEEPS5_SI_SI_NS9_4lessIsEEEE10hipError_tPvRmT0_T1_T2_T3_T4_T5_mmT6_P12ihipStream_tbEUlT_E_NS1_11comp_targetILNS1_3genE3ELNS1_11target_archE908ELNS1_3gpuE7ELNS1_3repE0EEENS1_30default_config_static_selectorELNS0_4arch9wavefront6targetE1EEEvSP_
; %bb.0:
	.section	.rodata,"a",@progbits
	.p2align	6, 0x0
	.amdhsa_kernel _ZN7rocprim17ROCPRIM_400000_NS6detail17trampoline_kernelINS0_14default_configENS1_21merge_config_selectorIsNS0_10empty_typeEEEZNS1_10merge_implIS3_N6thrust23THRUST_200600_302600_NS6detail15normal_iteratorINS9_10device_ptrIKsEEEESF_NSB_INSC_IsEEEEPS5_SI_SI_NS9_4lessIsEEEE10hipError_tPvRmT0_T1_T2_T3_T4_T5_mmT6_P12ihipStream_tbEUlT_E_NS1_11comp_targetILNS1_3genE3ELNS1_11target_archE908ELNS1_3gpuE7ELNS1_3repE0EEENS1_30default_config_static_selectorELNS0_4arch9wavefront6targetE1EEEvSP_
		.amdhsa_group_segment_fixed_size 0
		.amdhsa_private_segment_fixed_size 0
		.amdhsa_kernarg_size 48
		.amdhsa_user_sgpr_count 6
		.amdhsa_user_sgpr_private_segment_buffer 1
		.amdhsa_user_sgpr_dispatch_ptr 0
		.amdhsa_user_sgpr_queue_ptr 0
		.amdhsa_user_sgpr_kernarg_segment_ptr 1
		.amdhsa_user_sgpr_dispatch_id 0
		.amdhsa_user_sgpr_flat_scratch_init 0
		.amdhsa_user_sgpr_kernarg_preload_length 0
		.amdhsa_user_sgpr_kernarg_preload_offset 0
		.amdhsa_user_sgpr_private_segment_size 0
		.amdhsa_uses_dynamic_stack 0
		.amdhsa_system_sgpr_private_segment_wavefront_offset 0
		.amdhsa_system_sgpr_workgroup_id_x 1
		.amdhsa_system_sgpr_workgroup_id_y 0
		.amdhsa_system_sgpr_workgroup_id_z 0
		.amdhsa_system_sgpr_workgroup_info 0
		.amdhsa_system_vgpr_workitem_id 0
		.amdhsa_next_free_vgpr 1
		.amdhsa_next_free_sgpr 0
		.amdhsa_accum_offset 4
		.amdhsa_reserve_vcc 0
		.amdhsa_reserve_flat_scratch 0
		.amdhsa_float_round_mode_32 0
		.amdhsa_float_round_mode_16_64 0
		.amdhsa_float_denorm_mode_32 3
		.amdhsa_float_denorm_mode_16_64 3
		.amdhsa_dx10_clamp 1
		.amdhsa_ieee_mode 1
		.amdhsa_fp16_overflow 0
		.amdhsa_tg_split 0
		.amdhsa_exception_fp_ieee_invalid_op 0
		.amdhsa_exception_fp_denorm_src 0
		.amdhsa_exception_fp_ieee_div_zero 0
		.amdhsa_exception_fp_ieee_overflow 0
		.amdhsa_exception_fp_ieee_underflow 0
		.amdhsa_exception_fp_ieee_inexact 0
		.amdhsa_exception_int_div_zero 0
	.end_amdhsa_kernel
	.section	.text._ZN7rocprim17ROCPRIM_400000_NS6detail17trampoline_kernelINS0_14default_configENS1_21merge_config_selectorIsNS0_10empty_typeEEEZNS1_10merge_implIS3_N6thrust23THRUST_200600_302600_NS6detail15normal_iteratorINS9_10device_ptrIKsEEEESF_NSB_INSC_IsEEEEPS5_SI_SI_NS9_4lessIsEEEE10hipError_tPvRmT0_T1_T2_T3_T4_T5_mmT6_P12ihipStream_tbEUlT_E_NS1_11comp_targetILNS1_3genE3ELNS1_11target_archE908ELNS1_3gpuE7ELNS1_3repE0EEENS1_30default_config_static_selectorELNS0_4arch9wavefront6targetE1EEEvSP_,"axG",@progbits,_ZN7rocprim17ROCPRIM_400000_NS6detail17trampoline_kernelINS0_14default_configENS1_21merge_config_selectorIsNS0_10empty_typeEEEZNS1_10merge_implIS3_N6thrust23THRUST_200600_302600_NS6detail15normal_iteratorINS9_10device_ptrIKsEEEESF_NSB_INSC_IsEEEEPS5_SI_SI_NS9_4lessIsEEEE10hipError_tPvRmT0_T1_T2_T3_T4_T5_mmT6_P12ihipStream_tbEUlT_E_NS1_11comp_targetILNS1_3genE3ELNS1_11target_archE908ELNS1_3gpuE7ELNS1_3repE0EEENS1_30default_config_static_selectorELNS0_4arch9wavefront6targetE1EEEvSP_,comdat
.Lfunc_end283:
	.size	_ZN7rocprim17ROCPRIM_400000_NS6detail17trampoline_kernelINS0_14default_configENS1_21merge_config_selectorIsNS0_10empty_typeEEEZNS1_10merge_implIS3_N6thrust23THRUST_200600_302600_NS6detail15normal_iteratorINS9_10device_ptrIKsEEEESF_NSB_INSC_IsEEEEPS5_SI_SI_NS9_4lessIsEEEE10hipError_tPvRmT0_T1_T2_T3_T4_T5_mmT6_P12ihipStream_tbEUlT_E_NS1_11comp_targetILNS1_3genE3ELNS1_11target_archE908ELNS1_3gpuE7ELNS1_3repE0EEENS1_30default_config_static_selectorELNS0_4arch9wavefront6targetE1EEEvSP_, .Lfunc_end283-_ZN7rocprim17ROCPRIM_400000_NS6detail17trampoline_kernelINS0_14default_configENS1_21merge_config_selectorIsNS0_10empty_typeEEEZNS1_10merge_implIS3_N6thrust23THRUST_200600_302600_NS6detail15normal_iteratorINS9_10device_ptrIKsEEEESF_NSB_INSC_IsEEEEPS5_SI_SI_NS9_4lessIsEEEE10hipError_tPvRmT0_T1_T2_T3_T4_T5_mmT6_P12ihipStream_tbEUlT_E_NS1_11comp_targetILNS1_3genE3ELNS1_11target_archE908ELNS1_3gpuE7ELNS1_3repE0EEENS1_30default_config_static_selectorELNS0_4arch9wavefront6targetE1EEEvSP_
                                        ; -- End function
	.section	.AMDGPU.csdata,"",@progbits
; Kernel info:
; codeLenInByte = 0
; NumSgprs: 4
; NumVgprs: 0
; NumAgprs: 0
; TotalNumVgprs: 0
; ScratchSize: 0
; MemoryBound: 0
; FloatMode: 240
; IeeeMode: 1
; LDSByteSize: 0 bytes/workgroup (compile time only)
; SGPRBlocks: 0
; VGPRBlocks: 0
; NumSGPRsForWavesPerEU: 4
; NumVGPRsForWavesPerEU: 1
; AccumOffset: 4
; Occupancy: 8
; WaveLimiterHint : 0
; COMPUTE_PGM_RSRC2:SCRATCH_EN: 0
; COMPUTE_PGM_RSRC2:USER_SGPR: 6
; COMPUTE_PGM_RSRC2:TRAP_HANDLER: 0
; COMPUTE_PGM_RSRC2:TGID_X_EN: 1
; COMPUTE_PGM_RSRC2:TGID_Y_EN: 0
; COMPUTE_PGM_RSRC2:TGID_Z_EN: 0
; COMPUTE_PGM_RSRC2:TIDIG_COMP_CNT: 0
; COMPUTE_PGM_RSRC3_GFX90A:ACCUM_OFFSET: 0
; COMPUTE_PGM_RSRC3_GFX90A:TG_SPLIT: 0
	.section	.text._ZN7rocprim17ROCPRIM_400000_NS6detail17trampoline_kernelINS0_14default_configENS1_21merge_config_selectorIsNS0_10empty_typeEEEZNS1_10merge_implIS3_N6thrust23THRUST_200600_302600_NS6detail15normal_iteratorINS9_10device_ptrIKsEEEESF_NSB_INSC_IsEEEEPS5_SI_SI_NS9_4lessIsEEEE10hipError_tPvRmT0_T1_T2_T3_T4_T5_mmT6_P12ihipStream_tbEUlT_E_NS1_11comp_targetILNS1_3genE2ELNS1_11target_archE906ELNS1_3gpuE6ELNS1_3repE0EEENS1_30default_config_static_selectorELNS0_4arch9wavefront6targetE1EEEvSP_,"axG",@progbits,_ZN7rocprim17ROCPRIM_400000_NS6detail17trampoline_kernelINS0_14default_configENS1_21merge_config_selectorIsNS0_10empty_typeEEEZNS1_10merge_implIS3_N6thrust23THRUST_200600_302600_NS6detail15normal_iteratorINS9_10device_ptrIKsEEEESF_NSB_INSC_IsEEEEPS5_SI_SI_NS9_4lessIsEEEE10hipError_tPvRmT0_T1_T2_T3_T4_T5_mmT6_P12ihipStream_tbEUlT_E_NS1_11comp_targetILNS1_3genE2ELNS1_11target_archE906ELNS1_3gpuE6ELNS1_3repE0EEENS1_30default_config_static_selectorELNS0_4arch9wavefront6targetE1EEEvSP_,comdat
	.protected	_ZN7rocprim17ROCPRIM_400000_NS6detail17trampoline_kernelINS0_14default_configENS1_21merge_config_selectorIsNS0_10empty_typeEEEZNS1_10merge_implIS3_N6thrust23THRUST_200600_302600_NS6detail15normal_iteratorINS9_10device_ptrIKsEEEESF_NSB_INSC_IsEEEEPS5_SI_SI_NS9_4lessIsEEEE10hipError_tPvRmT0_T1_T2_T3_T4_T5_mmT6_P12ihipStream_tbEUlT_E_NS1_11comp_targetILNS1_3genE2ELNS1_11target_archE906ELNS1_3gpuE6ELNS1_3repE0EEENS1_30default_config_static_selectorELNS0_4arch9wavefront6targetE1EEEvSP_ ; -- Begin function _ZN7rocprim17ROCPRIM_400000_NS6detail17trampoline_kernelINS0_14default_configENS1_21merge_config_selectorIsNS0_10empty_typeEEEZNS1_10merge_implIS3_N6thrust23THRUST_200600_302600_NS6detail15normal_iteratorINS9_10device_ptrIKsEEEESF_NSB_INSC_IsEEEEPS5_SI_SI_NS9_4lessIsEEEE10hipError_tPvRmT0_T1_T2_T3_T4_T5_mmT6_P12ihipStream_tbEUlT_E_NS1_11comp_targetILNS1_3genE2ELNS1_11target_archE906ELNS1_3gpuE6ELNS1_3repE0EEENS1_30default_config_static_selectorELNS0_4arch9wavefront6targetE1EEEvSP_
	.globl	_ZN7rocprim17ROCPRIM_400000_NS6detail17trampoline_kernelINS0_14default_configENS1_21merge_config_selectorIsNS0_10empty_typeEEEZNS1_10merge_implIS3_N6thrust23THRUST_200600_302600_NS6detail15normal_iteratorINS9_10device_ptrIKsEEEESF_NSB_INSC_IsEEEEPS5_SI_SI_NS9_4lessIsEEEE10hipError_tPvRmT0_T1_T2_T3_T4_T5_mmT6_P12ihipStream_tbEUlT_E_NS1_11comp_targetILNS1_3genE2ELNS1_11target_archE906ELNS1_3gpuE6ELNS1_3repE0EEENS1_30default_config_static_selectorELNS0_4arch9wavefront6targetE1EEEvSP_
	.p2align	8
	.type	_ZN7rocprim17ROCPRIM_400000_NS6detail17trampoline_kernelINS0_14default_configENS1_21merge_config_selectorIsNS0_10empty_typeEEEZNS1_10merge_implIS3_N6thrust23THRUST_200600_302600_NS6detail15normal_iteratorINS9_10device_ptrIKsEEEESF_NSB_INSC_IsEEEEPS5_SI_SI_NS9_4lessIsEEEE10hipError_tPvRmT0_T1_T2_T3_T4_T5_mmT6_P12ihipStream_tbEUlT_E_NS1_11comp_targetILNS1_3genE2ELNS1_11target_archE906ELNS1_3gpuE6ELNS1_3repE0EEENS1_30default_config_static_selectorELNS0_4arch9wavefront6targetE1EEEvSP_,@function
_ZN7rocprim17ROCPRIM_400000_NS6detail17trampoline_kernelINS0_14default_configENS1_21merge_config_selectorIsNS0_10empty_typeEEEZNS1_10merge_implIS3_N6thrust23THRUST_200600_302600_NS6detail15normal_iteratorINS9_10device_ptrIKsEEEESF_NSB_INSC_IsEEEEPS5_SI_SI_NS9_4lessIsEEEE10hipError_tPvRmT0_T1_T2_T3_T4_T5_mmT6_P12ihipStream_tbEUlT_E_NS1_11comp_targetILNS1_3genE2ELNS1_11target_archE906ELNS1_3gpuE6ELNS1_3repE0EEENS1_30default_config_static_selectorELNS0_4arch9wavefront6targetE1EEEvSP_: ; @_ZN7rocprim17ROCPRIM_400000_NS6detail17trampoline_kernelINS0_14default_configENS1_21merge_config_selectorIsNS0_10empty_typeEEEZNS1_10merge_implIS3_N6thrust23THRUST_200600_302600_NS6detail15normal_iteratorINS9_10device_ptrIKsEEEESF_NSB_INSC_IsEEEEPS5_SI_SI_NS9_4lessIsEEEE10hipError_tPvRmT0_T1_T2_T3_T4_T5_mmT6_P12ihipStream_tbEUlT_E_NS1_11comp_targetILNS1_3genE2ELNS1_11target_archE906ELNS1_3gpuE6ELNS1_3repE0EEENS1_30default_config_static_selectorELNS0_4arch9wavefront6targetE1EEEvSP_
; %bb.0:
	.section	.rodata,"a",@progbits
	.p2align	6, 0x0
	.amdhsa_kernel _ZN7rocprim17ROCPRIM_400000_NS6detail17trampoline_kernelINS0_14default_configENS1_21merge_config_selectorIsNS0_10empty_typeEEEZNS1_10merge_implIS3_N6thrust23THRUST_200600_302600_NS6detail15normal_iteratorINS9_10device_ptrIKsEEEESF_NSB_INSC_IsEEEEPS5_SI_SI_NS9_4lessIsEEEE10hipError_tPvRmT0_T1_T2_T3_T4_T5_mmT6_P12ihipStream_tbEUlT_E_NS1_11comp_targetILNS1_3genE2ELNS1_11target_archE906ELNS1_3gpuE6ELNS1_3repE0EEENS1_30default_config_static_selectorELNS0_4arch9wavefront6targetE1EEEvSP_
		.amdhsa_group_segment_fixed_size 0
		.amdhsa_private_segment_fixed_size 0
		.amdhsa_kernarg_size 48
		.amdhsa_user_sgpr_count 6
		.amdhsa_user_sgpr_private_segment_buffer 1
		.amdhsa_user_sgpr_dispatch_ptr 0
		.amdhsa_user_sgpr_queue_ptr 0
		.amdhsa_user_sgpr_kernarg_segment_ptr 1
		.amdhsa_user_sgpr_dispatch_id 0
		.amdhsa_user_sgpr_flat_scratch_init 0
		.amdhsa_user_sgpr_kernarg_preload_length 0
		.amdhsa_user_sgpr_kernarg_preload_offset 0
		.amdhsa_user_sgpr_private_segment_size 0
		.amdhsa_uses_dynamic_stack 0
		.amdhsa_system_sgpr_private_segment_wavefront_offset 0
		.amdhsa_system_sgpr_workgroup_id_x 1
		.amdhsa_system_sgpr_workgroup_id_y 0
		.amdhsa_system_sgpr_workgroup_id_z 0
		.amdhsa_system_sgpr_workgroup_info 0
		.amdhsa_system_vgpr_workitem_id 0
		.amdhsa_next_free_vgpr 1
		.amdhsa_next_free_sgpr 0
		.amdhsa_accum_offset 4
		.amdhsa_reserve_vcc 0
		.amdhsa_reserve_flat_scratch 0
		.amdhsa_float_round_mode_32 0
		.amdhsa_float_round_mode_16_64 0
		.amdhsa_float_denorm_mode_32 3
		.amdhsa_float_denorm_mode_16_64 3
		.amdhsa_dx10_clamp 1
		.amdhsa_ieee_mode 1
		.amdhsa_fp16_overflow 0
		.amdhsa_tg_split 0
		.amdhsa_exception_fp_ieee_invalid_op 0
		.amdhsa_exception_fp_denorm_src 0
		.amdhsa_exception_fp_ieee_div_zero 0
		.amdhsa_exception_fp_ieee_overflow 0
		.amdhsa_exception_fp_ieee_underflow 0
		.amdhsa_exception_fp_ieee_inexact 0
		.amdhsa_exception_int_div_zero 0
	.end_amdhsa_kernel
	.section	.text._ZN7rocprim17ROCPRIM_400000_NS6detail17trampoline_kernelINS0_14default_configENS1_21merge_config_selectorIsNS0_10empty_typeEEEZNS1_10merge_implIS3_N6thrust23THRUST_200600_302600_NS6detail15normal_iteratorINS9_10device_ptrIKsEEEESF_NSB_INSC_IsEEEEPS5_SI_SI_NS9_4lessIsEEEE10hipError_tPvRmT0_T1_T2_T3_T4_T5_mmT6_P12ihipStream_tbEUlT_E_NS1_11comp_targetILNS1_3genE2ELNS1_11target_archE906ELNS1_3gpuE6ELNS1_3repE0EEENS1_30default_config_static_selectorELNS0_4arch9wavefront6targetE1EEEvSP_,"axG",@progbits,_ZN7rocprim17ROCPRIM_400000_NS6detail17trampoline_kernelINS0_14default_configENS1_21merge_config_selectorIsNS0_10empty_typeEEEZNS1_10merge_implIS3_N6thrust23THRUST_200600_302600_NS6detail15normal_iteratorINS9_10device_ptrIKsEEEESF_NSB_INSC_IsEEEEPS5_SI_SI_NS9_4lessIsEEEE10hipError_tPvRmT0_T1_T2_T3_T4_T5_mmT6_P12ihipStream_tbEUlT_E_NS1_11comp_targetILNS1_3genE2ELNS1_11target_archE906ELNS1_3gpuE6ELNS1_3repE0EEENS1_30default_config_static_selectorELNS0_4arch9wavefront6targetE1EEEvSP_,comdat
.Lfunc_end284:
	.size	_ZN7rocprim17ROCPRIM_400000_NS6detail17trampoline_kernelINS0_14default_configENS1_21merge_config_selectorIsNS0_10empty_typeEEEZNS1_10merge_implIS3_N6thrust23THRUST_200600_302600_NS6detail15normal_iteratorINS9_10device_ptrIKsEEEESF_NSB_INSC_IsEEEEPS5_SI_SI_NS9_4lessIsEEEE10hipError_tPvRmT0_T1_T2_T3_T4_T5_mmT6_P12ihipStream_tbEUlT_E_NS1_11comp_targetILNS1_3genE2ELNS1_11target_archE906ELNS1_3gpuE6ELNS1_3repE0EEENS1_30default_config_static_selectorELNS0_4arch9wavefront6targetE1EEEvSP_, .Lfunc_end284-_ZN7rocprim17ROCPRIM_400000_NS6detail17trampoline_kernelINS0_14default_configENS1_21merge_config_selectorIsNS0_10empty_typeEEEZNS1_10merge_implIS3_N6thrust23THRUST_200600_302600_NS6detail15normal_iteratorINS9_10device_ptrIKsEEEESF_NSB_INSC_IsEEEEPS5_SI_SI_NS9_4lessIsEEEE10hipError_tPvRmT0_T1_T2_T3_T4_T5_mmT6_P12ihipStream_tbEUlT_E_NS1_11comp_targetILNS1_3genE2ELNS1_11target_archE906ELNS1_3gpuE6ELNS1_3repE0EEENS1_30default_config_static_selectorELNS0_4arch9wavefront6targetE1EEEvSP_
                                        ; -- End function
	.section	.AMDGPU.csdata,"",@progbits
; Kernel info:
; codeLenInByte = 0
; NumSgprs: 4
; NumVgprs: 0
; NumAgprs: 0
; TotalNumVgprs: 0
; ScratchSize: 0
; MemoryBound: 0
; FloatMode: 240
; IeeeMode: 1
; LDSByteSize: 0 bytes/workgroup (compile time only)
; SGPRBlocks: 0
; VGPRBlocks: 0
; NumSGPRsForWavesPerEU: 4
; NumVGPRsForWavesPerEU: 1
; AccumOffset: 4
; Occupancy: 8
; WaveLimiterHint : 0
; COMPUTE_PGM_RSRC2:SCRATCH_EN: 0
; COMPUTE_PGM_RSRC2:USER_SGPR: 6
; COMPUTE_PGM_RSRC2:TRAP_HANDLER: 0
; COMPUTE_PGM_RSRC2:TGID_X_EN: 1
; COMPUTE_PGM_RSRC2:TGID_Y_EN: 0
; COMPUTE_PGM_RSRC2:TGID_Z_EN: 0
; COMPUTE_PGM_RSRC2:TIDIG_COMP_CNT: 0
; COMPUTE_PGM_RSRC3_GFX90A:ACCUM_OFFSET: 0
; COMPUTE_PGM_RSRC3_GFX90A:TG_SPLIT: 0
	.section	.text._ZN7rocprim17ROCPRIM_400000_NS6detail17trampoline_kernelINS0_14default_configENS1_21merge_config_selectorIsNS0_10empty_typeEEEZNS1_10merge_implIS3_N6thrust23THRUST_200600_302600_NS6detail15normal_iteratorINS9_10device_ptrIKsEEEESF_NSB_INSC_IsEEEEPS5_SI_SI_NS9_4lessIsEEEE10hipError_tPvRmT0_T1_T2_T3_T4_T5_mmT6_P12ihipStream_tbEUlT_E_NS1_11comp_targetILNS1_3genE10ELNS1_11target_archE1201ELNS1_3gpuE5ELNS1_3repE0EEENS1_30default_config_static_selectorELNS0_4arch9wavefront6targetE1EEEvSP_,"axG",@progbits,_ZN7rocprim17ROCPRIM_400000_NS6detail17trampoline_kernelINS0_14default_configENS1_21merge_config_selectorIsNS0_10empty_typeEEEZNS1_10merge_implIS3_N6thrust23THRUST_200600_302600_NS6detail15normal_iteratorINS9_10device_ptrIKsEEEESF_NSB_INSC_IsEEEEPS5_SI_SI_NS9_4lessIsEEEE10hipError_tPvRmT0_T1_T2_T3_T4_T5_mmT6_P12ihipStream_tbEUlT_E_NS1_11comp_targetILNS1_3genE10ELNS1_11target_archE1201ELNS1_3gpuE5ELNS1_3repE0EEENS1_30default_config_static_selectorELNS0_4arch9wavefront6targetE1EEEvSP_,comdat
	.protected	_ZN7rocprim17ROCPRIM_400000_NS6detail17trampoline_kernelINS0_14default_configENS1_21merge_config_selectorIsNS0_10empty_typeEEEZNS1_10merge_implIS3_N6thrust23THRUST_200600_302600_NS6detail15normal_iteratorINS9_10device_ptrIKsEEEESF_NSB_INSC_IsEEEEPS5_SI_SI_NS9_4lessIsEEEE10hipError_tPvRmT0_T1_T2_T3_T4_T5_mmT6_P12ihipStream_tbEUlT_E_NS1_11comp_targetILNS1_3genE10ELNS1_11target_archE1201ELNS1_3gpuE5ELNS1_3repE0EEENS1_30default_config_static_selectorELNS0_4arch9wavefront6targetE1EEEvSP_ ; -- Begin function _ZN7rocprim17ROCPRIM_400000_NS6detail17trampoline_kernelINS0_14default_configENS1_21merge_config_selectorIsNS0_10empty_typeEEEZNS1_10merge_implIS3_N6thrust23THRUST_200600_302600_NS6detail15normal_iteratorINS9_10device_ptrIKsEEEESF_NSB_INSC_IsEEEEPS5_SI_SI_NS9_4lessIsEEEE10hipError_tPvRmT0_T1_T2_T3_T4_T5_mmT6_P12ihipStream_tbEUlT_E_NS1_11comp_targetILNS1_3genE10ELNS1_11target_archE1201ELNS1_3gpuE5ELNS1_3repE0EEENS1_30default_config_static_selectorELNS0_4arch9wavefront6targetE1EEEvSP_
	.globl	_ZN7rocprim17ROCPRIM_400000_NS6detail17trampoline_kernelINS0_14default_configENS1_21merge_config_selectorIsNS0_10empty_typeEEEZNS1_10merge_implIS3_N6thrust23THRUST_200600_302600_NS6detail15normal_iteratorINS9_10device_ptrIKsEEEESF_NSB_INSC_IsEEEEPS5_SI_SI_NS9_4lessIsEEEE10hipError_tPvRmT0_T1_T2_T3_T4_T5_mmT6_P12ihipStream_tbEUlT_E_NS1_11comp_targetILNS1_3genE10ELNS1_11target_archE1201ELNS1_3gpuE5ELNS1_3repE0EEENS1_30default_config_static_selectorELNS0_4arch9wavefront6targetE1EEEvSP_
	.p2align	8
	.type	_ZN7rocprim17ROCPRIM_400000_NS6detail17trampoline_kernelINS0_14default_configENS1_21merge_config_selectorIsNS0_10empty_typeEEEZNS1_10merge_implIS3_N6thrust23THRUST_200600_302600_NS6detail15normal_iteratorINS9_10device_ptrIKsEEEESF_NSB_INSC_IsEEEEPS5_SI_SI_NS9_4lessIsEEEE10hipError_tPvRmT0_T1_T2_T3_T4_T5_mmT6_P12ihipStream_tbEUlT_E_NS1_11comp_targetILNS1_3genE10ELNS1_11target_archE1201ELNS1_3gpuE5ELNS1_3repE0EEENS1_30default_config_static_selectorELNS0_4arch9wavefront6targetE1EEEvSP_,@function
_ZN7rocprim17ROCPRIM_400000_NS6detail17trampoline_kernelINS0_14default_configENS1_21merge_config_selectorIsNS0_10empty_typeEEEZNS1_10merge_implIS3_N6thrust23THRUST_200600_302600_NS6detail15normal_iteratorINS9_10device_ptrIKsEEEESF_NSB_INSC_IsEEEEPS5_SI_SI_NS9_4lessIsEEEE10hipError_tPvRmT0_T1_T2_T3_T4_T5_mmT6_P12ihipStream_tbEUlT_E_NS1_11comp_targetILNS1_3genE10ELNS1_11target_archE1201ELNS1_3gpuE5ELNS1_3repE0EEENS1_30default_config_static_selectorELNS0_4arch9wavefront6targetE1EEEvSP_: ; @_ZN7rocprim17ROCPRIM_400000_NS6detail17trampoline_kernelINS0_14default_configENS1_21merge_config_selectorIsNS0_10empty_typeEEEZNS1_10merge_implIS3_N6thrust23THRUST_200600_302600_NS6detail15normal_iteratorINS9_10device_ptrIKsEEEESF_NSB_INSC_IsEEEEPS5_SI_SI_NS9_4lessIsEEEE10hipError_tPvRmT0_T1_T2_T3_T4_T5_mmT6_P12ihipStream_tbEUlT_E_NS1_11comp_targetILNS1_3genE10ELNS1_11target_archE1201ELNS1_3gpuE5ELNS1_3repE0EEENS1_30default_config_static_selectorELNS0_4arch9wavefront6targetE1EEEvSP_
; %bb.0:
	.section	.rodata,"a",@progbits
	.p2align	6, 0x0
	.amdhsa_kernel _ZN7rocprim17ROCPRIM_400000_NS6detail17trampoline_kernelINS0_14default_configENS1_21merge_config_selectorIsNS0_10empty_typeEEEZNS1_10merge_implIS3_N6thrust23THRUST_200600_302600_NS6detail15normal_iteratorINS9_10device_ptrIKsEEEESF_NSB_INSC_IsEEEEPS5_SI_SI_NS9_4lessIsEEEE10hipError_tPvRmT0_T1_T2_T3_T4_T5_mmT6_P12ihipStream_tbEUlT_E_NS1_11comp_targetILNS1_3genE10ELNS1_11target_archE1201ELNS1_3gpuE5ELNS1_3repE0EEENS1_30default_config_static_selectorELNS0_4arch9wavefront6targetE1EEEvSP_
		.amdhsa_group_segment_fixed_size 0
		.amdhsa_private_segment_fixed_size 0
		.amdhsa_kernarg_size 48
		.amdhsa_user_sgpr_count 6
		.amdhsa_user_sgpr_private_segment_buffer 1
		.amdhsa_user_sgpr_dispatch_ptr 0
		.amdhsa_user_sgpr_queue_ptr 0
		.amdhsa_user_sgpr_kernarg_segment_ptr 1
		.amdhsa_user_sgpr_dispatch_id 0
		.amdhsa_user_sgpr_flat_scratch_init 0
		.amdhsa_user_sgpr_kernarg_preload_length 0
		.amdhsa_user_sgpr_kernarg_preload_offset 0
		.amdhsa_user_sgpr_private_segment_size 0
		.amdhsa_uses_dynamic_stack 0
		.amdhsa_system_sgpr_private_segment_wavefront_offset 0
		.amdhsa_system_sgpr_workgroup_id_x 1
		.amdhsa_system_sgpr_workgroup_id_y 0
		.amdhsa_system_sgpr_workgroup_id_z 0
		.amdhsa_system_sgpr_workgroup_info 0
		.amdhsa_system_vgpr_workitem_id 0
		.amdhsa_next_free_vgpr 1
		.amdhsa_next_free_sgpr 0
		.amdhsa_accum_offset 4
		.amdhsa_reserve_vcc 0
		.amdhsa_reserve_flat_scratch 0
		.amdhsa_float_round_mode_32 0
		.amdhsa_float_round_mode_16_64 0
		.amdhsa_float_denorm_mode_32 3
		.amdhsa_float_denorm_mode_16_64 3
		.amdhsa_dx10_clamp 1
		.amdhsa_ieee_mode 1
		.amdhsa_fp16_overflow 0
		.amdhsa_tg_split 0
		.amdhsa_exception_fp_ieee_invalid_op 0
		.amdhsa_exception_fp_denorm_src 0
		.amdhsa_exception_fp_ieee_div_zero 0
		.amdhsa_exception_fp_ieee_overflow 0
		.amdhsa_exception_fp_ieee_underflow 0
		.amdhsa_exception_fp_ieee_inexact 0
		.amdhsa_exception_int_div_zero 0
	.end_amdhsa_kernel
	.section	.text._ZN7rocprim17ROCPRIM_400000_NS6detail17trampoline_kernelINS0_14default_configENS1_21merge_config_selectorIsNS0_10empty_typeEEEZNS1_10merge_implIS3_N6thrust23THRUST_200600_302600_NS6detail15normal_iteratorINS9_10device_ptrIKsEEEESF_NSB_INSC_IsEEEEPS5_SI_SI_NS9_4lessIsEEEE10hipError_tPvRmT0_T1_T2_T3_T4_T5_mmT6_P12ihipStream_tbEUlT_E_NS1_11comp_targetILNS1_3genE10ELNS1_11target_archE1201ELNS1_3gpuE5ELNS1_3repE0EEENS1_30default_config_static_selectorELNS0_4arch9wavefront6targetE1EEEvSP_,"axG",@progbits,_ZN7rocprim17ROCPRIM_400000_NS6detail17trampoline_kernelINS0_14default_configENS1_21merge_config_selectorIsNS0_10empty_typeEEEZNS1_10merge_implIS3_N6thrust23THRUST_200600_302600_NS6detail15normal_iteratorINS9_10device_ptrIKsEEEESF_NSB_INSC_IsEEEEPS5_SI_SI_NS9_4lessIsEEEE10hipError_tPvRmT0_T1_T2_T3_T4_T5_mmT6_P12ihipStream_tbEUlT_E_NS1_11comp_targetILNS1_3genE10ELNS1_11target_archE1201ELNS1_3gpuE5ELNS1_3repE0EEENS1_30default_config_static_selectorELNS0_4arch9wavefront6targetE1EEEvSP_,comdat
.Lfunc_end285:
	.size	_ZN7rocprim17ROCPRIM_400000_NS6detail17trampoline_kernelINS0_14default_configENS1_21merge_config_selectorIsNS0_10empty_typeEEEZNS1_10merge_implIS3_N6thrust23THRUST_200600_302600_NS6detail15normal_iteratorINS9_10device_ptrIKsEEEESF_NSB_INSC_IsEEEEPS5_SI_SI_NS9_4lessIsEEEE10hipError_tPvRmT0_T1_T2_T3_T4_T5_mmT6_P12ihipStream_tbEUlT_E_NS1_11comp_targetILNS1_3genE10ELNS1_11target_archE1201ELNS1_3gpuE5ELNS1_3repE0EEENS1_30default_config_static_selectorELNS0_4arch9wavefront6targetE1EEEvSP_, .Lfunc_end285-_ZN7rocprim17ROCPRIM_400000_NS6detail17trampoline_kernelINS0_14default_configENS1_21merge_config_selectorIsNS0_10empty_typeEEEZNS1_10merge_implIS3_N6thrust23THRUST_200600_302600_NS6detail15normal_iteratorINS9_10device_ptrIKsEEEESF_NSB_INSC_IsEEEEPS5_SI_SI_NS9_4lessIsEEEE10hipError_tPvRmT0_T1_T2_T3_T4_T5_mmT6_P12ihipStream_tbEUlT_E_NS1_11comp_targetILNS1_3genE10ELNS1_11target_archE1201ELNS1_3gpuE5ELNS1_3repE0EEENS1_30default_config_static_selectorELNS0_4arch9wavefront6targetE1EEEvSP_
                                        ; -- End function
	.section	.AMDGPU.csdata,"",@progbits
; Kernel info:
; codeLenInByte = 0
; NumSgprs: 4
; NumVgprs: 0
; NumAgprs: 0
; TotalNumVgprs: 0
; ScratchSize: 0
; MemoryBound: 0
; FloatMode: 240
; IeeeMode: 1
; LDSByteSize: 0 bytes/workgroup (compile time only)
; SGPRBlocks: 0
; VGPRBlocks: 0
; NumSGPRsForWavesPerEU: 4
; NumVGPRsForWavesPerEU: 1
; AccumOffset: 4
; Occupancy: 8
; WaveLimiterHint : 0
; COMPUTE_PGM_RSRC2:SCRATCH_EN: 0
; COMPUTE_PGM_RSRC2:USER_SGPR: 6
; COMPUTE_PGM_RSRC2:TRAP_HANDLER: 0
; COMPUTE_PGM_RSRC2:TGID_X_EN: 1
; COMPUTE_PGM_RSRC2:TGID_Y_EN: 0
; COMPUTE_PGM_RSRC2:TGID_Z_EN: 0
; COMPUTE_PGM_RSRC2:TIDIG_COMP_CNT: 0
; COMPUTE_PGM_RSRC3_GFX90A:ACCUM_OFFSET: 0
; COMPUTE_PGM_RSRC3_GFX90A:TG_SPLIT: 0
	.section	.text._ZN7rocprim17ROCPRIM_400000_NS6detail17trampoline_kernelINS0_14default_configENS1_21merge_config_selectorIsNS0_10empty_typeEEEZNS1_10merge_implIS3_N6thrust23THRUST_200600_302600_NS6detail15normal_iteratorINS9_10device_ptrIKsEEEESF_NSB_INSC_IsEEEEPS5_SI_SI_NS9_4lessIsEEEE10hipError_tPvRmT0_T1_T2_T3_T4_T5_mmT6_P12ihipStream_tbEUlT_E_NS1_11comp_targetILNS1_3genE10ELNS1_11target_archE1200ELNS1_3gpuE4ELNS1_3repE0EEENS1_30default_config_static_selectorELNS0_4arch9wavefront6targetE1EEEvSP_,"axG",@progbits,_ZN7rocprim17ROCPRIM_400000_NS6detail17trampoline_kernelINS0_14default_configENS1_21merge_config_selectorIsNS0_10empty_typeEEEZNS1_10merge_implIS3_N6thrust23THRUST_200600_302600_NS6detail15normal_iteratorINS9_10device_ptrIKsEEEESF_NSB_INSC_IsEEEEPS5_SI_SI_NS9_4lessIsEEEE10hipError_tPvRmT0_T1_T2_T3_T4_T5_mmT6_P12ihipStream_tbEUlT_E_NS1_11comp_targetILNS1_3genE10ELNS1_11target_archE1200ELNS1_3gpuE4ELNS1_3repE0EEENS1_30default_config_static_selectorELNS0_4arch9wavefront6targetE1EEEvSP_,comdat
	.protected	_ZN7rocprim17ROCPRIM_400000_NS6detail17trampoline_kernelINS0_14default_configENS1_21merge_config_selectorIsNS0_10empty_typeEEEZNS1_10merge_implIS3_N6thrust23THRUST_200600_302600_NS6detail15normal_iteratorINS9_10device_ptrIKsEEEESF_NSB_INSC_IsEEEEPS5_SI_SI_NS9_4lessIsEEEE10hipError_tPvRmT0_T1_T2_T3_T4_T5_mmT6_P12ihipStream_tbEUlT_E_NS1_11comp_targetILNS1_3genE10ELNS1_11target_archE1200ELNS1_3gpuE4ELNS1_3repE0EEENS1_30default_config_static_selectorELNS0_4arch9wavefront6targetE1EEEvSP_ ; -- Begin function _ZN7rocprim17ROCPRIM_400000_NS6detail17trampoline_kernelINS0_14default_configENS1_21merge_config_selectorIsNS0_10empty_typeEEEZNS1_10merge_implIS3_N6thrust23THRUST_200600_302600_NS6detail15normal_iteratorINS9_10device_ptrIKsEEEESF_NSB_INSC_IsEEEEPS5_SI_SI_NS9_4lessIsEEEE10hipError_tPvRmT0_T1_T2_T3_T4_T5_mmT6_P12ihipStream_tbEUlT_E_NS1_11comp_targetILNS1_3genE10ELNS1_11target_archE1200ELNS1_3gpuE4ELNS1_3repE0EEENS1_30default_config_static_selectorELNS0_4arch9wavefront6targetE1EEEvSP_
	.globl	_ZN7rocprim17ROCPRIM_400000_NS6detail17trampoline_kernelINS0_14default_configENS1_21merge_config_selectorIsNS0_10empty_typeEEEZNS1_10merge_implIS3_N6thrust23THRUST_200600_302600_NS6detail15normal_iteratorINS9_10device_ptrIKsEEEESF_NSB_INSC_IsEEEEPS5_SI_SI_NS9_4lessIsEEEE10hipError_tPvRmT0_T1_T2_T3_T4_T5_mmT6_P12ihipStream_tbEUlT_E_NS1_11comp_targetILNS1_3genE10ELNS1_11target_archE1200ELNS1_3gpuE4ELNS1_3repE0EEENS1_30default_config_static_selectorELNS0_4arch9wavefront6targetE1EEEvSP_
	.p2align	8
	.type	_ZN7rocprim17ROCPRIM_400000_NS6detail17trampoline_kernelINS0_14default_configENS1_21merge_config_selectorIsNS0_10empty_typeEEEZNS1_10merge_implIS3_N6thrust23THRUST_200600_302600_NS6detail15normal_iteratorINS9_10device_ptrIKsEEEESF_NSB_INSC_IsEEEEPS5_SI_SI_NS9_4lessIsEEEE10hipError_tPvRmT0_T1_T2_T3_T4_T5_mmT6_P12ihipStream_tbEUlT_E_NS1_11comp_targetILNS1_3genE10ELNS1_11target_archE1200ELNS1_3gpuE4ELNS1_3repE0EEENS1_30default_config_static_selectorELNS0_4arch9wavefront6targetE1EEEvSP_,@function
_ZN7rocprim17ROCPRIM_400000_NS6detail17trampoline_kernelINS0_14default_configENS1_21merge_config_selectorIsNS0_10empty_typeEEEZNS1_10merge_implIS3_N6thrust23THRUST_200600_302600_NS6detail15normal_iteratorINS9_10device_ptrIKsEEEESF_NSB_INSC_IsEEEEPS5_SI_SI_NS9_4lessIsEEEE10hipError_tPvRmT0_T1_T2_T3_T4_T5_mmT6_P12ihipStream_tbEUlT_E_NS1_11comp_targetILNS1_3genE10ELNS1_11target_archE1200ELNS1_3gpuE4ELNS1_3repE0EEENS1_30default_config_static_selectorELNS0_4arch9wavefront6targetE1EEEvSP_: ; @_ZN7rocprim17ROCPRIM_400000_NS6detail17trampoline_kernelINS0_14default_configENS1_21merge_config_selectorIsNS0_10empty_typeEEEZNS1_10merge_implIS3_N6thrust23THRUST_200600_302600_NS6detail15normal_iteratorINS9_10device_ptrIKsEEEESF_NSB_INSC_IsEEEEPS5_SI_SI_NS9_4lessIsEEEE10hipError_tPvRmT0_T1_T2_T3_T4_T5_mmT6_P12ihipStream_tbEUlT_E_NS1_11comp_targetILNS1_3genE10ELNS1_11target_archE1200ELNS1_3gpuE4ELNS1_3repE0EEENS1_30default_config_static_selectorELNS0_4arch9wavefront6targetE1EEEvSP_
; %bb.0:
	.section	.rodata,"a",@progbits
	.p2align	6, 0x0
	.amdhsa_kernel _ZN7rocprim17ROCPRIM_400000_NS6detail17trampoline_kernelINS0_14default_configENS1_21merge_config_selectorIsNS0_10empty_typeEEEZNS1_10merge_implIS3_N6thrust23THRUST_200600_302600_NS6detail15normal_iteratorINS9_10device_ptrIKsEEEESF_NSB_INSC_IsEEEEPS5_SI_SI_NS9_4lessIsEEEE10hipError_tPvRmT0_T1_T2_T3_T4_T5_mmT6_P12ihipStream_tbEUlT_E_NS1_11comp_targetILNS1_3genE10ELNS1_11target_archE1200ELNS1_3gpuE4ELNS1_3repE0EEENS1_30default_config_static_selectorELNS0_4arch9wavefront6targetE1EEEvSP_
		.amdhsa_group_segment_fixed_size 0
		.amdhsa_private_segment_fixed_size 0
		.amdhsa_kernarg_size 48
		.amdhsa_user_sgpr_count 6
		.amdhsa_user_sgpr_private_segment_buffer 1
		.amdhsa_user_sgpr_dispatch_ptr 0
		.amdhsa_user_sgpr_queue_ptr 0
		.amdhsa_user_sgpr_kernarg_segment_ptr 1
		.amdhsa_user_sgpr_dispatch_id 0
		.amdhsa_user_sgpr_flat_scratch_init 0
		.amdhsa_user_sgpr_kernarg_preload_length 0
		.amdhsa_user_sgpr_kernarg_preload_offset 0
		.amdhsa_user_sgpr_private_segment_size 0
		.amdhsa_uses_dynamic_stack 0
		.amdhsa_system_sgpr_private_segment_wavefront_offset 0
		.amdhsa_system_sgpr_workgroup_id_x 1
		.amdhsa_system_sgpr_workgroup_id_y 0
		.amdhsa_system_sgpr_workgroup_id_z 0
		.amdhsa_system_sgpr_workgroup_info 0
		.amdhsa_system_vgpr_workitem_id 0
		.amdhsa_next_free_vgpr 1
		.amdhsa_next_free_sgpr 0
		.amdhsa_accum_offset 4
		.amdhsa_reserve_vcc 0
		.amdhsa_reserve_flat_scratch 0
		.amdhsa_float_round_mode_32 0
		.amdhsa_float_round_mode_16_64 0
		.amdhsa_float_denorm_mode_32 3
		.amdhsa_float_denorm_mode_16_64 3
		.amdhsa_dx10_clamp 1
		.amdhsa_ieee_mode 1
		.amdhsa_fp16_overflow 0
		.amdhsa_tg_split 0
		.amdhsa_exception_fp_ieee_invalid_op 0
		.amdhsa_exception_fp_denorm_src 0
		.amdhsa_exception_fp_ieee_div_zero 0
		.amdhsa_exception_fp_ieee_overflow 0
		.amdhsa_exception_fp_ieee_underflow 0
		.amdhsa_exception_fp_ieee_inexact 0
		.amdhsa_exception_int_div_zero 0
	.end_amdhsa_kernel
	.section	.text._ZN7rocprim17ROCPRIM_400000_NS6detail17trampoline_kernelINS0_14default_configENS1_21merge_config_selectorIsNS0_10empty_typeEEEZNS1_10merge_implIS3_N6thrust23THRUST_200600_302600_NS6detail15normal_iteratorINS9_10device_ptrIKsEEEESF_NSB_INSC_IsEEEEPS5_SI_SI_NS9_4lessIsEEEE10hipError_tPvRmT0_T1_T2_T3_T4_T5_mmT6_P12ihipStream_tbEUlT_E_NS1_11comp_targetILNS1_3genE10ELNS1_11target_archE1200ELNS1_3gpuE4ELNS1_3repE0EEENS1_30default_config_static_selectorELNS0_4arch9wavefront6targetE1EEEvSP_,"axG",@progbits,_ZN7rocprim17ROCPRIM_400000_NS6detail17trampoline_kernelINS0_14default_configENS1_21merge_config_selectorIsNS0_10empty_typeEEEZNS1_10merge_implIS3_N6thrust23THRUST_200600_302600_NS6detail15normal_iteratorINS9_10device_ptrIKsEEEESF_NSB_INSC_IsEEEEPS5_SI_SI_NS9_4lessIsEEEE10hipError_tPvRmT0_T1_T2_T3_T4_T5_mmT6_P12ihipStream_tbEUlT_E_NS1_11comp_targetILNS1_3genE10ELNS1_11target_archE1200ELNS1_3gpuE4ELNS1_3repE0EEENS1_30default_config_static_selectorELNS0_4arch9wavefront6targetE1EEEvSP_,comdat
.Lfunc_end286:
	.size	_ZN7rocprim17ROCPRIM_400000_NS6detail17trampoline_kernelINS0_14default_configENS1_21merge_config_selectorIsNS0_10empty_typeEEEZNS1_10merge_implIS3_N6thrust23THRUST_200600_302600_NS6detail15normal_iteratorINS9_10device_ptrIKsEEEESF_NSB_INSC_IsEEEEPS5_SI_SI_NS9_4lessIsEEEE10hipError_tPvRmT0_T1_T2_T3_T4_T5_mmT6_P12ihipStream_tbEUlT_E_NS1_11comp_targetILNS1_3genE10ELNS1_11target_archE1200ELNS1_3gpuE4ELNS1_3repE0EEENS1_30default_config_static_selectorELNS0_4arch9wavefront6targetE1EEEvSP_, .Lfunc_end286-_ZN7rocprim17ROCPRIM_400000_NS6detail17trampoline_kernelINS0_14default_configENS1_21merge_config_selectorIsNS0_10empty_typeEEEZNS1_10merge_implIS3_N6thrust23THRUST_200600_302600_NS6detail15normal_iteratorINS9_10device_ptrIKsEEEESF_NSB_INSC_IsEEEEPS5_SI_SI_NS9_4lessIsEEEE10hipError_tPvRmT0_T1_T2_T3_T4_T5_mmT6_P12ihipStream_tbEUlT_E_NS1_11comp_targetILNS1_3genE10ELNS1_11target_archE1200ELNS1_3gpuE4ELNS1_3repE0EEENS1_30default_config_static_selectorELNS0_4arch9wavefront6targetE1EEEvSP_
                                        ; -- End function
	.section	.AMDGPU.csdata,"",@progbits
; Kernel info:
; codeLenInByte = 0
; NumSgprs: 4
; NumVgprs: 0
; NumAgprs: 0
; TotalNumVgprs: 0
; ScratchSize: 0
; MemoryBound: 0
; FloatMode: 240
; IeeeMode: 1
; LDSByteSize: 0 bytes/workgroup (compile time only)
; SGPRBlocks: 0
; VGPRBlocks: 0
; NumSGPRsForWavesPerEU: 4
; NumVGPRsForWavesPerEU: 1
; AccumOffset: 4
; Occupancy: 8
; WaveLimiterHint : 0
; COMPUTE_PGM_RSRC2:SCRATCH_EN: 0
; COMPUTE_PGM_RSRC2:USER_SGPR: 6
; COMPUTE_PGM_RSRC2:TRAP_HANDLER: 0
; COMPUTE_PGM_RSRC2:TGID_X_EN: 1
; COMPUTE_PGM_RSRC2:TGID_Y_EN: 0
; COMPUTE_PGM_RSRC2:TGID_Z_EN: 0
; COMPUTE_PGM_RSRC2:TIDIG_COMP_CNT: 0
; COMPUTE_PGM_RSRC3_GFX90A:ACCUM_OFFSET: 0
; COMPUTE_PGM_RSRC3_GFX90A:TG_SPLIT: 0
	.section	.text._ZN7rocprim17ROCPRIM_400000_NS6detail17trampoline_kernelINS0_14default_configENS1_21merge_config_selectorIsNS0_10empty_typeEEEZNS1_10merge_implIS3_N6thrust23THRUST_200600_302600_NS6detail15normal_iteratorINS9_10device_ptrIKsEEEESF_NSB_INSC_IsEEEEPS5_SI_SI_NS9_4lessIsEEEE10hipError_tPvRmT0_T1_T2_T3_T4_T5_mmT6_P12ihipStream_tbEUlT_E_NS1_11comp_targetILNS1_3genE9ELNS1_11target_archE1100ELNS1_3gpuE3ELNS1_3repE0EEENS1_30default_config_static_selectorELNS0_4arch9wavefront6targetE1EEEvSP_,"axG",@progbits,_ZN7rocprim17ROCPRIM_400000_NS6detail17trampoline_kernelINS0_14default_configENS1_21merge_config_selectorIsNS0_10empty_typeEEEZNS1_10merge_implIS3_N6thrust23THRUST_200600_302600_NS6detail15normal_iteratorINS9_10device_ptrIKsEEEESF_NSB_INSC_IsEEEEPS5_SI_SI_NS9_4lessIsEEEE10hipError_tPvRmT0_T1_T2_T3_T4_T5_mmT6_P12ihipStream_tbEUlT_E_NS1_11comp_targetILNS1_3genE9ELNS1_11target_archE1100ELNS1_3gpuE3ELNS1_3repE0EEENS1_30default_config_static_selectorELNS0_4arch9wavefront6targetE1EEEvSP_,comdat
	.protected	_ZN7rocprim17ROCPRIM_400000_NS6detail17trampoline_kernelINS0_14default_configENS1_21merge_config_selectorIsNS0_10empty_typeEEEZNS1_10merge_implIS3_N6thrust23THRUST_200600_302600_NS6detail15normal_iteratorINS9_10device_ptrIKsEEEESF_NSB_INSC_IsEEEEPS5_SI_SI_NS9_4lessIsEEEE10hipError_tPvRmT0_T1_T2_T3_T4_T5_mmT6_P12ihipStream_tbEUlT_E_NS1_11comp_targetILNS1_3genE9ELNS1_11target_archE1100ELNS1_3gpuE3ELNS1_3repE0EEENS1_30default_config_static_selectorELNS0_4arch9wavefront6targetE1EEEvSP_ ; -- Begin function _ZN7rocprim17ROCPRIM_400000_NS6detail17trampoline_kernelINS0_14default_configENS1_21merge_config_selectorIsNS0_10empty_typeEEEZNS1_10merge_implIS3_N6thrust23THRUST_200600_302600_NS6detail15normal_iteratorINS9_10device_ptrIKsEEEESF_NSB_INSC_IsEEEEPS5_SI_SI_NS9_4lessIsEEEE10hipError_tPvRmT0_T1_T2_T3_T4_T5_mmT6_P12ihipStream_tbEUlT_E_NS1_11comp_targetILNS1_3genE9ELNS1_11target_archE1100ELNS1_3gpuE3ELNS1_3repE0EEENS1_30default_config_static_selectorELNS0_4arch9wavefront6targetE1EEEvSP_
	.globl	_ZN7rocprim17ROCPRIM_400000_NS6detail17trampoline_kernelINS0_14default_configENS1_21merge_config_selectorIsNS0_10empty_typeEEEZNS1_10merge_implIS3_N6thrust23THRUST_200600_302600_NS6detail15normal_iteratorINS9_10device_ptrIKsEEEESF_NSB_INSC_IsEEEEPS5_SI_SI_NS9_4lessIsEEEE10hipError_tPvRmT0_T1_T2_T3_T4_T5_mmT6_P12ihipStream_tbEUlT_E_NS1_11comp_targetILNS1_3genE9ELNS1_11target_archE1100ELNS1_3gpuE3ELNS1_3repE0EEENS1_30default_config_static_selectorELNS0_4arch9wavefront6targetE1EEEvSP_
	.p2align	8
	.type	_ZN7rocprim17ROCPRIM_400000_NS6detail17trampoline_kernelINS0_14default_configENS1_21merge_config_selectorIsNS0_10empty_typeEEEZNS1_10merge_implIS3_N6thrust23THRUST_200600_302600_NS6detail15normal_iteratorINS9_10device_ptrIKsEEEESF_NSB_INSC_IsEEEEPS5_SI_SI_NS9_4lessIsEEEE10hipError_tPvRmT0_T1_T2_T3_T4_T5_mmT6_P12ihipStream_tbEUlT_E_NS1_11comp_targetILNS1_3genE9ELNS1_11target_archE1100ELNS1_3gpuE3ELNS1_3repE0EEENS1_30default_config_static_selectorELNS0_4arch9wavefront6targetE1EEEvSP_,@function
_ZN7rocprim17ROCPRIM_400000_NS6detail17trampoline_kernelINS0_14default_configENS1_21merge_config_selectorIsNS0_10empty_typeEEEZNS1_10merge_implIS3_N6thrust23THRUST_200600_302600_NS6detail15normal_iteratorINS9_10device_ptrIKsEEEESF_NSB_INSC_IsEEEEPS5_SI_SI_NS9_4lessIsEEEE10hipError_tPvRmT0_T1_T2_T3_T4_T5_mmT6_P12ihipStream_tbEUlT_E_NS1_11comp_targetILNS1_3genE9ELNS1_11target_archE1100ELNS1_3gpuE3ELNS1_3repE0EEENS1_30default_config_static_selectorELNS0_4arch9wavefront6targetE1EEEvSP_: ; @_ZN7rocprim17ROCPRIM_400000_NS6detail17trampoline_kernelINS0_14default_configENS1_21merge_config_selectorIsNS0_10empty_typeEEEZNS1_10merge_implIS3_N6thrust23THRUST_200600_302600_NS6detail15normal_iteratorINS9_10device_ptrIKsEEEESF_NSB_INSC_IsEEEEPS5_SI_SI_NS9_4lessIsEEEE10hipError_tPvRmT0_T1_T2_T3_T4_T5_mmT6_P12ihipStream_tbEUlT_E_NS1_11comp_targetILNS1_3genE9ELNS1_11target_archE1100ELNS1_3gpuE3ELNS1_3repE0EEENS1_30default_config_static_selectorELNS0_4arch9wavefront6targetE1EEEvSP_
; %bb.0:
	.section	.rodata,"a",@progbits
	.p2align	6, 0x0
	.amdhsa_kernel _ZN7rocprim17ROCPRIM_400000_NS6detail17trampoline_kernelINS0_14default_configENS1_21merge_config_selectorIsNS0_10empty_typeEEEZNS1_10merge_implIS3_N6thrust23THRUST_200600_302600_NS6detail15normal_iteratorINS9_10device_ptrIKsEEEESF_NSB_INSC_IsEEEEPS5_SI_SI_NS9_4lessIsEEEE10hipError_tPvRmT0_T1_T2_T3_T4_T5_mmT6_P12ihipStream_tbEUlT_E_NS1_11comp_targetILNS1_3genE9ELNS1_11target_archE1100ELNS1_3gpuE3ELNS1_3repE0EEENS1_30default_config_static_selectorELNS0_4arch9wavefront6targetE1EEEvSP_
		.amdhsa_group_segment_fixed_size 0
		.amdhsa_private_segment_fixed_size 0
		.amdhsa_kernarg_size 48
		.amdhsa_user_sgpr_count 6
		.amdhsa_user_sgpr_private_segment_buffer 1
		.amdhsa_user_sgpr_dispatch_ptr 0
		.amdhsa_user_sgpr_queue_ptr 0
		.amdhsa_user_sgpr_kernarg_segment_ptr 1
		.amdhsa_user_sgpr_dispatch_id 0
		.amdhsa_user_sgpr_flat_scratch_init 0
		.amdhsa_user_sgpr_kernarg_preload_length 0
		.amdhsa_user_sgpr_kernarg_preload_offset 0
		.amdhsa_user_sgpr_private_segment_size 0
		.amdhsa_uses_dynamic_stack 0
		.amdhsa_system_sgpr_private_segment_wavefront_offset 0
		.amdhsa_system_sgpr_workgroup_id_x 1
		.amdhsa_system_sgpr_workgroup_id_y 0
		.amdhsa_system_sgpr_workgroup_id_z 0
		.amdhsa_system_sgpr_workgroup_info 0
		.amdhsa_system_vgpr_workitem_id 0
		.amdhsa_next_free_vgpr 1
		.amdhsa_next_free_sgpr 0
		.amdhsa_accum_offset 4
		.amdhsa_reserve_vcc 0
		.amdhsa_reserve_flat_scratch 0
		.amdhsa_float_round_mode_32 0
		.amdhsa_float_round_mode_16_64 0
		.amdhsa_float_denorm_mode_32 3
		.amdhsa_float_denorm_mode_16_64 3
		.amdhsa_dx10_clamp 1
		.amdhsa_ieee_mode 1
		.amdhsa_fp16_overflow 0
		.amdhsa_tg_split 0
		.amdhsa_exception_fp_ieee_invalid_op 0
		.amdhsa_exception_fp_denorm_src 0
		.amdhsa_exception_fp_ieee_div_zero 0
		.amdhsa_exception_fp_ieee_overflow 0
		.amdhsa_exception_fp_ieee_underflow 0
		.amdhsa_exception_fp_ieee_inexact 0
		.amdhsa_exception_int_div_zero 0
	.end_amdhsa_kernel
	.section	.text._ZN7rocprim17ROCPRIM_400000_NS6detail17trampoline_kernelINS0_14default_configENS1_21merge_config_selectorIsNS0_10empty_typeEEEZNS1_10merge_implIS3_N6thrust23THRUST_200600_302600_NS6detail15normal_iteratorINS9_10device_ptrIKsEEEESF_NSB_INSC_IsEEEEPS5_SI_SI_NS9_4lessIsEEEE10hipError_tPvRmT0_T1_T2_T3_T4_T5_mmT6_P12ihipStream_tbEUlT_E_NS1_11comp_targetILNS1_3genE9ELNS1_11target_archE1100ELNS1_3gpuE3ELNS1_3repE0EEENS1_30default_config_static_selectorELNS0_4arch9wavefront6targetE1EEEvSP_,"axG",@progbits,_ZN7rocprim17ROCPRIM_400000_NS6detail17trampoline_kernelINS0_14default_configENS1_21merge_config_selectorIsNS0_10empty_typeEEEZNS1_10merge_implIS3_N6thrust23THRUST_200600_302600_NS6detail15normal_iteratorINS9_10device_ptrIKsEEEESF_NSB_INSC_IsEEEEPS5_SI_SI_NS9_4lessIsEEEE10hipError_tPvRmT0_T1_T2_T3_T4_T5_mmT6_P12ihipStream_tbEUlT_E_NS1_11comp_targetILNS1_3genE9ELNS1_11target_archE1100ELNS1_3gpuE3ELNS1_3repE0EEENS1_30default_config_static_selectorELNS0_4arch9wavefront6targetE1EEEvSP_,comdat
.Lfunc_end287:
	.size	_ZN7rocprim17ROCPRIM_400000_NS6detail17trampoline_kernelINS0_14default_configENS1_21merge_config_selectorIsNS0_10empty_typeEEEZNS1_10merge_implIS3_N6thrust23THRUST_200600_302600_NS6detail15normal_iteratorINS9_10device_ptrIKsEEEESF_NSB_INSC_IsEEEEPS5_SI_SI_NS9_4lessIsEEEE10hipError_tPvRmT0_T1_T2_T3_T4_T5_mmT6_P12ihipStream_tbEUlT_E_NS1_11comp_targetILNS1_3genE9ELNS1_11target_archE1100ELNS1_3gpuE3ELNS1_3repE0EEENS1_30default_config_static_selectorELNS0_4arch9wavefront6targetE1EEEvSP_, .Lfunc_end287-_ZN7rocprim17ROCPRIM_400000_NS6detail17trampoline_kernelINS0_14default_configENS1_21merge_config_selectorIsNS0_10empty_typeEEEZNS1_10merge_implIS3_N6thrust23THRUST_200600_302600_NS6detail15normal_iteratorINS9_10device_ptrIKsEEEESF_NSB_INSC_IsEEEEPS5_SI_SI_NS9_4lessIsEEEE10hipError_tPvRmT0_T1_T2_T3_T4_T5_mmT6_P12ihipStream_tbEUlT_E_NS1_11comp_targetILNS1_3genE9ELNS1_11target_archE1100ELNS1_3gpuE3ELNS1_3repE0EEENS1_30default_config_static_selectorELNS0_4arch9wavefront6targetE1EEEvSP_
                                        ; -- End function
	.section	.AMDGPU.csdata,"",@progbits
; Kernel info:
; codeLenInByte = 0
; NumSgprs: 4
; NumVgprs: 0
; NumAgprs: 0
; TotalNumVgprs: 0
; ScratchSize: 0
; MemoryBound: 0
; FloatMode: 240
; IeeeMode: 1
; LDSByteSize: 0 bytes/workgroup (compile time only)
; SGPRBlocks: 0
; VGPRBlocks: 0
; NumSGPRsForWavesPerEU: 4
; NumVGPRsForWavesPerEU: 1
; AccumOffset: 4
; Occupancy: 8
; WaveLimiterHint : 0
; COMPUTE_PGM_RSRC2:SCRATCH_EN: 0
; COMPUTE_PGM_RSRC2:USER_SGPR: 6
; COMPUTE_PGM_RSRC2:TRAP_HANDLER: 0
; COMPUTE_PGM_RSRC2:TGID_X_EN: 1
; COMPUTE_PGM_RSRC2:TGID_Y_EN: 0
; COMPUTE_PGM_RSRC2:TGID_Z_EN: 0
; COMPUTE_PGM_RSRC2:TIDIG_COMP_CNT: 0
; COMPUTE_PGM_RSRC3_GFX90A:ACCUM_OFFSET: 0
; COMPUTE_PGM_RSRC3_GFX90A:TG_SPLIT: 0
	.section	.text._ZN7rocprim17ROCPRIM_400000_NS6detail17trampoline_kernelINS0_14default_configENS1_21merge_config_selectorIsNS0_10empty_typeEEEZNS1_10merge_implIS3_N6thrust23THRUST_200600_302600_NS6detail15normal_iteratorINS9_10device_ptrIKsEEEESF_NSB_INSC_IsEEEEPS5_SI_SI_NS9_4lessIsEEEE10hipError_tPvRmT0_T1_T2_T3_T4_T5_mmT6_P12ihipStream_tbEUlT_E_NS1_11comp_targetILNS1_3genE8ELNS1_11target_archE1030ELNS1_3gpuE2ELNS1_3repE0EEENS1_30default_config_static_selectorELNS0_4arch9wavefront6targetE1EEEvSP_,"axG",@progbits,_ZN7rocprim17ROCPRIM_400000_NS6detail17trampoline_kernelINS0_14default_configENS1_21merge_config_selectorIsNS0_10empty_typeEEEZNS1_10merge_implIS3_N6thrust23THRUST_200600_302600_NS6detail15normal_iteratorINS9_10device_ptrIKsEEEESF_NSB_INSC_IsEEEEPS5_SI_SI_NS9_4lessIsEEEE10hipError_tPvRmT0_T1_T2_T3_T4_T5_mmT6_P12ihipStream_tbEUlT_E_NS1_11comp_targetILNS1_3genE8ELNS1_11target_archE1030ELNS1_3gpuE2ELNS1_3repE0EEENS1_30default_config_static_selectorELNS0_4arch9wavefront6targetE1EEEvSP_,comdat
	.protected	_ZN7rocprim17ROCPRIM_400000_NS6detail17trampoline_kernelINS0_14default_configENS1_21merge_config_selectorIsNS0_10empty_typeEEEZNS1_10merge_implIS3_N6thrust23THRUST_200600_302600_NS6detail15normal_iteratorINS9_10device_ptrIKsEEEESF_NSB_INSC_IsEEEEPS5_SI_SI_NS9_4lessIsEEEE10hipError_tPvRmT0_T1_T2_T3_T4_T5_mmT6_P12ihipStream_tbEUlT_E_NS1_11comp_targetILNS1_3genE8ELNS1_11target_archE1030ELNS1_3gpuE2ELNS1_3repE0EEENS1_30default_config_static_selectorELNS0_4arch9wavefront6targetE1EEEvSP_ ; -- Begin function _ZN7rocprim17ROCPRIM_400000_NS6detail17trampoline_kernelINS0_14default_configENS1_21merge_config_selectorIsNS0_10empty_typeEEEZNS1_10merge_implIS3_N6thrust23THRUST_200600_302600_NS6detail15normal_iteratorINS9_10device_ptrIKsEEEESF_NSB_INSC_IsEEEEPS5_SI_SI_NS9_4lessIsEEEE10hipError_tPvRmT0_T1_T2_T3_T4_T5_mmT6_P12ihipStream_tbEUlT_E_NS1_11comp_targetILNS1_3genE8ELNS1_11target_archE1030ELNS1_3gpuE2ELNS1_3repE0EEENS1_30default_config_static_selectorELNS0_4arch9wavefront6targetE1EEEvSP_
	.globl	_ZN7rocprim17ROCPRIM_400000_NS6detail17trampoline_kernelINS0_14default_configENS1_21merge_config_selectorIsNS0_10empty_typeEEEZNS1_10merge_implIS3_N6thrust23THRUST_200600_302600_NS6detail15normal_iteratorINS9_10device_ptrIKsEEEESF_NSB_INSC_IsEEEEPS5_SI_SI_NS9_4lessIsEEEE10hipError_tPvRmT0_T1_T2_T3_T4_T5_mmT6_P12ihipStream_tbEUlT_E_NS1_11comp_targetILNS1_3genE8ELNS1_11target_archE1030ELNS1_3gpuE2ELNS1_3repE0EEENS1_30default_config_static_selectorELNS0_4arch9wavefront6targetE1EEEvSP_
	.p2align	8
	.type	_ZN7rocprim17ROCPRIM_400000_NS6detail17trampoline_kernelINS0_14default_configENS1_21merge_config_selectorIsNS0_10empty_typeEEEZNS1_10merge_implIS3_N6thrust23THRUST_200600_302600_NS6detail15normal_iteratorINS9_10device_ptrIKsEEEESF_NSB_INSC_IsEEEEPS5_SI_SI_NS9_4lessIsEEEE10hipError_tPvRmT0_T1_T2_T3_T4_T5_mmT6_P12ihipStream_tbEUlT_E_NS1_11comp_targetILNS1_3genE8ELNS1_11target_archE1030ELNS1_3gpuE2ELNS1_3repE0EEENS1_30default_config_static_selectorELNS0_4arch9wavefront6targetE1EEEvSP_,@function
_ZN7rocprim17ROCPRIM_400000_NS6detail17trampoline_kernelINS0_14default_configENS1_21merge_config_selectorIsNS0_10empty_typeEEEZNS1_10merge_implIS3_N6thrust23THRUST_200600_302600_NS6detail15normal_iteratorINS9_10device_ptrIKsEEEESF_NSB_INSC_IsEEEEPS5_SI_SI_NS9_4lessIsEEEE10hipError_tPvRmT0_T1_T2_T3_T4_T5_mmT6_P12ihipStream_tbEUlT_E_NS1_11comp_targetILNS1_3genE8ELNS1_11target_archE1030ELNS1_3gpuE2ELNS1_3repE0EEENS1_30default_config_static_selectorELNS0_4arch9wavefront6targetE1EEEvSP_: ; @_ZN7rocprim17ROCPRIM_400000_NS6detail17trampoline_kernelINS0_14default_configENS1_21merge_config_selectorIsNS0_10empty_typeEEEZNS1_10merge_implIS3_N6thrust23THRUST_200600_302600_NS6detail15normal_iteratorINS9_10device_ptrIKsEEEESF_NSB_INSC_IsEEEEPS5_SI_SI_NS9_4lessIsEEEE10hipError_tPvRmT0_T1_T2_T3_T4_T5_mmT6_P12ihipStream_tbEUlT_E_NS1_11comp_targetILNS1_3genE8ELNS1_11target_archE1030ELNS1_3gpuE2ELNS1_3repE0EEENS1_30default_config_static_selectorELNS0_4arch9wavefront6targetE1EEEvSP_
; %bb.0:
	.section	.rodata,"a",@progbits
	.p2align	6, 0x0
	.amdhsa_kernel _ZN7rocprim17ROCPRIM_400000_NS6detail17trampoline_kernelINS0_14default_configENS1_21merge_config_selectorIsNS0_10empty_typeEEEZNS1_10merge_implIS3_N6thrust23THRUST_200600_302600_NS6detail15normal_iteratorINS9_10device_ptrIKsEEEESF_NSB_INSC_IsEEEEPS5_SI_SI_NS9_4lessIsEEEE10hipError_tPvRmT0_T1_T2_T3_T4_T5_mmT6_P12ihipStream_tbEUlT_E_NS1_11comp_targetILNS1_3genE8ELNS1_11target_archE1030ELNS1_3gpuE2ELNS1_3repE0EEENS1_30default_config_static_selectorELNS0_4arch9wavefront6targetE1EEEvSP_
		.amdhsa_group_segment_fixed_size 0
		.amdhsa_private_segment_fixed_size 0
		.amdhsa_kernarg_size 48
		.amdhsa_user_sgpr_count 6
		.amdhsa_user_sgpr_private_segment_buffer 1
		.amdhsa_user_sgpr_dispatch_ptr 0
		.amdhsa_user_sgpr_queue_ptr 0
		.amdhsa_user_sgpr_kernarg_segment_ptr 1
		.amdhsa_user_sgpr_dispatch_id 0
		.amdhsa_user_sgpr_flat_scratch_init 0
		.amdhsa_user_sgpr_kernarg_preload_length 0
		.amdhsa_user_sgpr_kernarg_preload_offset 0
		.amdhsa_user_sgpr_private_segment_size 0
		.amdhsa_uses_dynamic_stack 0
		.amdhsa_system_sgpr_private_segment_wavefront_offset 0
		.amdhsa_system_sgpr_workgroup_id_x 1
		.amdhsa_system_sgpr_workgroup_id_y 0
		.amdhsa_system_sgpr_workgroup_id_z 0
		.amdhsa_system_sgpr_workgroup_info 0
		.amdhsa_system_vgpr_workitem_id 0
		.amdhsa_next_free_vgpr 1
		.amdhsa_next_free_sgpr 0
		.amdhsa_accum_offset 4
		.amdhsa_reserve_vcc 0
		.amdhsa_reserve_flat_scratch 0
		.amdhsa_float_round_mode_32 0
		.amdhsa_float_round_mode_16_64 0
		.amdhsa_float_denorm_mode_32 3
		.amdhsa_float_denorm_mode_16_64 3
		.amdhsa_dx10_clamp 1
		.amdhsa_ieee_mode 1
		.amdhsa_fp16_overflow 0
		.amdhsa_tg_split 0
		.amdhsa_exception_fp_ieee_invalid_op 0
		.amdhsa_exception_fp_denorm_src 0
		.amdhsa_exception_fp_ieee_div_zero 0
		.amdhsa_exception_fp_ieee_overflow 0
		.amdhsa_exception_fp_ieee_underflow 0
		.amdhsa_exception_fp_ieee_inexact 0
		.amdhsa_exception_int_div_zero 0
	.end_amdhsa_kernel
	.section	.text._ZN7rocprim17ROCPRIM_400000_NS6detail17trampoline_kernelINS0_14default_configENS1_21merge_config_selectorIsNS0_10empty_typeEEEZNS1_10merge_implIS3_N6thrust23THRUST_200600_302600_NS6detail15normal_iteratorINS9_10device_ptrIKsEEEESF_NSB_INSC_IsEEEEPS5_SI_SI_NS9_4lessIsEEEE10hipError_tPvRmT0_T1_T2_T3_T4_T5_mmT6_P12ihipStream_tbEUlT_E_NS1_11comp_targetILNS1_3genE8ELNS1_11target_archE1030ELNS1_3gpuE2ELNS1_3repE0EEENS1_30default_config_static_selectorELNS0_4arch9wavefront6targetE1EEEvSP_,"axG",@progbits,_ZN7rocprim17ROCPRIM_400000_NS6detail17trampoline_kernelINS0_14default_configENS1_21merge_config_selectorIsNS0_10empty_typeEEEZNS1_10merge_implIS3_N6thrust23THRUST_200600_302600_NS6detail15normal_iteratorINS9_10device_ptrIKsEEEESF_NSB_INSC_IsEEEEPS5_SI_SI_NS9_4lessIsEEEE10hipError_tPvRmT0_T1_T2_T3_T4_T5_mmT6_P12ihipStream_tbEUlT_E_NS1_11comp_targetILNS1_3genE8ELNS1_11target_archE1030ELNS1_3gpuE2ELNS1_3repE0EEENS1_30default_config_static_selectorELNS0_4arch9wavefront6targetE1EEEvSP_,comdat
.Lfunc_end288:
	.size	_ZN7rocprim17ROCPRIM_400000_NS6detail17trampoline_kernelINS0_14default_configENS1_21merge_config_selectorIsNS0_10empty_typeEEEZNS1_10merge_implIS3_N6thrust23THRUST_200600_302600_NS6detail15normal_iteratorINS9_10device_ptrIKsEEEESF_NSB_INSC_IsEEEEPS5_SI_SI_NS9_4lessIsEEEE10hipError_tPvRmT0_T1_T2_T3_T4_T5_mmT6_P12ihipStream_tbEUlT_E_NS1_11comp_targetILNS1_3genE8ELNS1_11target_archE1030ELNS1_3gpuE2ELNS1_3repE0EEENS1_30default_config_static_selectorELNS0_4arch9wavefront6targetE1EEEvSP_, .Lfunc_end288-_ZN7rocprim17ROCPRIM_400000_NS6detail17trampoline_kernelINS0_14default_configENS1_21merge_config_selectorIsNS0_10empty_typeEEEZNS1_10merge_implIS3_N6thrust23THRUST_200600_302600_NS6detail15normal_iteratorINS9_10device_ptrIKsEEEESF_NSB_INSC_IsEEEEPS5_SI_SI_NS9_4lessIsEEEE10hipError_tPvRmT0_T1_T2_T3_T4_T5_mmT6_P12ihipStream_tbEUlT_E_NS1_11comp_targetILNS1_3genE8ELNS1_11target_archE1030ELNS1_3gpuE2ELNS1_3repE0EEENS1_30default_config_static_selectorELNS0_4arch9wavefront6targetE1EEEvSP_
                                        ; -- End function
	.section	.AMDGPU.csdata,"",@progbits
; Kernel info:
; codeLenInByte = 0
; NumSgprs: 4
; NumVgprs: 0
; NumAgprs: 0
; TotalNumVgprs: 0
; ScratchSize: 0
; MemoryBound: 0
; FloatMode: 240
; IeeeMode: 1
; LDSByteSize: 0 bytes/workgroup (compile time only)
; SGPRBlocks: 0
; VGPRBlocks: 0
; NumSGPRsForWavesPerEU: 4
; NumVGPRsForWavesPerEU: 1
; AccumOffset: 4
; Occupancy: 8
; WaveLimiterHint : 0
; COMPUTE_PGM_RSRC2:SCRATCH_EN: 0
; COMPUTE_PGM_RSRC2:USER_SGPR: 6
; COMPUTE_PGM_RSRC2:TRAP_HANDLER: 0
; COMPUTE_PGM_RSRC2:TGID_X_EN: 1
; COMPUTE_PGM_RSRC2:TGID_Y_EN: 0
; COMPUTE_PGM_RSRC2:TGID_Z_EN: 0
; COMPUTE_PGM_RSRC2:TIDIG_COMP_CNT: 0
; COMPUTE_PGM_RSRC3_GFX90A:ACCUM_OFFSET: 0
; COMPUTE_PGM_RSRC3_GFX90A:TG_SPLIT: 0
	.section	.text._ZN7rocprim17ROCPRIM_400000_NS6detail17trampoline_kernelINS0_14default_configENS1_21merge_config_selectorIsNS0_10empty_typeEEEZNS1_10merge_implIS3_N6thrust23THRUST_200600_302600_NS6detail15normal_iteratorINS9_10device_ptrIKsEEEESF_NSB_INSC_IsEEEEPS5_SI_SI_NS9_4lessIsEEEE10hipError_tPvRmT0_T1_T2_T3_T4_T5_mmT6_P12ihipStream_tbEUlT_E0_NS1_11comp_targetILNS1_3genE0ELNS1_11target_archE4294967295ELNS1_3gpuE0ELNS1_3repE0EEENS1_30default_config_static_selectorELNS0_4arch9wavefront6targetE1EEEvSP_,"axG",@progbits,_ZN7rocprim17ROCPRIM_400000_NS6detail17trampoline_kernelINS0_14default_configENS1_21merge_config_selectorIsNS0_10empty_typeEEEZNS1_10merge_implIS3_N6thrust23THRUST_200600_302600_NS6detail15normal_iteratorINS9_10device_ptrIKsEEEESF_NSB_INSC_IsEEEEPS5_SI_SI_NS9_4lessIsEEEE10hipError_tPvRmT0_T1_T2_T3_T4_T5_mmT6_P12ihipStream_tbEUlT_E0_NS1_11comp_targetILNS1_3genE0ELNS1_11target_archE4294967295ELNS1_3gpuE0ELNS1_3repE0EEENS1_30default_config_static_selectorELNS0_4arch9wavefront6targetE1EEEvSP_,comdat
	.protected	_ZN7rocprim17ROCPRIM_400000_NS6detail17trampoline_kernelINS0_14default_configENS1_21merge_config_selectorIsNS0_10empty_typeEEEZNS1_10merge_implIS3_N6thrust23THRUST_200600_302600_NS6detail15normal_iteratorINS9_10device_ptrIKsEEEESF_NSB_INSC_IsEEEEPS5_SI_SI_NS9_4lessIsEEEE10hipError_tPvRmT0_T1_T2_T3_T4_T5_mmT6_P12ihipStream_tbEUlT_E0_NS1_11comp_targetILNS1_3genE0ELNS1_11target_archE4294967295ELNS1_3gpuE0ELNS1_3repE0EEENS1_30default_config_static_selectorELNS0_4arch9wavefront6targetE1EEEvSP_ ; -- Begin function _ZN7rocprim17ROCPRIM_400000_NS6detail17trampoline_kernelINS0_14default_configENS1_21merge_config_selectorIsNS0_10empty_typeEEEZNS1_10merge_implIS3_N6thrust23THRUST_200600_302600_NS6detail15normal_iteratorINS9_10device_ptrIKsEEEESF_NSB_INSC_IsEEEEPS5_SI_SI_NS9_4lessIsEEEE10hipError_tPvRmT0_T1_T2_T3_T4_T5_mmT6_P12ihipStream_tbEUlT_E0_NS1_11comp_targetILNS1_3genE0ELNS1_11target_archE4294967295ELNS1_3gpuE0ELNS1_3repE0EEENS1_30default_config_static_selectorELNS0_4arch9wavefront6targetE1EEEvSP_
	.globl	_ZN7rocprim17ROCPRIM_400000_NS6detail17trampoline_kernelINS0_14default_configENS1_21merge_config_selectorIsNS0_10empty_typeEEEZNS1_10merge_implIS3_N6thrust23THRUST_200600_302600_NS6detail15normal_iteratorINS9_10device_ptrIKsEEEESF_NSB_INSC_IsEEEEPS5_SI_SI_NS9_4lessIsEEEE10hipError_tPvRmT0_T1_T2_T3_T4_T5_mmT6_P12ihipStream_tbEUlT_E0_NS1_11comp_targetILNS1_3genE0ELNS1_11target_archE4294967295ELNS1_3gpuE0ELNS1_3repE0EEENS1_30default_config_static_selectorELNS0_4arch9wavefront6targetE1EEEvSP_
	.p2align	8
	.type	_ZN7rocprim17ROCPRIM_400000_NS6detail17trampoline_kernelINS0_14default_configENS1_21merge_config_selectorIsNS0_10empty_typeEEEZNS1_10merge_implIS3_N6thrust23THRUST_200600_302600_NS6detail15normal_iteratorINS9_10device_ptrIKsEEEESF_NSB_INSC_IsEEEEPS5_SI_SI_NS9_4lessIsEEEE10hipError_tPvRmT0_T1_T2_T3_T4_T5_mmT6_P12ihipStream_tbEUlT_E0_NS1_11comp_targetILNS1_3genE0ELNS1_11target_archE4294967295ELNS1_3gpuE0ELNS1_3repE0EEENS1_30default_config_static_selectorELNS0_4arch9wavefront6targetE1EEEvSP_,@function
_ZN7rocprim17ROCPRIM_400000_NS6detail17trampoline_kernelINS0_14default_configENS1_21merge_config_selectorIsNS0_10empty_typeEEEZNS1_10merge_implIS3_N6thrust23THRUST_200600_302600_NS6detail15normal_iteratorINS9_10device_ptrIKsEEEESF_NSB_INSC_IsEEEEPS5_SI_SI_NS9_4lessIsEEEE10hipError_tPvRmT0_T1_T2_T3_T4_T5_mmT6_P12ihipStream_tbEUlT_E0_NS1_11comp_targetILNS1_3genE0ELNS1_11target_archE4294967295ELNS1_3gpuE0ELNS1_3repE0EEENS1_30default_config_static_selectorELNS0_4arch9wavefront6targetE1EEEvSP_: ; @_ZN7rocprim17ROCPRIM_400000_NS6detail17trampoline_kernelINS0_14default_configENS1_21merge_config_selectorIsNS0_10empty_typeEEEZNS1_10merge_implIS3_N6thrust23THRUST_200600_302600_NS6detail15normal_iteratorINS9_10device_ptrIKsEEEESF_NSB_INSC_IsEEEEPS5_SI_SI_NS9_4lessIsEEEE10hipError_tPvRmT0_T1_T2_T3_T4_T5_mmT6_P12ihipStream_tbEUlT_E0_NS1_11comp_targetILNS1_3genE0ELNS1_11target_archE4294967295ELNS1_3gpuE0ELNS1_3repE0EEENS1_30default_config_static_selectorELNS0_4arch9wavefront6targetE1EEEvSP_
; %bb.0:
	.section	.rodata,"a",@progbits
	.p2align	6, 0x0
	.amdhsa_kernel _ZN7rocprim17ROCPRIM_400000_NS6detail17trampoline_kernelINS0_14default_configENS1_21merge_config_selectorIsNS0_10empty_typeEEEZNS1_10merge_implIS3_N6thrust23THRUST_200600_302600_NS6detail15normal_iteratorINS9_10device_ptrIKsEEEESF_NSB_INSC_IsEEEEPS5_SI_SI_NS9_4lessIsEEEE10hipError_tPvRmT0_T1_T2_T3_T4_T5_mmT6_P12ihipStream_tbEUlT_E0_NS1_11comp_targetILNS1_3genE0ELNS1_11target_archE4294967295ELNS1_3gpuE0ELNS1_3repE0EEENS1_30default_config_static_selectorELNS0_4arch9wavefront6targetE1EEEvSP_
		.amdhsa_group_segment_fixed_size 0
		.amdhsa_private_segment_fixed_size 0
		.amdhsa_kernarg_size 88
		.amdhsa_user_sgpr_count 6
		.amdhsa_user_sgpr_private_segment_buffer 1
		.amdhsa_user_sgpr_dispatch_ptr 0
		.amdhsa_user_sgpr_queue_ptr 0
		.amdhsa_user_sgpr_kernarg_segment_ptr 1
		.amdhsa_user_sgpr_dispatch_id 0
		.amdhsa_user_sgpr_flat_scratch_init 0
		.amdhsa_user_sgpr_kernarg_preload_length 0
		.amdhsa_user_sgpr_kernarg_preload_offset 0
		.amdhsa_user_sgpr_private_segment_size 0
		.amdhsa_uses_dynamic_stack 0
		.amdhsa_system_sgpr_private_segment_wavefront_offset 0
		.amdhsa_system_sgpr_workgroup_id_x 1
		.amdhsa_system_sgpr_workgroup_id_y 0
		.amdhsa_system_sgpr_workgroup_id_z 0
		.amdhsa_system_sgpr_workgroup_info 0
		.amdhsa_system_vgpr_workitem_id 0
		.amdhsa_next_free_vgpr 1
		.amdhsa_next_free_sgpr 0
		.amdhsa_accum_offset 4
		.amdhsa_reserve_vcc 0
		.amdhsa_reserve_flat_scratch 0
		.amdhsa_float_round_mode_32 0
		.amdhsa_float_round_mode_16_64 0
		.amdhsa_float_denorm_mode_32 3
		.amdhsa_float_denorm_mode_16_64 3
		.amdhsa_dx10_clamp 1
		.amdhsa_ieee_mode 1
		.amdhsa_fp16_overflow 0
		.amdhsa_tg_split 0
		.amdhsa_exception_fp_ieee_invalid_op 0
		.amdhsa_exception_fp_denorm_src 0
		.amdhsa_exception_fp_ieee_div_zero 0
		.amdhsa_exception_fp_ieee_overflow 0
		.amdhsa_exception_fp_ieee_underflow 0
		.amdhsa_exception_fp_ieee_inexact 0
		.amdhsa_exception_int_div_zero 0
	.end_amdhsa_kernel
	.section	.text._ZN7rocprim17ROCPRIM_400000_NS6detail17trampoline_kernelINS0_14default_configENS1_21merge_config_selectorIsNS0_10empty_typeEEEZNS1_10merge_implIS3_N6thrust23THRUST_200600_302600_NS6detail15normal_iteratorINS9_10device_ptrIKsEEEESF_NSB_INSC_IsEEEEPS5_SI_SI_NS9_4lessIsEEEE10hipError_tPvRmT0_T1_T2_T3_T4_T5_mmT6_P12ihipStream_tbEUlT_E0_NS1_11comp_targetILNS1_3genE0ELNS1_11target_archE4294967295ELNS1_3gpuE0ELNS1_3repE0EEENS1_30default_config_static_selectorELNS0_4arch9wavefront6targetE1EEEvSP_,"axG",@progbits,_ZN7rocprim17ROCPRIM_400000_NS6detail17trampoline_kernelINS0_14default_configENS1_21merge_config_selectorIsNS0_10empty_typeEEEZNS1_10merge_implIS3_N6thrust23THRUST_200600_302600_NS6detail15normal_iteratorINS9_10device_ptrIKsEEEESF_NSB_INSC_IsEEEEPS5_SI_SI_NS9_4lessIsEEEE10hipError_tPvRmT0_T1_T2_T3_T4_T5_mmT6_P12ihipStream_tbEUlT_E0_NS1_11comp_targetILNS1_3genE0ELNS1_11target_archE4294967295ELNS1_3gpuE0ELNS1_3repE0EEENS1_30default_config_static_selectorELNS0_4arch9wavefront6targetE1EEEvSP_,comdat
.Lfunc_end289:
	.size	_ZN7rocprim17ROCPRIM_400000_NS6detail17trampoline_kernelINS0_14default_configENS1_21merge_config_selectorIsNS0_10empty_typeEEEZNS1_10merge_implIS3_N6thrust23THRUST_200600_302600_NS6detail15normal_iteratorINS9_10device_ptrIKsEEEESF_NSB_INSC_IsEEEEPS5_SI_SI_NS9_4lessIsEEEE10hipError_tPvRmT0_T1_T2_T3_T4_T5_mmT6_P12ihipStream_tbEUlT_E0_NS1_11comp_targetILNS1_3genE0ELNS1_11target_archE4294967295ELNS1_3gpuE0ELNS1_3repE0EEENS1_30default_config_static_selectorELNS0_4arch9wavefront6targetE1EEEvSP_, .Lfunc_end289-_ZN7rocprim17ROCPRIM_400000_NS6detail17trampoline_kernelINS0_14default_configENS1_21merge_config_selectorIsNS0_10empty_typeEEEZNS1_10merge_implIS3_N6thrust23THRUST_200600_302600_NS6detail15normal_iteratorINS9_10device_ptrIKsEEEESF_NSB_INSC_IsEEEEPS5_SI_SI_NS9_4lessIsEEEE10hipError_tPvRmT0_T1_T2_T3_T4_T5_mmT6_P12ihipStream_tbEUlT_E0_NS1_11comp_targetILNS1_3genE0ELNS1_11target_archE4294967295ELNS1_3gpuE0ELNS1_3repE0EEENS1_30default_config_static_selectorELNS0_4arch9wavefront6targetE1EEEvSP_
                                        ; -- End function
	.section	.AMDGPU.csdata,"",@progbits
; Kernel info:
; codeLenInByte = 0
; NumSgprs: 4
; NumVgprs: 0
; NumAgprs: 0
; TotalNumVgprs: 0
; ScratchSize: 0
; MemoryBound: 0
; FloatMode: 240
; IeeeMode: 1
; LDSByteSize: 0 bytes/workgroup (compile time only)
; SGPRBlocks: 0
; VGPRBlocks: 0
; NumSGPRsForWavesPerEU: 4
; NumVGPRsForWavesPerEU: 1
; AccumOffset: 4
; Occupancy: 8
; WaveLimiterHint : 0
; COMPUTE_PGM_RSRC2:SCRATCH_EN: 0
; COMPUTE_PGM_RSRC2:USER_SGPR: 6
; COMPUTE_PGM_RSRC2:TRAP_HANDLER: 0
; COMPUTE_PGM_RSRC2:TGID_X_EN: 1
; COMPUTE_PGM_RSRC2:TGID_Y_EN: 0
; COMPUTE_PGM_RSRC2:TGID_Z_EN: 0
; COMPUTE_PGM_RSRC2:TIDIG_COMP_CNT: 0
; COMPUTE_PGM_RSRC3_GFX90A:ACCUM_OFFSET: 0
; COMPUTE_PGM_RSRC3_GFX90A:TG_SPLIT: 0
	.section	.text._ZN7rocprim17ROCPRIM_400000_NS6detail17trampoline_kernelINS0_14default_configENS1_21merge_config_selectorIsNS0_10empty_typeEEEZNS1_10merge_implIS3_N6thrust23THRUST_200600_302600_NS6detail15normal_iteratorINS9_10device_ptrIKsEEEESF_NSB_INSC_IsEEEEPS5_SI_SI_NS9_4lessIsEEEE10hipError_tPvRmT0_T1_T2_T3_T4_T5_mmT6_P12ihipStream_tbEUlT_E0_NS1_11comp_targetILNS1_3genE5ELNS1_11target_archE942ELNS1_3gpuE9ELNS1_3repE0EEENS1_30default_config_static_selectorELNS0_4arch9wavefront6targetE1EEEvSP_,"axG",@progbits,_ZN7rocprim17ROCPRIM_400000_NS6detail17trampoline_kernelINS0_14default_configENS1_21merge_config_selectorIsNS0_10empty_typeEEEZNS1_10merge_implIS3_N6thrust23THRUST_200600_302600_NS6detail15normal_iteratorINS9_10device_ptrIKsEEEESF_NSB_INSC_IsEEEEPS5_SI_SI_NS9_4lessIsEEEE10hipError_tPvRmT0_T1_T2_T3_T4_T5_mmT6_P12ihipStream_tbEUlT_E0_NS1_11comp_targetILNS1_3genE5ELNS1_11target_archE942ELNS1_3gpuE9ELNS1_3repE0EEENS1_30default_config_static_selectorELNS0_4arch9wavefront6targetE1EEEvSP_,comdat
	.protected	_ZN7rocprim17ROCPRIM_400000_NS6detail17trampoline_kernelINS0_14default_configENS1_21merge_config_selectorIsNS0_10empty_typeEEEZNS1_10merge_implIS3_N6thrust23THRUST_200600_302600_NS6detail15normal_iteratorINS9_10device_ptrIKsEEEESF_NSB_INSC_IsEEEEPS5_SI_SI_NS9_4lessIsEEEE10hipError_tPvRmT0_T1_T2_T3_T4_T5_mmT6_P12ihipStream_tbEUlT_E0_NS1_11comp_targetILNS1_3genE5ELNS1_11target_archE942ELNS1_3gpuE9ELNS1_3repE0EEENS1_30default_config_static_selectorELNS0_4arch9wavefront6targetE1EEEvSP_ ; -- Begin function _ZN7rocprim17ROCPRIM_400000_NS6detail17trampoline_kernelINS0_14default_configENS1_21merge_config_selectorIsNS0_10empty_typeEEEZNS1_10merge_implIS3_N6thrust23THRUST_200600_302600_NS6detail15normal_iteratorINS9_10device_ptrIKsEEEESF_NSB_INSC_IsEEEEPS5_SI_SI_NS9_4lessIsEEEE10hipError_tPvRmT0_T1_T2_T3_T4_T5_mmT6_P12ihipStream_tbEUlT_E0_NS1_11comp_targetILNS1_3genE5ELNS1_11target_archE942ELNS1_3gpuE9ELNS1_3repE0EEENS1_30default_config_static_selectorELNS0_4arch9wavefront6targetE1EEEvSP_
	.globl	_ZN7rocprim17ROCPRIM_400000_NS6detail17trampoline_kernelINS0_14default_configENS1_21merge_config_selectorIsNS0_10empty_typeEEEZNS1_10merge_implIS3_N6thrust23THRUST_200600_302600_NS6detail15normal_iteratorINS9_10device_ptrIKsEEEESF_NSB_INSC_IsEEEEPS5_SI_SI_NS9_4lessIsEEEE10hipError_tPvRmT0_T1_T2_T3_T4_T5_mmT6_P12ihipStream_tbEUlT_E0_NS1_11comp_targetILNS1_3genE5ELNS1_11target_archE942ELNS1_3gpuE9ELNS1_3repE0EEENS1_30default_config_static_selectorELNS0_4arch9wavefront6targetE1EEEvSP_
	.p2align	8
	.type	_ZN7rocprim17ROCPRIM_400000_NS6detail17trampoline_kernelINS0_14default_configENS1_21merge_config_selectorIsNS0_10empty_typeEEEZNS1_10merge_implIS3_N6thrust23THRUST_200600_302600_NS6detail15normal_iteratorINS9_10device_ptrIKsEEEESF_NSB_INSC_IsEEEEPS5_SI_SI_NS9_4lessIsEEEE10hipError_tPvRmT0_T1_T2_T3_T4_T5_mmT6_P12ihipStream_tbEUlT_E0_NS1_11comp_targetILNS1_3genE5ELNS1_11target_archE942ELNS1_3gpuE9ELNS1_3repE0EEENS1_30default_config_static_selectorELNS0_4arch9wavefront6targetE1EEEvSP_,@function
_ZN7rocprim17ROCPRIM_400000_NS6detail17trampoline_kernelINS0_14default_configENS1_21merge_config_selectorIsNS0_10empty_typeEEEZNS1_10merge_implIS3_N6thrust23THRUST_200600_302600_NS6detail15normal_iteratorINS9_10device_ptrIKsEEEESF_NSB_INSC_IsEEEEPS5_SI_SI_NS9_4lessIsEEEE10hipError_tPvRmT0_T1_T2_T3_T4_T5_mmT6_P12ihipStream_tbEUlT_E0_NS1_11comp_targetILNS1_3genE5ELNS1_11target_archE942ELNS1_3gpuE9ELNS1_3repE0EEENS1_30default_config_static_selectorELNS0_4arch9wavefront6targetE1EEEvSP_: ; @_ZN7rocprim17ROCPRIM_400000_NS6detail17trampoline_kernelINS0_14default_configENS1_21merge_config_selectorIsNS0_10empty_typeEEEZNS1_10merge_implIS3_N6thrust23THRUST_200600_302600_NS6detail15normal_iteratorINS9_10device_ptrIKsEEEESF_NSB_INSC_IsEEEEPS5_SI_SI_NS9_4lessIsEEEE10hipError_tPvRmT0_T1_T2_T3_T4_T5_mmT6_P12ihipStream_tbEUlT_E0_NS1_11comp_targetILNS1_3genE5ELNS1_11target_archE942ELNS1_3gpuE9ELNS1_3repE0EEENS1_30default_config_static_selectorELNS0_4arch9wavefront6targetE1EEEvSP_
; %bb.0:
	.section	.rodata,"a",@progbits
	.p2align	6, 0x0
	.amdhsa_kernel _ZN7rocprim17ROCPRIM_400000_NS6detail17trampoline_kernelINS0_14default_configENS1_21merge_config_selectorIsNS0_10empty_typeEEEZNS1_10merge_implIS3_N6thrust23THRUST_200600_302600_NS6detail15normal_iteratorINS9_10device_ptrIKsEEEESF_NSB_INSC_IsEEEEPS5_SI_SI_NS9_4lessIsEEEE10hipError_tPvRmT0_T1_T2_T3_T4_T5_mmT6_P12ihipStream_tbEUlT_E0_NS1_11comp_targetILNS1_3genE5ELNS1_11target_archE942ELNS1_3gpuE9ELNS1_3repE0EEENS1_30default_config_static_selectorELNS0_4arch9wavefront6targetE1EEEvSP_
		.amdhsa_group_segment_fixed_size 0
		.amdhsa_private_segment_fixed_size 0
		.amdhsa_kernarg_size 88
		.amdhsa_user_sgpr_count 6
		.amdhsa_user_sgpr_private_segment_buffer 1
		.amdhsa_user_sgpr_dispatch_ptr 0
		.amdhsa_user_sgpr_queue_ptr 0
		.amdhsa_user_sgpr_kernarg_segment_ptr 1
		.amdhsa_user_sgpr_dispatch_id 0
		.amdhsa_user_sgpr_flat_scratch_init 0
		.amdhsa_user_sgpr_kernarg_preload_length 0
		.amdhsa_user_sgpr_kernarg_preload_offset 0
		.amdhsa_user_sgpr_private_segment_size 0
		.amdhsa_uses_dynamic_stack 0
		.amdhsa_system_sgpr_private_segment_wavefront_offset 0
		.amdhsa_system_sgpr_workgroup_id_x 1
		.amdhsa_system_sgpr_workgroup_id_y 0
		.amdhsa_system_sgpr_workgroup_id_z 0
		.amdhsa_system_sgpr_workgroup_info 0
		.amdhsa_system_vgpr_workitem_id 0
		.amdhsa_next_free_vgpr 1
		.amdhsa_next_free_sgpr 0
		.amdhsa_accum_offset 4
		.amdhsa_reserve_vcc 0
		.amdhsa_reserve_flat_scratch 0
		.amdhsa_float_round_mode_32 0
		.amdhsa_float_round_mode_16_64 0
		.amdhsa_float_denorm_mode_32 3
		.amdhsa_float_denorm_mode_16_64 3
		.amdhsa_dx10_clamp 1
		.amdhsa_ieee_mode 1
		.amdhsa_fp16_overflow 0
		.amdhsa_tg_split 0
		.amdhsa_exception_fp_ieee_invalid_op 0
		.amdhsa_exception_fp_denorm_src 0
		.amdhsa_exception_fp_ieee_div_zero 0
		.amdhsa_exception_fp_ieee_overflow 0
		.amdhsa_exception_fp_ieee_underflow 0
		.amdhsa_exception_fp_ieee_inexact 0
		.amdhsa_exception_int_div_zero 0
	.end_amdhsa_kernel
	.section	.text._ZN7rocprim17ROCPRIM_400000_NS6detail17trampoline_kernelINS0_14default_configENS1_21merge_config_selectorIsNS0_10empty_typeEEEZNS1_10merge_implIS3_N6thrust23THRUST_200600_302600_NS6detail15normal_iteratorINS9_10device_ptrIKsEEEESF_NSB_INSC_IsEEEEPS5_SI_SI_NS9_4lessIsEEEE10hipError_tPvRmT0_T1_T2_T3_T4_T5_mmT6_P12ihipStream_tbEUlT_E0_NS1_11comp_targetILNS1_3genE5ELNS1_11target_archE942ELNS1_3gpuE9ELNS1_3repE0EEENS1_30default_config_static_selectorELNS0_4arch9wavefront6targetE1EEEvSP_,"axG",@progbits,_ZN7rocprim17ROCPRIM_400000_NS6detail17trampoline_kernelINS0_14default_configENS1_21merge_config_selectorIsNS0_10empty_typeEEEZNS1_10merge_implIS3_N6thrust23THRUST_200600_302600_NS6detail15normal_iteratorINS9_10device_ptrIKsEEEESF_NSB_INSC_IsEEEEPS5_SI_SI_NS9_4lessIsEEEE10hipError_tPvRmT0_T1_T2_T3_T4_T5_mmT6_P12ihipStream_tbEUlT_E0_NS1_11comp_targetILNS1_3genE5ELNS1_11target_archE942ELNS1_3gpuE9ELNS1_3repE0EEENS1_30default_config_static_selectorELNS0_4arch9wavefront6targetE1EEEvSP_,comdat
.Lfunc_end290:
	.size	_ZN7rocprim17ROCPRIM_400000_NS6detail17trampoline_kernelINS0_14default_configENS1_21merge_config_selectorIsNS0_10empty_typeEEEZNS1_10merge_implIS3_N6thrust23THRUST_200600_302600_NS6detail15normal_iteratorINS9_10device_ptrIKsEEEESF_NSB_INSC_IsEEEEPS5_SI_SI_NS9_4lessIsEEEE10hipError_tPvRmT0_T1_T2_T3_T4_T5_mmT6_P12ihipStream_tbEUlT_E0_NS1_11comp_targetILNS1_3genE5ELNS1_11target_archE942ELNS1_3gpuE9ELNS1_3repE0EEENS1_30default_config_static_selectorELNS0_4arch9wavefront6targetE1EEEvSP_, .Lfunc_end290-_ZN7rocprim17ROCPRIM_400000_NS6detail17trampoline_kernelINS0_14default_configENS1_21merge_config_selectorIsNS0_10empty_typeEEEZNS1_10merge_implIS3_N6thrust23THRUST_200600_302600_NS6detail15normal_iteratorINS9_10device_ptrIKsEEEESF_NSB_INSC_IsEEEEPS5_SI_SI_NS9_4lessIsEEEE10hipError_tPvRmT0_T1_T2_T3_T4_T5_mmT6_P12ihipStream_tbEUlT_E0_NS1_11comp_targetILNS1_3genE5ELNS1_11target_archE942ELNS1_3gpuE9ELNS1_3repE0EEENS1_30default_config_static_selectorELNS0_4arch9wavefront6targetE1EEEvSP_
                                        ; -- End function
	.section	.AMDGPU.csdata,"",@progbits
; Kernel info:
; codeLenInByte = 0
; NumSgprs: 4
; NumVgprs: 0
; NumAgprs: 0
; TotalNumVgprs: 0
; ScratchSize: 0
; MemoryBound: 0
; FloatMode: 240
; IeeeMode: 1
; LDSByteSize: 0 bytes/workgroup (compile time only)
; SGPRBlocks: 0
; VGPRBlocks: 0
; NumSGPRsForWavesPerEU: 4
; NumVGPRsForWavesPerEU: 1
; AccumOffset: 4
; Occupancy: 8
; WaveLimiterHint : 0
; COMPUTE_PGM_RSRC2:SCRATCH_EN: 0
; COMPUTE_PGM_RSRC2:USER_SGPR: 6
; COMPUTE_PGM_RSRC2:TRAP_HANDLER: 0
; COMPUTE_PGM_RSRC2:TGID_X_EN: 1
; COMPUTE_PGM_RSRC2:TGID_Y_EN: 0
; COMPUTE_PGM_RSRC2:TGID_Z_EN: 0
; COMPUTE_PGM_RSRC2:TIDIG_COMP_CNT: 0
; COMPUTE_PGM_RSRC3_GFX90A:ACCUM_OFFSET: 0
; COMPUTE_PGM_RSRC3_GFX90A:TG_SPLIT: 0
	.section	.text._ZN7rocprim17ROCPRIM_400000_NS6detail17trampoline_kernelINS0_14default_configENS1_21merge_config_selectorIsNS0_10empty_typeEEEZNS1_10merge_implIS3_N6thrust23THRUST_200600_302600_NS6detail15normal_iteratorINS9_10device_ptrIKsEEEESF_NSB_INSC_IsEEEEPS5_SI_SI_NS9_4lessIsEEEE10hipError_tPvRmT0_T1_T2_T3_T4_T5_mmT6_P12ihipStream_tbEUlT_E0_NS1_11comp_targetILNS1_3genE4ELNS1_11target_archE910ELNS1_3gpuE8ELNS1_3repE0EEENS1_30default_config_static_selectorELNS0_4arch9wavefront6targetE1EEEvSP_,"axG",@progbits,_ZN7rocprim17ROCPRIM_400000_NS6detail17trampoline_kernelINS0_14default_configENS1_21merge_config_selectorIsNS0_10empty_typeEEEZNS1_10merge_implIS3_N6thrust23THRUST_200600_302600_NS6detail15normal_iteratorINS9_10device_ptrIKsEEEESF_NSB_INSC_IsEEEEPS5_SI_SI_NS9_4lessIsEEEE10hipError_tPvRmT0_T1_T2_T3_T4_T5_mmT6_P12ihipStream_tbEUlT_E0_NS1_11comp_targetILNS1_3genE4ELNS1_11target_archE910ELNS1_3gpuE8ELNS1_3repE0EEENS1_30default_config_static_selectorELNS0_4arch9wavefront6targetE1EEEvSP_,comdat
	.protected	_ZN7rocprim17ROCPRIM_400000_NS6detail17trampoline_kernelINS0_14default_configENS1_21merge_config_selectorIsNS0_10empty_typeEEEZNS1_10merge_implIS3_N6thrust23THRUST_200600_302600_NS6detail15normal_iteratorINS9_10device_ptrIKsEEEESF_NSB_INSC_IsEEEEPS5_SI_SI_NS9_4lessIsEEEE10hipError_tPvRmT0_T1_T2_T3_T4_T5_mmT6_P12ihipStream_tbEUlT_E0_NS1_11comp_targetILNS1_3genE4ELNS1_11target_archE910ELNS1_3gpuE8ELNS1_3repE0EEENS1_30default_config_static_selectorELNS0_4arch9wavefront6targetE1EEEvSP_ ; -- Begin function _ZN7rocprim17ROCPRIM_400000_NS6detail17trampoline_kernelINS0_14default_configENS1_21merge_config_selectorIsNS0_10empty_typeEEEZNS1_10merge_implIS3_N6thrust23THRUST_200600_302600_NS6detail15normal_iteratorINS9_10device_ptrIKsEEEESF_NSB_INSC_IsEEEEPS5_SI_SI_NS9_4lessIsEEEE10hipError_tPvRmT0_T1_T2_T3_T4_T5_mmT6_P12ihipStream_tbEUlT_E0_NS1_11comp_targetILNS1_3genE4ELNS1_11target_archE910ELNS1_3gpuE8ELNS1_3repE0EEENS1_30default_config_static_selectorELNS0_4arch9wavefront6targetE1EEEvSP_
	.globl	_ZN7rocprim17ROCPRIM_400000_NS6detail17trampoline_kernelINS0_14default_configENS1_21merge_config_selectorIsNS0_10empty_typeEEEZNS1_10merge_implIS3_N6thrust23THRUST_200600_302600_NS6detail15normal_iteratorINS9_10device_ptrIKsEEEESF_NSB_INSC_IsEEEEPS5_SI_SI_NS9_4lessIsEEEE10hipError_tPvRmT0_T1_T2_T3_T4_T5_mmT6_P12ihipStream_tbEUlT_E0_NS1_11comp_targetILNS1_3genE4ELNS1_11target_archE910ELNS1_3gpuE8ELNS1_3repE0EEENS1_30default_config_static_selectorELNS0_4arch9wavefront6targetE1EEEvSP_
	.p2align	8
	.type	_ZN7rocprim17ROCPRIM_400000_NS6detail17trampoline_kernelINS0_14default_configENS1_21merge_config_selectorIsNS0_10empty_typeEEEZNS1_10merge_implIS3_N6thrust23THRUST_200600_302600_NS6detail15normal_iteratorINS9_10device_ptrIKsEEEESF_NSB_INSC_IsEEEEPS5_SI_SI_NS9_4lessIsEEEE10hipError_tPvRmT0_T1_T2_T3_T4_T5_mmT6_P12ihipStream_tbEUlT_E0_NS1_11comp_targetILNS1_3genE4ELNS1_11target_archE910ELNS1_3gpuE8ELNS1_3repE0EEENS1_30default_config_static_selectorELNS0_4arch9wavefront6targetE1EEEvSP_,@function
_ZN7rocprim17ROCPRIM_400000_NS6detail17trampoline_kernelINS0_14default_configENS1_21merge_config_selectorIsNS0_10empty_typeEEEZNS1_10merge_implIS3_N6thrust23THRUST_200600_302600_NS6detail15normal_iteratorINS9_10device_ptrIKsEEEESF_NSB_INSC_IsEEEEPS5_SI_SI_NS9_4lessIsEEEE10hipError_tPvRmT0_T1_T2_T3_T4_T5_mmT6_P12ihipStream_tbEUlT_E0_NS1_11comp_targetILNS1_3genE4ELNS1_11target_archE910ELNS1_3gpuE8ELNS1_3repE0EEENS1_30default_config_static_selectorELNS0_4arch9wavefront6targetE1EEEvSP_: ; @_ZN7rocprim17ROCPRIM_400000_NS6detail17trampoline_kernelINS0_14default_configENS1_21merge_config_selectorIsNS0_10empty_typeEEEZNS1_10merge_implIS3_N6thrust23THRUST_200600_302600_NS6detail15normal_iteratorINS9_10device_ptrIKsEEEESF_NSB_INSC_IsEEEEPS5_SI_SI_NS9_4lessIsEEEE10hipError_tPvRmT0_T1_T2_T3_T4_T5_mmT6_P12ihipStream_tbEUlT_E0_NS1_11comp_targetILNS1_3genE4ELNS1_11target_archE910ELNS1_3gpuE8ELNS1_3repE0EEENS1_30default_config_static_selectorELNS0_4arch9wavefront6targetE1EEEvSP_
; %bb.0:
	s_load_dwordx4 s[0:3], s[4:5], 0x40
	s_load_dwordx8 s[20:27], s[4:5], 0x8
	s_lshl_b32 s28, s6, 12
	s_mov_b32 s31, 0
	s_waitcnt lgkmcnt(0)
	s_mov_b32 s3, s31
	s_add_i32 s29, s2, s0
	s_add_i32 s0, s29, 0xfff
	s_lshr_b32 s0, s0, 12
	s_min_u32 s1, s6, s0
	s_lshl_b32 s1, s1, 2
	s_load_dword s30, s[20:21], s1 offset:0x0
	s_add_i32 s6, s6, 1
	s_min_u32 s0, s6, s0
	s_lshl_b32 s0, s0, 2
	s_load_dword s6, s[20:21], s0 offset:0x0
	s_add_i32 s0, s28, 0x1000
	s_min_u32 s7, s29, s0
	s_waitcnt lgkmcnt(0)
	s_sub_i32 s2, s28, s30
	s_lshl_b64 s[0:1], s[30:31], 1
	s_add_u32 s0, s22, s0
	s_addc_u32 s1, s23, s1
	s_lshl_b64 s[4:5], s[2:3], 1
	s_add_u32 s9, s24, s4
	s_addc_u32 s10, s25, s5
	s_add_i32 s2, s2, s6
	s_sub_i32 s30, s6, s30
	s_sub_i32 s8, s7, s2
	s_add_u32 s2, s8, s30
	s_addc_u32 s3, 0, 0
	v_mov_b32_e32 v1, 0
	v_cmp_le_u32_e32 vcc, s30, v0
	s_and_saveexec_b64 s[4:5], vcc
	s_xor_b64 s[4:5], exec, s[4:5]
	s_cbranch_execz .LBB291_4
; %bb.1:
	v_cmp_gt_u64_e32 vcc, s[2:3], v[0:1]
	s_and_saveexec_b64 s[6:7], vcc
	s_cbranch_execz .LBB291_3
; %bb.2:
	v_mov_b32_e32 v1, s31
	v_subrev_co_u32_e32 v2, vcc, s30, v0
	v_subb_co_u32_e32 v3, vcc, 0, v1, vcc
	v_lshlrev_b64 v[2:3], 1, v[2:3]
	v_mov_b32_e32 v1, s10
	v_add_co_u32_e32 v2, vcc, s9, v2
	v_addc_co_u32_e32 v3, vcc, v1, v3, vcc
	global_load_ushort v1, v[2:3], off
	v_lshlrev_b32_e32 v2, 1, v0
	s_waitcnt vmcnt(0)
	ds_write_b16 v2, v1
.LBB291_3:
	s_or_b64 exec, exec, s[6:7]
.LBB291_4:
	s_or_saveexec_b64 s[4:5], s[4:5]
	v_lshlrev_b32_e32 v1, 1, v0
	s_xor_b64 exec, exec, s[4:5]
	s_cbranch_execz .LBB291_6
; %bb.5:
	global_load_ushort v2, v1, s[0:1]
	s_waitcnt vmcnt(0)
	ds_write_b16 v1, v2
.LBB291_6:
	s_or_b64 exec, exec, s[4:5]
	v_or_b32_e32 v2, 0x100, v0
	v_mov_b32_e32 v3, 0
	v_cmp_le_u32_e32 vcc, s30, v2
	s_and_saveexec_b64 s[4:5], vcc
	s_xor_b64 s[4:5], exec, s[4:5]
	s_cbranch_execz .LBB291_10
; %bb.7:
	v_cmp_gt_u64_e32 vcc, s[2:3], v[2:3]
	s_and_saveexec_b64 s[6:7], vcc
	s_cbranch_execz .LBB291_9
; %bb.8:
	v_mov_b32_e32 v3, s31
	v_subrev_co_u32_e32 v4, vcc, s30, v0
	v_subb_co_u32_e32 v5, vcc, 0, v3, vcc
	v_lshlrev_b64 v[4:5], 1, v[4:5]
	v_mov_b32_e32 v3, s10
	v_add_co_u32_e32 v4, vcc, s9, v4
	v_addc_co_u32_e32 v5, vcc, v3, v5, vcc
	global_load_ushort v3, v[4:5], off offset:512
	s_waitcnt vmcnt(0)
	ds_write_b16 v1, v3 offset:512
.LBB291_9:
	s_or_b64 exec, exec, s[6:7]
.LBB291_10:
	s_andn2_saveexec_b64 s[4:5], s[4:5]
	s_cbranch_execz .LBB291_12
; %bb.11:
	global_load_ushort v3, v1, s[0:1] offset:512
	s_waitcnt vmcnt(0)
	ds_write_b16 v1, v3 offset:512
.LBB291_12:
	s_or_b64 exec, exec, s[4:5]
	v_or_b32_e32 v4, 0x200, v0
	v_mov_b32_e32 v5, 0
	v_cmp_le_u32_e32 vcc, s30, v4
	s_and_saveexec_b64 s[4:5], vcc
	s_xor_b64 s[4:5], exec, s[4:5]
	s_cbranch_execz .LBB291_16
; %bb.13:
	v_cmp_gt_u64_e32 vcc, s[2:3], v[4:5]
	s_and_saveexec_b64 s[6:7], vcc
	s_cbranch_execz .LBB291_15
; %bb.14:
	v_mov_b32_e32 v3, s31
	v_subrev_co_u32_e32 v6, vcc, s30, v0
	v_subb_co_u32_e32 v7, vcc, 0, v3, vcc
	v_lshlrev_b64 v[6:7], 1, v[6:7]
	v_mov_b32_e32 v3, s10
	v_add_co_u32_e32 v6, vcc, s9, v6
	v_addc_co_u32_e32 v7, vcc, v3, v7, vcc
	global_load_ushort v3, v[6:7], off offset:1024
	s_waitcnt vmcnt(0)
	ds_write_b16 v1, v3 offset:1024
.LBB291_15:
	s_or_b64 exec, exec, s[6:7]
.LBB291_16:
	s_andn2_saveexec_b64 s[4:5], s[4:5]
	s_cbranch_execz .LBB291_18
; %bb.17:
	global_load_ushort v3, v1, s[0:1] offset:1024
	s_waitcnt vmcnt(0)
	ds_write_b16 v1, v3 offset:1024
.LBB291_18:
	;; [unrolled: 32-line block ×7, first 2 shown]
	s_or_b64 exec, exec, s[4:5]
	v_or_b32_e32 v16, 0x800, v0
	v_mov_b32_e32 v17, 0
	v_cmp_le_u32_e32 vcc, s30, v16
	s_and_saveexec_b64 s[4:5], vcc
	s_xor_b64 s[4:5], exec, s[4:5]
	s_cbranch_execz .LBB291_52
; %bb.49:
	v_cmp_gt_u64_e32 vcc, s[2:3], v[16:17]
	s_and_saveexec_b64 s[6:7], vcc
	s_cbranch_execz .LBB291_51
; %bb.50:
	v_mov_b32_e32 v3, s31
	v_subrev_co_u32_e32 v18, vcc, s30, v16
	v_subb_co_u32_e32 v19, vcc, 0, v3, vcc
	v_lshlrev_b64 v[18:19], 1, v[18:19]
	v_mov_b32_e32 v3, s10
	v_add_co_u32_e32 v18, vcc, s9, v18
	v_addc_co_u32_e32 v19, vcc, v3, v19, vcc
	global_load_ushort v3, v[18:19], off
	s_waitcnt vmcnt(0)
	ds_write_b16 v1, v3 offset:4096
.LBB291_51:
	s_or_b64 exec, exec, s[6:7]
.LBB291_52:
	s_andn2_saveexec_b64 s[4:5], s[4:5]
	s_cbranch_execz .LBB291_54
; %bb.53:
	v_lshlrev_b32_e32 v3, 1, v16
	global_load_ushort v3, v3, s[0:1]
	s_waitcnt vmcnt(0)
	ds_write_b16 v1, v3 offset:4096
.LBB291_54:
	s_or_b64 exec, exec, s[4:5]
	v_or_b32_e32 v18, 0x900, v0
	v_mov_b32_e32 v19, 0
	v_cmp_le_u32_e32 vcc, s30, v18
	s_and_saveexec_b64 s[4:5], vcc
	s_xor_b64 s[4:5], exec, s[4:5]
	s_cbranch_execz .LBB291_58
; %bb.55:
	v_cmp_gt_u64_e32 vcc, s[2:3], v[18:19]
	s_and_saveexec_b64 s[6:7], vcc
	s_cbranch_execz .LBB291_57
; %bb.56:
	v_mov_b32_e32 v3, s31
	v_subrev_co_u32_e32 v20, vcc, s30, v18
	v_subb_co_u32_e32 v21, vcc, 0, v3, vcc
	v_lshlrev_b64 v[20:21], 1, v[20:21]
	v_mov_b32_e32 v3, s10
	v_add_co_u32_e32 v20, vcc, s9, v20
	v_addc_co_u32_e32 v21, vcc, v3, v21, vcc
	global_load_ushort v3, v[20:21], off
	s_waitcnt vmcnt(0)
	ds_write_b16 v1, v3 offset:4608
.LBB291_57:
	s_or_b64 exec, exec, s[6:7]
.LBB291_58:
	s_andn2_saveexec_b64 s[4:5], s[4:5]
	s_cbranch_execz .LBB291_60
; %bb.59:
	v_lshlrev_b32_e32 v3, 1, v18
	global_load_ushort v3, v3, s[0:1]
	s_waitcnt vmcnt(0)
	ds_write_b16 v1, v3 offset:4608
.LBB291_60:
	;; [unrolled: 33-line block ×8, first 2 shown]
	s_or_b64 exec, exec, s[2:3]
	v_lshlrev_b32_e32 v3, 4, v0
	v_sub_u32_e64 v9, v3, s8 clamp
	v_min_u32_e32 v5, s30, v3
	v_cmp_lt_u32_e32 vcc, v9, v5
	s_waitcnt lgkmcnt(0)
	s_barrier
	s_and_saveexec_b64 s[0:1], vcc
	s_cbranch_execz .LBB291_100
; %bb.97:
	v_lshlrev_b32_e32 v7, 1, v3
	v_lshl_add_u32 v7, s30, 1, v7
	s_mov_b64 s[2:3], 0
.LBB291_98:                             ; =>This Inner Loop Header: Depth=1
	v_add_u32_e32 v11, v5, v9
	v_lshrrev_b32_e32 v13, 1, v11
	v_not_b32_e32 v15, v13
	v_and_b32_e32 v11, -2, v11
	v_lshl_add_u32 v15, v15, 1, v7
	ds_read_u16 v11, v11
	ds_read_u16 v15, v15
	v_add_u32_e32 v17, 1, v13
	s_waitcnt lgkmcnt(0)
	v_cmp_lt_i16_e32 vcc, v15, v11
	v_cndmask_b32_e32 v5, v5, v13, vcc
	v_cndmask_b32_e32 v9, v17, v9, vcc
	v_cmp_ge_u32_e32 vcc, v9, v5
	s_or_b64 s[2:3], vcc, s[2:3]
	s_andn2_b64 exec, exec, s[2:3]
	s_cbranch_execnz .LBB291_98
; %bb.99:
	s_or_b64 exec, exec, s[2:3]
.LBB291_100:
	s_or_b64 exec, exec, s[0:1]
	v_add_u32_e32 v5, s30, v3
	s_add_i32 s31, s8, s30
	v_sub_u32_e32 v11, v5, v9
	v_cmp_ge_u32_e32 vcc, s30, v9
	v_cmp_ge_u32_e64 s[0:1], s31, v11
	s_or_b64 s[0:1], vcc, s[0:1]
                                        ; implicit-def: $vgpr5
                                        ; implicit-def: $vgpr7
                                        ; implicit-def: $vgpr13
                                        ; implicit-def: $vgpr15
                                        ; implicit-def: $vgpr17
                                        ; implicit-def: $vgpr19
                                        ; implicit-def: $vgpr21
                                        ; implicit-def: $vgpr23
	s_and_saveexec_b64 s[34:35], s[0:1]
	s_cbranch_execz .LBB291_106
; %bb.101:
	v_cmp_gt_u32_e32 vcc, s30, v9
                                        ; implicit-def: $vgpr5
	s_and_saveexec_b64 s[0:1], vcc
	s_cbranch_execz .LBB291_103
; %bb.102:
	v_lshlrev_b32_e32 v5, 1, v9
	ds_read_u16 v5, v5
.LBB291_103:
	s_or_b64 exec, exec, s[0:1]
	v_cmp_le_u32_e64 s[0:1], s31, v11
	v_cmp_gt_u32_e64 s[2:3], s31, v11
                                        ; implicit-def: $vgpr7
	s_and_saveexec_b64 s[4:5], s[2:3]
	s_cbranch_execz .LBB291_105
; %bb.104:
	v_lshlrev_b32_e32 v7, 1, v11
	ds_read_u16 v7, v7
.LBB291_105:
	s_or_b64 exec, exec, s[4:5]
	s_waitcnt lgkmcnt(0)
	v_cmp_ge_i16_e64 s[2:3], v7, v5
	s_and_b64 s[2:3], vcc, s[2:3]
	s_or_b64 vcc, s[0:1], s[2:3]
	v_mov_b32_e32 v15, s31
	v_mov_b32_e32 v17, s30
	v_cndmask_b32_e32 v13, v11, v9, vcc
	v_cndmask_b32_e32 v19, v15, v17, vcc
	v_add_u32_e32 v13, 1, v13
	v_add_u32_e32 v19, -1, v19
	v_min_u32_e32 v19, v13, v19
	v_lshlrev_b32_e32 v19, 1, v19
	ds_read_u16 v19, v19
	v_cndmask_b32_e32 v9, v9, v13, vcc
	v_cndmask_b32_e32 v11, v13, v11, vcc
	v_cmp_gt_u32_e64 s[2:3], s30, v9
	v_cmp_le_u32_e64 s[0:1], s31, v11
	s_waitcnt lgkmcnt(0)
	v_cndmask_b32_e32 v21, v19, v7, vcc
	v_cndmask_b32_e32 v19, v5, v19, vcc
	v_cmp_ge_i16_e64 s[4:5], v21, v19
	s_and_b64 s[2:3], s[2:3], s[4:5]
	s_or_b64 s[0:1], s[0:1], s[2:3]
	v_cndmask_b32_e64 v13, v11, v9, s[0:1]
	v_cndmask_b32_e64 v23, v15, v17, s[0:1]
	v_add_u32_e32 v13, 1, v13
	v_add_u32_e32 v23, -1, v23
	v_min_u32_e32 v23, v13, v23
	v_lshlrev_b32_e32 v23, 1, v23
	ds_read_u16 v23, v23
	v_cndmask_b32_e64 v9, v9, v13, s[0:1]
	v_cndmask_b32_e64 v11, v13, v11, s[0:1]
	v_cmp_gt_u32_e64 s[4:5], s30, v9
	v_cmp_le_u32_e64 s[2:3], s31, v11
	s_waitcnt lgkmcnt(0)
	v_cndmask_b32_e64 v25, v23, v21, s[0:1]
	v_cndmask_b32_e64 v23, v19, v23, s[0:1]
	v_cmp_ge_i16_e64 s[6:7], v25, v23
	s_and_b64 s[4:5], s[4:5], s[6:7]
	s_or_b64 s[4:5], s[2:3], s[4:5]
	v_cndmask_b32_e64 v13, v11, v9, s[4:5]
	v_cndmask_b32_e64 v27, v15, v17, s[4:5]
	v_add_u32_e32 v13, 1, v13
	v_add_u32_e32 v27, -1, v27
	v_min_u32_e32 v27, v13, v27
	v_lshlrev_b32_e32 v27, 1, v27
	ds_read_u16 v27, v27
	v_cndmask_b32_e64 v9, v9, v13, s[4:5]
	v_cndmask_b32_e64 v11, v13, v11, s[4:5]
	v_cmp_gt_u32_e64 s[6:7], s30, v9
	v_cmp_le_u32_e64 s[2:3], s31, v11
	s_waitcnt lgkmcnt(0)
	v_cndmask_b32_e64 v29, v27, v25, s[4:5]
	v_cndmask_b32_e64 v27, v23, v27, s[4:5]
	;; [unrolled: 17-line block ×10, first 2 shown]
	v_cmp_ge_i16_e64 s[24:25], v46, v45
	s_and_b64 s[22:23], s[22:23], s[24:25]
	s_or_b64 s[20:21], s[20:21], s[22:23]
	v_cndmask_b32_e64 v13, v11, v9, s[20:21]
	v_cndmask_b32_e64 v47, v15, v17, s[20:21]
	v_add_u32_e32 v13, 1, v13
	v_add_u32_e32 v47, -1, v47
	v_min_u32_e32 v47, v13, v47
	v_lshlrev_b32_e32 v47, 1, v47
	ds_read_u16 v47, v47
	v_cndmask_b32_e32 v5, v7, v5, vcc
	v_cndmask_b32_e64 v7, v21, v19, s[0:1]
	v_cndmask_b32_e64 v19, v25, v23, s[4:5]
	;; [unrolled: 1-line block ×3, first 2 shown]
	s_waitcnt lgkmcnt(0)
	v_cndmask_b32_e64 v21, v47, v46, s[20:21]
	v_cndmask_b32_e64 v23, v45, v47, s[20:21]
	;; [unrolled: 1-line block ×3, first 2 shown]
	v_cmp_gt_u32_e64 s[0:1], s30, v9
	v_cmp_ge_i16_e64 s[4:5], v21, v23
	v_cmp_le_u32_e32 vcc, s31, v11
	s_and_b64 s[0:1], s[0:1], s[4:5]
	s_or_b64 vcc, vcc, s[0:1]
	v_cndmask_b32_e32 v13, v11, v9, vcc
	v_cndmask_b32_e32 v25, v15, v17, vcc
	v_add_u32_e32 v13, 1, v13
	v_add_u32_e32 v25, -1, v25
	v_min_u32_e32 v25, v13, v25
	v_lshlrev_b32_e32 v25, 1, v25
	ds_read_u16 v25, v25
	v_cndmask_b32_e64 v27, v29, v27, s[2:3]
	v_cndmask_b32_e64 v29, v32, v31, s[6:7]
	;; [unrolled: 1-line block ×3, first 2 shown]
	v_cndmask_b32_e32 v9, v9, v13, vcc
	s_waitcnt lgkmcnt(0)
	v_cndmask_b32_e32 v33, v25, v21, vcc
	v_cndmask_b32_e32 v25, v23, v25, vcc
	;; [unrolled: 1-line block ×3, first 2 shown]
	v_cmp_gt_u32_e64 s[2:3], s30, v9
	v_cmp_ge_i16_e64 s[4:5], v33, v25
	v_cmp_le_u32_e64 s[0:1], s31, v11
	s_and_b64 s[2:3], s[2:3], s[4:5]
	s_or_b64 s[0:1], s[0:1], s[2:3]
	v_cndmask_b32_e64 v13, v11, v9, s[0:1]
	v_cndmask_b32_e64 v34, v15, v17, s[0:1]
	v_add_u32_e32 v13, 1, v13
	v_add_u32_e32 v34, -1, v34
	v_min_u32_e32 v34, v13, v34
	v_lshlrev_b32_e32 v34, 1, v34
	ds_read_u16 v34, v34
	v_cndmask_b32_e64 v32, v36, v35, s[12:13]
	v_cndmask_b32_e64 v36, v40, v39, s[14:15]
	;; [unrolled: 1-line block ×4, first 2 shown]
	s_waitcnt lgkmcnt(0)
	v_cndmask_b32_e64 v39, v34, v33, s[0:1]
	v_cndmask_b32_e64 v34, v25, v34, s[0:1]
	v_cmp_gt_u32_e64 s[4:5], s30, v9
	v_cmp_ge_i16_e64 s[6:7], v39, v34
	v_cmp_le_u32_e64 s[2:3], s31, v11
	s_and_b64 s[4:5], s[4:5], s[6:7]
	s_or_b64 s[2:3], s[2:3], s[4:5]
	v_cndmask_b32_e64 v13, v11, v9, s[2:3]
	v_cndmask_b32_e64 v15, v15, v17, s[2:3]
	v_add_u32_e32 v13, 1, v13
	v_add_u32_e32 v15, -1, v15
	v_min_u32_e32 v15, v13, v15
	v_lshlrev_b32_e32 v15, 1, v15
	ds_read_u16 v15, v15
	v_cndmask_b32_e64 v9, v9, v13, s[2:3]
	v_cndmask_b32_e64 v25, v33, v25, s[0:1]
	;; [unrolled: 1-line block ×4, first 2 shown]
	s_waitcnt lgkmcnt(0)
	v_cndmask_b32_e64 v17, v15, v39, s[2:3]
	v_cndmask_b32_e64 v15, v34, v15, s[2:3]
	v_cmp_gt_u32_e64 s[0:1], s30, v9
	v_cmp_ge_i16_e64 s[2:3], v17, v15
	v_cndmask_b32_e64 v35, v38, v37, s[10:11]
	v_cndmask_b32_e64 v37, v42, v41, s[16:17]
	v_cndmask_b32_e32 v41, v21, v23, vcc
	v_cmp_le_u32_e32 vcc, s31, v11
	s_and_b64 s[0:1], s[0:1], s[2:3]
	s_or_b64 vcc, vcc, s[0:1]
	v_cndmask_b32_e64 v38, v44, v43, s[18:19]
	v_cndmask_b32_e64 v40, v46, v45, s[20:21]
	v_cndmask_b32_e32 v9, v17, v15, vcc
	s_mov_b32 s0, 0x5040100
	v_perm_b32 v23, v7, v5, s0
	v_perm_b32 v21, v27, v19, s0
	;; [unrolled: 1-line block ×8, first 2 shown]
.LBB291_106:
	s_or_b64 exec, exec, s[34:35]
	s_sub_i32 s6, s29, s28
	s_mov_b32 s29, 0
	s_lshl_b64 s[0:1], s[28:29], 1
	s_add_u32 s0, s26, s0
	v_and_b32_e32 v9, 0xfc, v0
	s_addc_u32 s1, s27, s1
	v_lshl_add_u32 v3, v3, 1, v9
	s_cmpk_gt_u32 s6, 0xfff
	s_barrier
	ds_write2_b32 v3, v23, v21 offset1:1
	ds_write2_b32 v3, v19, v17 offset0:2 offset1:3
	ds_write2_b32 v3, v15, v13 offset0:4 offset1:5
	;; [unrolled: 1-line block ×3, first 2 shown]
	v_lshrrev_b32_e32 v32, 5, v2
	v_lshrrev_b32_e32 v31, 5, v4
	;; [unrolled: 1-line block ×15, first 2 shown]
	s_waitcnt lgkmcnt(0)
	s_cbranch_scc0 .LBB291_108
; %bb.107:
	v_lshrrev_b32_e32 v3, 5, v0
	v_and_b32_e32 v3, 6, v3
	v_and_b32_e32 v33, 14, v32
	v_and_b32_e32 v34, 30, v31
	v_and_b32_e32 v35, 30, v29
	v_and_b32_e32 v36, 62, v27
	v_and_b32_e32 v37, 62, v25
	v_and_b32_e32 v38, 62, v23
	v_and_b32_e32 v39, 62, v21
	v_add_lshl_u32 v3, v3, v0, 1
	v_add_lshl_u32 v33, v33, v0, 1
	;; [unrolled: 1-line block ×8, first 2 shown]
	s_barrier
	ds_read_u16 v40, v3
	ds_read_u16 v33, v33 offset:512
	ds_read_u16 v34, v34 offset:1024
	;; [unrolled: 1-line block ×7, first 2 shown]
	v_and_b32_e32 v3, 0x5e, v19
	v_and_b32_e32 v41, 0x7e, v17
	;; [unrolled: 1-line block ×8, first 2 shown]
	v_add_lshl_u32 v3, v3, v0, 1
	v_add_lshl_u32 v41, v41, v0, 1
	;; [unrolled: 1-line block ×8, first 2 shown]
	ds_read_u16 v48, v3 offset:4096
	ds_read_u16 v41, v41 offset:4608
	;; [unrolled: 1-line block ×8, first 2 shown]
	v_mov_b32_e32 v47, s1
	v_add_co_u32_e32 v49, vcc, s0, v1
	v_addc_co_u32_e32 v47, vcc, 0, v47, vcc
	s_waitcnt lgkmcnt(14)
	global_store_short v1, v40, s[0:1]
	global_store_short v1, v33, s[0:1] offset:512
	s_waitcnt lgkmcnt(13)
	global_store_short v1, v34, s[0:1] offset:1024
	s_waitcnt lgkmcnt(12)
	;; [unrolled: 2-line block ×6, first 2 shown]
	global_store_short v1, v39, s[0:1] offset:3584
	v_add_co_u32_e32 v34, vcc, 0x1000, v49
	v_addc_co_u32_e32 v35, vcc, 0, v47, vcc
	s_waitcnt lgkmcnt(7)
	global_store_short v[34:35], v48, off
	s_waitcnt lgkmcnt(6)
	global_store_short v[34:35], v41, off offset:512
	s_waitcnt lgkmcnt(5)
	global_store_short v[34:35], v42, off offset:1024
	;; [unrolled: 2-line block ×6, first 2 shown]
	s_mov_b64 s[2:3], -1
	s_cbranch_execz .LBB291_109
	s_branch .LBB291_126
.LBB291_108:
	s_mov_b64 s[2:3], 0
                                        ; implicit-def: $vgpr3
.LBB291_109:
	s_waitcnt lgkmcnt(0)
	v_and_b32_e32 v3, 14, v32
	v_and_b32_e32 v31, 30, v31
	;; [unrolled: 1-line block ×8, first 2 shown]
	v_add_lshl_u32 v3, v3, v0, 1
	v_add_lshl_u32 v31, v31, v0, 1
	;; [unrolled: 1-line block ×8, first 2 shown]
	s_barrier
	ds_read_u16 v34, v3 offset:512
	ds_read_u16 v31, v31 offset:1024
	;; [unrolled: 1-line block ×8, first 2 shown]
	v_and_b32_e32 v3, 0x7e, v17
	v_add_lshl_u32 v3, v3, v0, 1
	v_and_b32_e32 v15, 0x7e, v15
	v_and_b32_e32 v13, 0x7e, v13
	;; [unrolled: 1-line block ×6, first 2 shown]
	v_add_lshl_u32 v17, v15, v0, 1
	v_add_lshl_u32 v32, v13, v0, 1
	;; [unrolled: 1-line block ×6, first 2 shown]
	ds_read_u16 v15, v3 offset:4608
	ds_read_u16 v13, v17 offset:5120
	;; [unrolled: 1-line block ×7, first 2 shown]
	v_mov_b32_e32 v17, s1
	v_add_co_u32_e32 v32, vcc, s0, v1
	v_addc_co_u32_e32 v33, vcc, 0, v17, vcc
	v_cmp_gt_u32_e32 vcc, s6, v0
	s_and_saveexec_b64 s[2:3], vcc
	s_cbranch_execnz .LBB291_129
; %bb.110:
	s_or_b64 exec, exec, s[2:3]
	v_cmp_gt_u32_e32 vcc, s6, v2
	s_and_saveexec_b64 s[2:3], vcc
	s_cbranch_execnz .LBB291_130
.LBB291_111:
	s_or_b64 exec, exec, s[2:3]
	v_cmp_gt_u32_e32 vcc, s6, v4
	s_and_saveexec_b64 s[2:3], vcc
	s_cbranch_execnz .LBB291_131
.LBB291_112:
	s_or_b64 exec, exec, s[2:3]
	v_cmp_gt_u32_e32 vcc, s6, v6
	s_and_saveexec_b64 s[2:3], vcc
	s_cbranch_execnz .LBB291_132
.LBB291_113:
	s_or_b64 exec, exec, s[2:3]
	v_cmp_gt_u32_e32 vcc, s6, v8
	s_and_saveexec_b64 s[2:3], vcc
	s_cbranch_execnz .LBB291_133
.LBB291_114:
	s_or_b64 exec, exec, s[2:3]
	v_cmp_gt_u32_e32 vcc, s6, v10
	s_and_saveexec_b64 s[2:3], vcc
	s_cbranch_execnz .LBB291_134
.LBB291_115:
	s_or_b64 exec, exec, s[2:3]
	v_cmp_gt_u32_e32 vcc, s6, v12
	s_and_saveexec_b64 s[2:3], vcc
	s_cbranch_execnz .LBB291_135
.LBB291_116:
	s_or_b64 exec, exec, s[2:3]
	v_cmp_gt_u32_e32 vcc, s6, v14
	s_and_saveexec_b64 s[2:3], vcc
	s_cbranch_execnz .LBB291_136
.LBB291_117:
	s_or_b64 exec, exec, s[2:3]
	v_cmp_gt_u32_e32 vcc, s6, v16
	s_and_saveexec_b64 s[2:3], vcc
	s_cbranch_execnz .LBB291_137
.LBB291_118:
	s_or_b64 exec, exec, s[2:3]
	v_cmp_gt_u32_e32 vcc, s6, v18
	s_and_saveexec_b64 s[2:3], vcc
	s_cbranch_execnz .LBB291_138
.LBB291_119:
	s_or_b64 exec, exec, s[2:3]
	v_cmp_gt_u32_e32 vcc, s6, v20
	s_and_saveexec_b64 s[2:3], vcc
	s_cbranch_execnz .LBB291_139
.LBB291_120:
	s_or_b64 exec, exec, s[2:3]
	v_cmp_gt_u32_e32 vcc, s6, v22
	s_and_saveexec_b64 s[2:3], vcc
	s_cbranch_execnz .LBB291_140
.LBB291_121:
	s_or_b64 exec, exec, s[2:3]
	v_cmp_gt_u32_e32 vcc, s6, v24
	s_and_saveexec_b64 s[2:3], vcc
	s_cbranch_execnz .LBB291_141
.LBB291_122:
	s_or_b64 exec, exec, s[2:3]
	v_cmp_gt_u32_e32 vcc, s6, v26
	s_and_saveexec_b64 s[2:3], vcc
	s_cbranch_execnz .LBB291_142
.LBB291_123:
	s_or_b64 exec, exec, s[2:3]
	v_cmp_gt_u32_e32 vcc, s6, v28
	s_and_saveexec_b64 s[2:3], vcc
	s_cbranch_execz .LBB291_125
.LBB291_124:
	v_add_co_u32_e32 v6, vcc, 0x1000, v32
	s_waitcnt lgkmcnt(2)
	v_addc_co_u32_e32 v7, vcc, 0, v33, vcc
	s_waitcnt lgkmcnt(1)
	global_store_short v[6:7], v5, off offset:3072
.LBB291_125:
	s_or_b64 exec, exec, s[2:3]
	v_cmp_gt_u32_e64 s[2:3], s6, v30
.LBB291_126:
	s_and_saveexec_b64 s[4:5], s[2:3]
	s_cbranch_execnz .LBB291_128
; %bb.127:
	s_endpgm
.LBB291_128:
	v_mov_b32_e32 v0, s1
	v_add_co_u32_e32 v1, vcc, s0, v1
	v_addc_co_u32_e32 v2, vcc, 0, v0, vcc
	v_add_co_u32_e32 v0, vcc, 0x1000, v1
	v_addc_co_u32_e32 v1, vcc, 0, v2, vcc
	s_waitcnt lgkmcnt(0)
	global_store_short v[0:1], v3, off offset:3584
	s_endpgm
.LBB291_129:
	v_lshrrev_b32_e32 v17, 5, v0
	v_and_b32_e32 v17, 6, v17
	v_add_lshl_u32 v0, v17, v0, 1
	ds_read_u16 v0, v0
	s_waitcnt lgkmcnt(0)
	global_store_short v[32:33], v0, off
	s_or_b64 exec, exec, s[2:3]
	v_cmp_gt_u32_e32 vcc, s6, v2
	s_and_saveexec_b64 s[2:3], vcc
	s_cbranch_execz .LBB291_111
.LBB291_130:
	s_waitcnt lgkmcnt(14)
	global_store_short v[32:33], v34, off offset:512
	s_or_b64 exec, exec, s[2:3]
	v_cmp_gt_u32_e32 vcc, s6, v4
	s_and_saveexec_b64 s[2:3], vcc
	s_cbranch_execz .LBB291_112
.LBB291_131:
	s_waitcnt lgkmcnt(13)
	global_store_short v[32:33], v31, off offset:1024
	s_or_b64 exec, exec, s[2:3]
	v_cmp_gt_u32_e32 vcc, s6, v6
	s_and_saveexec_b64 s[2:3], vcc
	s_cbranch_execz .LBB291_113
.LBB291_132:
	s_waitcnt lgkmcnt(12)
	global_store_short v[32:33], v29, off offset:1536
	s_or_b64 exec, exec, s[2:3]
	v_cmp_gt_u32_e32 vcc, s6, v8
	s_and_saveexec_b64 s[2:3], vcc
	s_cbranch_execz .LBB291_114
.LBB291_133:
	s_waitcnt lgkmcnt(11)
	global_store_short v[32:33], v27, off offset:2048
	s_or_b64 exec, exec, s[2:3]
	v_cmp_gt_u32_e32 vcc, s6, v10
	s_and_saveexec_b64 s[2:3], vcc
	s_cbranch_execz .LBB291_115
.LBB291_134:
	s_waitcnt lgkmcnt(10)
	global_store_short v[32:33], v25, off offset:2560
	s_or_b64 exec, exec, s[2:3]
	v_cmp_gt_u32_e32 vcc, s6, v12
	s_and_saveexec_b64 s[2:3], vcc
	s_cbranch_execz .LBB291_116
.LBB291_135:
	s_waitcnt lgkmcnt(9)
	global_store_short v[32:33], v23, off offset:3072
	s_or_b64 exec, exec, s[2:3]
	v_cmp_gt_u32_e32 vcc, s6, v14
	s_and_saveexec_b64 s[2:3], vcc
	s_cbranch_execz .LBB291_117
.LBB291_136:
	s_waitcnt lgkmcnt(8)
	global_store_short v[32:33], v21, off offset:3584
	s_or_b64 exec, exec, s[2:3]
	v_cmp_gt_u32_e32 vcc, s6, v16
	s_and_saveexec_b64 s[2:3], vcc
	s_cbranch_execz .LBB291_118
.LBB291_137:
	v_add_co_u32_e32 v16, vcc, 0x1000, v32
	v_addc_co_u32_e32 v17, vcc, 0, v33, vcc
	s_waitcnt lgkmcnt(7)
	global_store_short v[16:17], v19, off
	s_or_b64 exec, exec, s[2:3]
	v_cmp_gt_u32_e32 vcc, s6, v18
	s_and_saveexec_b64 s[2:3], vcc
	s_cbranch_execz .LBB291_119
.LBB291_138:
	v_add_co_u32_e32 v16, vcc, 0x1000, v32
	v_addc_co_u32_e32 v17, vcc, 0, v33, vcc
	s_waitcnt lgkmcnt(6)
	global_store_short v[16:17], v15, off offset:512
	s_or_b64 exec, exec, s[2:3]
	v_cmp_gt_u32_e32 vcc, s6, v20
	s_and_saveexec_b64 s[2:3], vcc
	s_cbranch_execz .LBB291_120
.LBB291_139:
	v_add_co_u32_e32 v14, vcc, 0x1000, v32
	s_waitcnt lgkmcnt(6)
	v_addc_co_u32_e32 v15, vcc, 0, v33, vcc
	s_waitcnt lgkmcnt(5)
	global_store_short v[14:15], v13, off offset:1024
	s_or_b64 exec, exec, s[2:3]
	v_cmp_gt_u32_e32 vcc, s6, v22
	s_and_saveexec_b64 s[2:3], vcc
	s_cbranch_execz .LBB291_121
.LBB291_140:
	v_add_co_u32_e32 v12, vcc, 0x1000, v32
	s_waitcnt lgkmcnt(5)
	v_addc_co_u32_e32 v13, vcc, 0, v33, vcc
	s_waitcnt lgkmcnt(4)
	global_store_short v[12:13], v11, off offset:1536
	s_or_b64 exec, exec, s[2:3]
	v_cmp_gt_u32_e32 vcc, s6, v24
	s_and_saveexec_b64 s[2:3], vcc
	s_cbranch_execz .LBB291_122
.LBB291_141:
	v_add_co_u32_e32 v10, vcc, 0x1000, v32
	s_waitcnt lgkmcnt(4)
	v_addc_co_u32_e32 v11, vcc, 0, v33, vcc
	s_waitcnt lgkmcnt(3)
	global_store_short v[10:11], v9, off offset:2048
	s_or_b64 exec, exec, s[2:3]
	v_cmp_gt_u32_e32 vcc, s6, v26
	s_and_saveexec_b64 s[2:3], vcc
	s_cbranch_execz .LBB291_123
.LBB291_142:
	v_add_co_u32_e32 v8, vcc, 0x1000, v32
	s_waitcnt lgkmcnt(3)
	v_addc_co_u32_e32 v9, vcc, 0, v33, vcc
	s_waitcnt lgkmcnt(2)
	global_store_short v[8:9], v7, off offset:2560
	s_or_b64 exec, exec, s[2:3]
	v_cmp_gt_u32_e32 vcc, s6, v28
	s_and_saveexec_b64 s[2:3], vcc
	s_cbranch_execnz .LBB291_124
	s_branch .LBB291_125
	.section	.rodata,"a",@progbits
	.p2align	6, 0x0
	.amdhsa_kernel _ZN7rocprim17ROCPRIM_400000_NS6detail17trampoline_kernelINS0_14default_configENS1_21merge_config_selectorIsNS0_10empty_typeEEEZNS1_10merge_implIS3_N6thrust23THRUST_200600_302600_NS6detail15normal_iteratorINS9_10device_ptrIKsEEEESF_NSB_INSC_IsEEEEPS5_SI_SI_NS9_4lessIsEEEE10hipError_tPvRmT0_T1_T2_T3_T4_T5_mmT6_P12ihipStream_tbEUlT_E0_NS1_11comp_targetILNS1_3genE4ELNS1_11target_archE910ELNS1_3gpuE8ELNS1_3repE0EEENS1_30default_config_static_selectorELNS0_4arch9wavefront6targetE1EEEvSP_
		.amdhsa_group_segment_fixed_size 8448
		.amdhsa_private_segment_fixed_size 0
		.amdhsa_kernarg_size 88
		.amdhsa_user_sgpr_count 6
		.amdhsa_user_sgpr_private_segment_buffer 1
		.amdhsa_user_sgpr_dispatch_ptr 0
		.amdhsa_user_sgpr_queue_ptr 0
		.amdhsa_user_sgpr_kernarg_segment_ptr 1
		.amdhsa_user_sgpr_dispatch_id 0
		.amdhsa_user_sgpr_flat_scratch_init 0
		.amdhsa_user_sgpr_kernarg_preload_length 0
		.amdhsa_user_sgpr_kernarg_preload_offset 0
		.amdhsa_user_sgpr_private_segment_size 0
		.amdhsa_uses_dynamic_stack 0
		.amdhsa_system_sgpr_private_segment_wavefront_offset 0
		.amdhsa_system_sgpr_workgroup_id_x 1
		.amdhsa_system_sgpr_workgroup_id_y 0
		.amdhsa_system_sgpr_workgroup_id_z 0
		.amdhsa_system_sgpr_workgroup_info 0
		.amdhsa_system_vgpr_workitem_id 0
		.amdhsa_next_free_vgpr 50
		.amdhsa_next_free_sgpr 36
		.amdhsa_accum_offset 52
		.amdhsa_reserve_vcc 1
		.amdhsa_reserve_flat_scratch 0
		.amdhsa_float_round_mode_32 0
		.amdhsa_float_round_mode_16_64 0
		.amdhsa_float_denorm_mode_32 3
		.amdhsa_float_denorm_mode_16_64 3
		.amdhsa_dx10_clamp 1
		.amdhsa_ieee_mode 1
		.amdhsa_fp16_overflow 0
		.amdhsa_tg_split 0
		.amdhsa_exception_fp_ieee_invalid_op 0
		.amdhsa_exception_fp_denorm_src 0
		.amdhsa_exception_fp_ieee_div_zero 0
		.amdhsa_exception_fp_ieee_overflow 0
		.amdhsa_exception_fp_ieee_underflow 0
		.amdhsa_exception_fp_ieee_inexact 0
		.amdhsa_exception_int_div_zero 0
	.end_amdhsa_kernel
	.section	.text._ZN7rocprim17ROCPRIM_400000_NS6detail17trampoline_kernelINS0_14default_configENS1_21merge_config_selectorIsNS0_10empty_typeEEEZNS1_10merge_implIS3_N6thrust23THRUST_200600_302600_NS6detail15normal_iteratorINS9_10device_ptrIKsEEEESF_NSB_INSC_IsEEEEPS5_SI_SI_NS9_4lessIsEEEE10hipError_tPvRmT0_T1_T2_T3_T4_T5_mmT6_P12ihipStream_tbEUlT_E0_NS1_11comp_targetILNS1_3genE4ELNS1_11target_archE910ELNS1_3gpuE8ELNS1_3repE0EEENS1_30default_config_static_selectorELNS0_4arch9wavefront6targetE1EEEvSP_,"axG",@progbits,_ZN7rocprim17ROCPRIM_400000_NS6detail17trampoline_kernelINS0_14default_configENS1_21merge_config_selectorIsNS0_10empty_typeEEEZNS1_10merge_implIS3_N6thrust23THRUST_200600_302600_NS6detail15normal_iteratorINS9_10device_ptrIKsEEEESF_NSB_INSC_IsEEEEPS5_SI_SI_NS9_4lessIsEEEE10hipError_tPvRmT0_T1_T2_T3_T4_T5_mmT6_P12ihipStream_tbEUlT_E0_NS1_11comp_targetILNS1_3genE4ELNS1_11target_archE910ELNS1_3gpuE8ELNS1_3repE0EEENS1_30default_config_static_selectorELNS0_4arch9wavefront6targetE1EEEvSP_,comdat
.Lfunc_end291:
	.size	_ZN7rocprim17ROCPRIM_400000_NS6detail17trampoline_kernelINS0_14default_configENS1_21merge_config_selectorIsNS0_10empty_typeEEEZNS1_10merge_implIS3_N6thrust23THRUST_200600_302600_NS6detail15normal_iteratorINS9_10device_ptrIKsEEEESF_NSB_INSC_IsEEEEPS5_SI_SI_NS9_4lessIsEEEE10hipError_tPvRmT0_T1_T2_T3_T4_T5_mmT6_P12ihipStream_tbEUlT_E0_NS1_11comp_targetILNS1_3genE4ELNS1_11target_archE910ELNS1_3gpuE8ELNS1_3repE0EEENS1_30default_config_static_selectorELNS0_4arch9wavefront6targetE1EEEvSP_, .Lfunc_end291-_ZN7rocprim17ROCPRIM_400000_NS6detail17trampoline_kernelINS0_14default_configENS1_21merge_config_selectorIsNS0_10empty_typeEEEZNS1_10merge_implIS3_N6thrust23THRUST_200600_302600_NS6detail15normal_iteratorINS9_10device_ptrIKsEEEESF_NSB_INSC_IsEEEEPS5_SI_SI_NS9_4lessIsEEEE10hipError_tPvRmT0_T1_T2_T3_T4_T5_mmT6_P12ihipStream_tbEUlT_E0_NS1_11comp_targetILNS1_3genE4ELNS1_11target_archE910ELNS1_3gpuE8ELNS1_3repE0EEENS1_30default_config_static_selectorELNS0_4arch9wavefront6targetE1EEEvSP_
                                        ; -- End function
	.section	.AMDGPU.csdata,"",@progbits
; Kernel info:
; codeLenInByte = 6164
; NumSgprs: 40
; NumVgprs: 50
; NumAgprs: 0
; TotalNumVgprs: 50
; ScratchSize: 0
; MemoryBound: 0
; FloatMode: 240
; IeeeMode: 1
; LDSByteSize: 8448 bytes/workgroup (compile time only)
; SGPRBlocks: 4
; VGPRBlocks: 6
; NumSGPRsForWavesPerEU: 40
; NumVGPRsForWavesPerEU: 50
; AccumOffset: 52
; Occupancy: 7
; WaveLimiterHint : 1
; COMPUTE_PGM_RSRC2:SCRATCH_EN: 0
; COMPUTE_PGM_RSRC2:USER_SGPR: 6
; COMPUTE_PGM_RSRC2:TRAP_HANDLER: 0
; COMPUTE_PGM_RSRC2:TGID_X_EN: 1
; COMPUTE_PGM_RSRC2:TGID_Y_EN: 0
; COMPUTE_PGM_RSRC2:TGID_Z_EN: 0
; COMPUTE_PGM_RSRC2:TIDIG_COMP_CNT: 0
; COMPUTE_PGM_RSRC3_GFX90A:ACCUM_OFFSET: 12
; COMPUTE_PGM_RSRC3_GFX90A:TG_SPLIT: 0
	.section	.text._ZN7rocprim17ROCPRIM_400000_NS6detail17trampoline_kernelINS0_14default_configENS1_21merge_config_selectorIsNS0_10empty_typeEEEZNS1_10merge_implIS3_N6thrust23THRUST_200600_302600_NS6detail15normal_iteratorINS9_10device_ptrIKsEEEESF_NSB_INSC_IsEEEEPS5_SI_SI_NS9_4lessIsEEEE10hipError_tPvRmT0_T1_T2_T3_T4_T5_mmT6_P12ihipStream_tbEUlT_E0_NS1_11comp_targetILNS1_3genE3ELNS1_11target_archE908ELNS1_3gpuE7ELNS1_3repE0EEENS1_30default_config_static_selectorELNS0_4arch9wavefront6targetE1EEEvSP_,"axG",@progbits,_ZN7rocprim17ROCPRIM_400000_NS6detail17trampoline_kernelINS0_14default_configENS1_21merge_config_selectorIsNS0_10empty_typeEEEZNS1_10merge_implIS3_N6thrust23THRUST_200600_302600_NS6detail15normal_iteratorINS9_10device_ptrIKsEEEESF_NSB_INSC_IsEEEEPS5_SI_SI_NS9_4lessIsEEEE10hipError_tPvRmT0_T1_T2_T3_T4_T5_mmT6_P12ihipStream_tbEUlT_E0_NS1_11comp_targetILNS1_3genE3ELNS1_11target_archE908ELNS1_3gpuE7ELNS1_3repE0EEENS1_30default_config_static_selectorELNS0_4arch9wavefront6targetE1EEEvSP_,comdat
	.protected	_ZN7rocprim17ROCPRIM_400000_NS6detail17trampoline_kernelINS0_14default_configENS1_21merge_config_selectorIsNS0_10empty_typeEEEZNS1_10merge_implIS3_N6thrust23THRUST_200600_302600_NS6detail15normal_iteratorINS9_10device_ptrIKsEEEESF_NSB_INSC_IsEEEEPS5_SI_SI_NS9_4lessIsEEEE10hipError_tPvRmT0_T1_T2_T3_T4_T5_mmT6_P12ihipStream_tbEUlT_E0_NS1_11comp_targetILNS1_3genE3ELNS1_11target_archE908ELNS1_3gpuE7ELNS1_3repE0EEENS1_30default_config_static_selectorELNS0_4arch9wavefront6targetE1EEEvSP_ ; -- Begin function _ZN7rocprim17ROCPRIM_400000_NS6detail17trampoline_kernelINS0_14default_configENS1_21merge_config_selectorIsNS0_10empty_typeEEEZNS1_10merge_implIS3_N6thrust23THRUST_200600_302600_NS6detail15normal_iteratorINS9_10device_ptrIKsEEEESF_NSB_INSC_IsEEEEPS5_SI_SI_NS9_4lessIsEEEE10hipError_tPvRmT0_T1_T2_T3_T4_T5_mmT6_P12ihipStream_tbEUlT_E0_NS1_11comp_targetILNS1_3genE3ELNS1_11target_archE908ELNS1_3gpuE7ELNS1_3repE0EEENS1_30default_config_static_selectorELNS0_4arch9wavefront6targetE1EEEvSP_
	.globl	_ZN7rocprim17ROCPRIM_400000_NS6detail17trampoline_kernelINS0_14default_configENS1_21merge_config_selectorIsNS0_10empty_typeEEEZNS1_10merge_implIS3_N6thrust23THRUST_200600_302600_NS6detail15normal_iteratorINS9_10device_ptrIKsEEEESF_NSB_INSC_IsEEEEPS5_SI_SI_NS9_4lessIsEEEE10hipError_tPvRmT0_T1_T2_T3_T4_T5_mmT6_P12ihipStream_tbEUlT_E0_NS1_11comp_targetILNS1_3genE3ELNS1_11target_archE908ELNS1_3gpuE7ELNS1_3repE0EEENS1_30default_config_static_selectorELNS0_4arch9wavefront6targetE1EEEvSP_
	.p2align	8
	.type	_ZN7rocprim17ROCPRIM_400000_NS6detail17trampoline_kernelINS0_14default_configENS1_21merge_config_selectorIsNS0_10empty_typeEEEZNS1_10merge_implIS3_N6thrust23THRUST_200600_302600_NS6detail15normal_iteratorINS9_10device_ptrIKsEEEESF_NSB_INSC_IsEEEEPS5_SI_SI_NS9_4lessIsEEEE10hipError_tPvRmT0_T1_T2_T3_T4_T5_mmT6_P12ihipStream_tbEUlT_E0_NS1_11comp_targetILNS1_3genE3ELNS1_11target_archE908ELNS1_3gpuE7ELNS1_3repE0EEENS1_30default_config_static_selectorELNS0_4arch9wavefront6targetE1EEEvSP_,@function
_ZN7rocprim17ROCPRIM_400000_NS6detail17trampoline_kernelINS0_14default_configENS1_21merge_config_selectorIsNS0_10empty_typeEEEZNS1_10merge_implIS3_N6thrust23THRUST_200600_302600_NS6detail15normal_iteratorINS9_10device_ptrIKsEEEESF_NSB_INSC_IsEEEEPS5_SI_SI_NS9_4lessIsEEEE10hipError_tPvRmT0_T1_T2_T3_T4_T5_mmT6_P12ihipStream_tbEUlT_E0_NS1_11comp_targetILNS1_3genE3ELNS1_11target_archE908ELNS1_3gpuE7ELNS1_3repE0EEENS1_30default_config_static_selectorELNS0_4arch9wavefront6targetE1EEEvSP_: ; @_ZN7rocprim17ROCPRIM_400000_NS6detail17trampoline_kernelINS0_14default_configENS1_21merge_config_selectorIsNS0_10empty_typeEEEZNS1_10merge_implIS3_N6thrust23THRUST_200600_302600_NS6detail15normal_iteratorINS9_10device_ptrIKsEEEESF_NSB_INSC_IsEEEEPS5_SI_SI_NS9_4lessIsEEEE10hipError_tPvRmT0_T1_T2_T3_T4_T5_mmT6_P12ihipStream_tbEUlT_E0_NS1_11comp_targetILNS1_3genE3ELNS1_11target_archE908ELNS1_3gpuE7ELNS1_3repE0EEENS1_30default_config_static_selectorELNS0_4arch9wavefront6targetE1EEEvSP_
; %bb.0:
	.section	.rodata,"a",@progbits
	.p2align	6, 0x0
	.amdhsa_kernel _ZN7rocprim17ROCPRIM_400000_NS6detail17trampoline_kernelINS0_14default_configENS1_21merge_config_selectorIsNS0_10empty_typeEEEZNS1_10merge_implIS3_N6thrust23THRUST_200600_302600_NS6detail15normal_iteratorINS9_10device_ptrIKsEEEESF_NSB_INSC_IsEEEEPS5_SI_SI_NS9_4lessIsEEEE10hipError_tPvRmT0_T1_T2_T3_T4_T5_mmT6_P12ihipStream_tbEUlT_E0_NS1_11comp_targetILNS1_3genE3ELNS1_11target_archE908ELNS1_3gpuE7ELNS1_3repE0EEENS1_30default_config_static_selectorELNS0_4arch9wavefront6targetE1EEEvSP_
		.amdhsa_group_segment_fixed_size 0
		.amdhsa_private_segment_fixed_size 0
		.amdhsa_kernarg_size 88
		.amdhsa_user_sgpr_count 6
		.amdhsa_user_sgpr_private_segment_buffer 1
		.amdhsa_user_sgpr_dispatch_ptr 0
		.amdhsa_user_sgpr_queue_ptr 0
		.amdhsa_user_sgpr_kernarg_segment_ptr 1
		.amdhsa_user_sgpr_dispatch_id 0
		.amdhsa_user_sgpr_flat_scratch_init 0
		.amdhsa_user_sgpr_kernarg_preload_length 0
		.amdhsa_user_sgpr_kernarg_preload_offset 0
		.amdhsa_user_sgpr_private_segment_size 0
		.amdhsa_uses_dynamic_stack 0
		.amdhsa_system_sgpr_private_segment_wavefront_offset 0
		.amdhsa_system_sgpr_workgroup_id_x 1
		.amdhsa_system_sgpr_workgroup_id_y 0
		.amdhsa_system_sgpr_workgroup_id_z 0
		.amdhsa_system_sgpr_workgroup_info 0
		.amdhsa_system_vgpr_workitem_id 0
		.amdhsa_next_free_vgpr 1
		.amdhsa_next_free_sgpr 0
		.amdhsa_accum_offset 4
		.amdhsa_reserve_vcc 0
		.amdhsa_reserve_flat_scratch 0
		.amdhsa_float_round_mode_32 0
		.amdhsa_float_round_mode_16_64 0
		.amdhsa_float_denorm_mode_32 3
		.amdhsa_float_denorm_mode_16_64 3
		.amdhsa_dx10_clamp 1
		.amdhsa_ieee_mode 1
		.amdhsa_fp16_overflow 0
		.amdhsa_tg_split 0
		.amdhsa_exception_fp_ieee_invalid_op 0
		.amdhsa_exception_fp_denorm_src 0
		.amdhsa_exception_fp_ieee_div_zero 0
		.amdhsa_exception_fp_ieee_overflow 0
		.amdhsa_exception_fp_ieee_underflow 0
		.amdhsa_exception_fp_ieee_inexact 0
		.amdhsa_exception_int_div_zero 0
	.end_amdhsa_kernel
	.section	.text._ZN7rocprim17ROCPRIM_400000_NS6detail17trampoline_kernelINS0_14default_configENS1_21merge_config_selectorIsNS0_10empty_typeEEEZNS1_10merge_implIS3_N6thrust23THRUST_200600_302600_NS6detail15normal_iteratorINS9_10device_ptrIKsEEEESF_NSB_INSC_IsEEEEPS5_SI_SI_NS9_4lessIsEEEE10hipError_tPvRmT0_T1_T2_T3_T4_T5_mmT6_P12ihipStream_tbEUlT_E0_NS1_11comp_targetILNS1_3genE3ELNS1_11target_archE908ELNS1_3gpuE7ELNS1_3repE0EEENS1_30default_config_static_selectorELNS0_4arch9wavefront6targetE1EEEvSP_,"axG",@progbits,_ZN7rocprim17ROCPRIM_400000_NS6detail17trampoline_kernelINS0_14default_configENS1_21merge_config_selectorIsNS0_10empty_typeEEEZNS1_10merge_implIS3_N6thrust23THRUST_200600_302600_NS6detail15normal_iteratorINS9_10device_ptrIKsEEEESF_NSB_INSC_IsEEEEPS5_SI_SI_NS9_4lessIsEEEE10hipError_tPvRmT0_T1_T2_T3_T4_T5_mmT6_P12ihipStream_tbEUlT_E0_NS1_11comp_targetILNS1_3genE3ELNS1_11target_archE908ELNS1_3gpuE7ELNS1_3repE0EEENS1_30default_config_static_selectorELNS0_4arch9wavefront6targetE1EEEvSP_,comdat
.Lfunc_end292:
	.size	_ZN7rocprim17ROCPRIM_400000_NS6detail17trampoline_kernelINS0_14default_configENS1_21merge_config_selectorIsNS0_10empty_typeEEEZNS1_10merge_implIS3_N6thrust23THRUST_200600_302600_NS6detail15normal_iteratorINS9_10device_ptrIKsEEEESF_NSB_INSC_IsEEEEPS5_SI_SI_NS9_4lessIsEEEE10hipError_tPvRmT0_T1_T2_T3_T4_T5_mmT6_P12ihipStream_tbEUlT_E0_NS1_11comp_targetILNS1_3genE3ELNS1_11target_archE908ELNS1_3gpuE7ELNS1_3repE0EEENS1_30default_config_static_selectorELNS0_4arch9wavefront6targetE1EEEvSP_, .Lfunc_end292-_ZN7rocprim17ROCPRIM_400000_NS6detail17trampoline_kernelINS0_14default_configENS1_21merge_config_selectorIsNS0_10empty_typeEEEZNS1_10merge_implIS3_N6thrust23THRUST_200600_302600_NS6detail15normal_iteratorINS9_10device_ptrIKsEEEESF_NSB_INSC_IsEEEEPS5_SI_SI_NS9_4lessIsEEEE10hipError_tPvRmT0_T1_T2_T3_T4_T5_mmT6_P12ihipStream_tbEUlT_E0_NS1_11comp_targetILNS1_3genE3ELNS1_11target_archE908ELNS1_3gpuE7ELNS1_3repE0EEENS1_30default_config_static_selectorELNS0_4arch9wavefront6targetE1EEEvSP_
                                        ; -- End function
	.section	.AMDGPU.csdata,"",@progbits
; Kernel info:
; codeLenInByte = 0
; NumSgprs: 4
; NumVgprs: 0
; NumAgprs: 0
; TotalNumVgprs: 0
; ScratchSize: 0
; MemoryBound: 0
; FloatMode: 240
; IeeeMode: 1
; LDSByteSize: 0 bytes/workgroup (compile time only)
; SGPRBlocks: 0
; VGPRBlocks: 0
; NumSGPRsForWavesPerEU: 4
; NumVGPRsForWavesPerEU: 1
; AccumOffset: 4
; Occupancy: 8
; WaveLimiterHint : 0
; COMPUTE_PGM_RSRC2:SCRATCH_EN: 0
; COMPUTE_PGM_RSRC2:USER_SGPR: 6
; COMPUTE_PGM_RSRC2:TRAP_HANDLER: 0
; COMPUTE_PGM_RSRC2:TGID_X_EN: 1
; COMPUTE_PGM_RSRC2:TGID_Y_EN: 0
; COMPUTE_PGM_RSRC2:TGID_Z_EN: 0
; COMPUTE_PGM_RSRC2:TIDIG_COMP_CNT: 0
; COMPUTE_PGM_RSRC3_GFX90A:ACCUM_OFFSET: 0
; COMPUTE_PGM_RSRC3_GFX90A:TG_SPLIT: 0
	.section	.text._ZN7rocprim17ROCPRIM_400000_NS6detail17trampoline_kernelINS0_14default_configENS1_21merge_config_selectorIsNS0_10empty_typeEEEZNS1_10merge_implIS3_N6thrust23THRUST_200600_302600_NS6detail15normal_iteratorINS9_10device_ptrIKsEEEESF_NSB_INSC_IsEEEEPS5_SI_SI_NS9_4lessIsEEEE10hipError_tPvRmT0_T1_T2_T3_T4_T5_mmT6_P12ihipStream_tbEUlT_E0_NS1_11comp_targetILNS1_3genE2ELNS1_11target_archE906ELNS1_3gpuE6ELNS1_3repE0EEENS1_30default_config_static_selectorELNS0_4arch9wavefront6targetE1EEEvSP_,"axG",@progbits,_ZN7rocprim17ROCPRIM_400000_NS6detail17trampoline_kernelINS0_14default_configENS1_21merge_config_selectorIsNS0_10empty_typeEEEZNS1_10merge_implIS3_N6thrust23THRUST_200600_302600_NS6detail15normal_iteratorINS9_10device_ptrIKsEEEESF_NSB_INSC_IsEEEEPS5_SI_SI_NS9_4lessIsEEEE10hipError_tPvRmT0_T1_T2_T3_T4_T5_mmT6_P12ihipStream_tbEUlT_E0_NS1_11comp_targetILNS1_3genE2ELNS1_11target_archE906ELNS1_3gpuE6ELNS1_3repE0EEENS1_30default_config_static_selectorELNS0_4arch9wavefront6targetE1EEEvSP_,comdat
	.protected	_ZN7rocprim17ROCPRIM_400000_NS6detail17trampoline_kernelINS0_14default_configENS1_21merge_config_selectorIsNS0_10empty_typeEEEZNS1_10merge_implIS3_N6thrust23THRUST_200600_302600_NS6detail15normal_iteratorINS9_10device_ptrIKsEEEESF_NSB_INSC_IsEEEEPS5_SI_SI_NS9_4lessIsEEEE10hipError_tPvRmT0_T1_T2_T3_T4_T5_mmT6_P12ihipStream_tbEUlT_E0_NS1_11comp_targetILNS1_3genE2ELNS1_11target_archE906ELNS1_3gpuE6ELNS1_3repE0EEENS1_30default_config_static_selectorELNS0_4arch9wavefront6targetE1EEEvSP_ ; -- Begin function _ZN7rocprim17ROCPRIM_400000_NS6detail17trampoline_kernelINS0_14default_configENS1_21merge_config_selectorIsNS0_10empty_typeEEEZNS1_10merge_implIS3_N6thrust23THRUST_200600_302600_NS6detail15normal_iteratorINS9_10device_ptrIKsEEEESF_NSB_INSC_IsEEEEPS5_SI_SI_NS9_4lessIsEEEE10hipError_tPvRmT0_T1_T2_T3_T4_T5_mmT6_P12ihipStream_tbEUlT_E0_NS1_11comp_targetILNS1_3genE2ELNS1_11target_archE906ELNS1_3gpuE6ELNS1_3repE0EEENS1_30default_config_static_selectorELNS0_4arch9wavefront6targetE1EEEvSP_
	.globl	_ZN7rocprim17ROCPRIM_400000_NS6detail17trampoline_kernelINS0_14default_configENS1_21merge_config_selectorIsNS0_10empty_typeEEEZNS1_10merge_implIS3_N6thrust23THRUST_200600_302600_NS6detail15normal_iteratorINS9_10device_ptrIKsEEEESF_NSB_INSC_IsEEEEPS5_SI_SI_NS9_4lessIsEEEE10hipError_tPvRmT0_T1_T2_T3_T4_T5_mmT6_P12ihipStream_tbEUlT_E0_NS1_11comp_targetILNS1_3genE2ELNS1_11target_archE906ELNS1_3gpuE6ELNS1_3repE0EEENS1_30default_config_static_selectorELNS0_4arch9wavefront6targetE1EEEvSP_
	.p2align	8
	.type	_ZN7rocprim17ROCPRIM_400000_NS6detail17trampoline_kernelINS0_14default_configENS1_21merge_config_selectorIsNS0_10empty_typeEEEZNS1_10merge_implIS3_N6thrust23THRUST_200600_302600_NS6detail15normal_iteratorINS9_10device_ptrIKsEEEESF_NSB_INSC_IsEEEEPS5_SI_SI_NS9_4lessIsEEEE10hipError_tPvRmT0_T1_T2_T3_T4_T5_mmT6_P12ihipStream_tbEUlT_E0_NS1_11comp_targetILNS1_3genE2ELNS1_11target_archE906ELNS1_3gpuE6ELNS1_3repE0EEENS1_30default_config_static_selectorELNS0_4arch9wavefront6targetE1EEEvSP_,@function
_ZN7rocprim17ROCPRIM_400000_NS6detail17trampoline_kernelINS0_14default_configENS1_21merge_config_selectorIsNS0_10empty_typeEEEZNS1_10merge_implIS3_N6thrust23THRUST_200600_302600_NS6detail15normal_iteratorINS9_10device_ptrIKsEEEESF_NSB_INSC_IsEEEEPS5_SI_SI_NS9_4lessIsEEEE10hipError_tPvRmT0_T1_T2_T3_T4_T5_mmT6_P12ihipStream_tbEUlT_E0_NS1_11comp_targetILNS1_3genE2ELNS1_11target_archE906ELNS1_3gpuE6ELNS1_3repE0EEENS1_30default_config_static_selectorELNS0_4arch9wavefront6targetE1EEEvSP_: ; @_ZN7rocprim17ROCPRIM_400000_NS6detail17trampoline_kernelINS0_14default_configENS1_21merge_config_selectorIsNS0_10empty_typeEEEZNS1_10merge_implIS3_N6thrust23THRUST_200600_302600_NS6detail15normal_iteratorINS9_10device_ptrIKsEEEESF_NSB_INSC_IsEEEEPS5_SI_SI_NS9_4lessIsEEEE10hipError_tPvRmT0_T1_T2_T3_T4_T5_mmT6_P12ihipStream_tbEUlT_E0_NS1_11comp_targetILNS1_3genE2ELNS1_11target_archE906ELNS1_3gpuE6ELNS1_3repE0EEENS1_30default_config_static_selectorELNS0_4arch9wavefront6targetE1EEEvSP_
; %bb.0:
	.section	.rodata,"a",@progbits
	.p2align	6, 0x0
	.amdhsa_kernel _ZN7rocprim17ROCPRIM_400000_NS6detail17trampoline_kernelINS0_14default_configENS1_21merge_config_selectorIsNS0_10empty_typeEEEZNS1_10merge_implIS3_N6thrust23THRUST_200600_302600_NS6detail15normal_iteratorINS9_10device_ptrIKsEEEESF_NSB_INSC_IsEEEEPS5_SI_SI_NS9_4lessIsEEEE10hipError_tPvRmT0_T1_T2_T3_T4_T5_mmT6_P12ihipStream_tbEUlT_E0_NS1_11comp_targetILNS1_3genE2ELNS1_11target_archE906ELNS1_3gpuE6ELNS1_3repE0EEENS1_30default_config_static_selectorELNS0_4arch9wavefront6targetE1EEEvSP_
		.amdhsa_group_segment_fixed_size 0
		.amdhsa_private_segment_fixed_size 0
		.amdhsa_kernarg_size 88
		.amdhsa_user_sgpr_count 6
		.amdhsa_user_sgpr_private_segment_buffer 1
		.amdhsa_user_sgpr_dispatch_ptr 0
		.amdhsa_user_sgpr_queue_ptr 0
		.amdhsa_user_sgpr_kernarg_segment_ptr 1
		.amdhsa_user_sgpr_dispatch_id 0
		.amdhsa_user_sgpr_flat_scratch_init 0
		.amdhsa_user_sgpr_kernarg_preload_length 0
		.amdhsa_user_sgpr_kernarg_preload_offset 0
		.amdhsa_user_sgpr_private_segment_size 0
		.amdhsa_uses_dynamic_stack 0
		.amdhsa_system_sgpr_private_segment_wavefront_offset 0
		.amdhsa_system_sgpr_workgroup_id_x 1
		.amdhsa_system_sgpr_workgroup_id_y 0
		.amdhsa_system_sgpr_workgroup_id_z 0
		.amdhsa_system_sgpr_workgroup_info 0
		.amdhsa_system_vgpr_workitem_id 0
		.amdhsa_next_free_vgpr 1
		.amdhsa_next_free_sgpr 0
		.amdhsa_accum_offset 4
		.amdhsa_reserve_vcc 0
		.amdhsa_reserve_flat_scratch 0
		.amdhsa_float_round_mode_32 0
		.amdhsa_float_round_mode_16_64 0
		.amdhsa_float_denorm_mode_32 3
		.amdhsa_float_denorm_mode_16_64 3
		.amdhsa_dx10_clamp 1
		.amdhsa_ieee_mode 1
		.amdhsa_fp16_overflow 0
		.amdhsa_tg_split 0
		.amdhsa_exception_fp_ieee_invalid_op 0
		.amdhsa_exception_fp_denorm_src 0
		.amdhsa_exception_fp_ieee_div_zero 0
		.amdhsa_exception_fp_ieee_overflow 0
		.amdhsa_exception_fp_ieee_underflow 0
		.amdhsa_exception_fp_ieee_inexact 0
		.amdhsa_exception_int_div_zero 0
	.end_amdhsa_kernel
	.section	.text._ZN7rocprim17ROCPRIM_400000_NS6detail17trampoline_kernelINS0_14default_configENS1_21merge_config_selectorIsNS0_10empty_typeEEEZNS1_10merge_implIS3_N6thrust23THRUST_200600_302600_NS6detail15normal_iteratorINS9_10device_ptrIKsEEEESF_NSB_INSC_IsEEEEPS5_SI_SI_NS9_4lessIsEEEE10hipError_tPvRmT0_T1_T2_T3_T4_T5_mmT6_P12ihipStream_tbEUlT_E0_NS1_11comp_targetILNS1_3genE2ELNS1_11target_archE906ELNS1_3gpuE6ELNS1_3repE0EEENS1_30default_config_static_selectorELNS0_4arch9wavefront6targetE1EEEvSP_,"axG",@progbits,_ZN7rocprim17ROCPRIM_400000_NS6detail17trampoline_kernelINS0_14default_configENS1_21merge_config_selectorIsNS0_10empty_typeEEEZNS1_10merge_implIS3_N6thrust23THRUST_200600_302600_NS6detail15normal_iteratorINS9_10device_ptrIKsEEEESF_NSB_INSC_IsEEEEPS5_SI_SI_NS9_4lessIsEEEE10hipError_tPvRmT0_T1_T2_T3_T4_T5_mmT6_P12ihipStream_tbEUlT_E0_NS1_11comp_targetILNS1_3genE2ELNS1_11target_archE906ELNS1_3gpuE6ELNS1_3repE0EEENS1_30default_config_static_selectorELNS0_4arch9wavefront6targetE1EEEvSP_,comdat
.Lfunc_end293:
	.size	_ZN7rocprim17ROCPRIM_400000_NS6detail17trampoline_kernelINS0_14default_configENS1_21merge_config_selectorIsNS0_10empty_typeEEEZNS1_10merge_implIS3_N6thrust23THRUST_200600_302600_NS6detail15normal_iteratorINS9_10device_ptrIKsEEEESF_NSB_INSC_IsEEEEPS5_SI_SI_NS9_4lessIsEEEE10hipError_tPvRmT0_T1_T2_T3_T4_T5_mmT6_P12ihipStream_tbEUlT_E0_NS1_11comp_targetILNS1_3genE2ELNS1_11target_archE906ELNS1_3gpuE6ELNS1_3repE0EEENS1_30default_config_static_selectorELNS0_4arch9wavefront6targetE1EEEvSP_, .Lfunc_end293-_ZN7rocprim17ROCPRIM_400000_NS6detail17trampoline_kernelINS0_14default_configENS1_21merge_config_selectorIsNS0_10empty_typeEEEZNS1_10merge_implIS3_N6thrust23THRUST_200600_302600_NS6detail15normal_iteratorINS9_10device_ptrIKsEEEESF_NSB_INSC_IsEEEEPS5_SI_SI_NS9_4lessIsEEEE10hipError_tPvRmT0_T1_T2_T3_T4_T5_mmT6_P12ihipStream_tbEUlT_E0_NS1_11comp_targetILNS1_3genE2ELNS1_11target_archE906ELNS1_3gpuE6ELNS1_3repE0EEENS1_30default_config_static_selectorELNS0_4arch9wavefront6targetE1EEEvSP_
                                        ; -- End function
	.section	.AMDGPU.csdata,"",@progbits
; Kernel info:
; codeLenInByte = 0
; NumSgprs: 4
; NumVgprs: 0
; NumAgprs: 0
; TotalNumVgprs: 0
; ScratchSize: 0
; MemoryBound: 0
; FloatMode: 240
; IeeeMode: 1
; LDSByteSize: 0 bytes/workgroup (compile time only)
; SGPRBlocks: 0
; VGPRBlocks: 0
; NumSGPRsForWavesPerEU: 4
; NumVGPRsForWavesPerEU: 1
; AccumOffset: 4
; Occupancy: 8
; WaveLimiterHint : 0
; COMPUTE_PGM_RSRC2:SCRATCH_EN: 0
; COMPUTE_PGM_RSRC2:USER_SGPR: 6
; COMPUTE_PGM_RSRC2:TRAP_HANDLER: 0
; COMPUTE_PGM_RSRC2:TGID_X_EN: 1
; COMPUTE_PGM_RSRC2:TGID_Y_EN: 0
; COMPUTE_PGM_RSRC2:TGID_Z_EN: 0
; COMPUTE_PGM_RSRC2:TIDIG_COMP_CNT: 0
; COMPUTE_PGM_RSRC3_GFX90A:ACCUM_OFFSET: 0
; COMPUTE_PGM_RSRC3_GFX90A:TG_SPLIT: 0
	.section	.text._ZN7rocprim17ROCPRIM_400000_NS6detail17trampoline_kernelINS0_14default_configENS1_21merge_config_selectorIsNS0_10empty_typeEEEZNS1_10merge_implIS3_N6thrust23THRUST_200600_302600_NS6detail15normal_iteratorINS9_10device_ptrIKsEEEESF_NSB_INSC_IsEEEEPS5_SI_SI_NS9_4lessIsEEEE10hipError_tPvRmT0_T1_T2_T3_T4_T5_mmT6_P12ihipStream_tbEUlT_E0_NS1_11comp_targetILNS1_3genE10ELNS1_11target_archE1201ELNS1_3gpuE5ELNS1_3repE0EEENS1_30default_config_static_selectorELNS0_4arch9wavefront6targetE1EEEvSP_,"axG",@progbits,_ZN7rocprim17ROCPRIM_400000_NS6detail17trampoline_kernelINS0_14default_configENS1_21merge_config_selectorIsNS0_10empty_typeEEEZNS1_10merge_implIS3_N6thrust23THRUST_200600_302600_NS6detail15normal_iteratorINS9_10device_ptrIKsEEEESF_NSB_INSC_IsEEEEPS5_SI_SI_NS9_4lessIsEEEE10hipError_tPvRmT0_T1_T2_T3_T4_T5_mmT6_P12ihipStream_tbEUlT_E0_NS1_11comp_targetILNS1_3genE10ELNS1_11target_archE1201ELNS1_3gpuE5ELNS1_3repE0EEENS1_30default_config_static_selectorELNS0_4arch9wavefront6targetE1EEEvSP_,comdat
	.protected	_ZN7rocprim17ROCPRIM_400000_NS6detail17trampoline_kernelINS0_14default_configENS1_21merge_config_selectorIsNS0_10empty_typeEEEZNS1_10merge_implIS3_N6thrust23THRUST_200600_302600_NS6detail15normal_iteratorINS9_10device_ptrIKsEEEESF_NSB_INSC_IsEEEEPS5_SI_SI_NS9_4lessIsEEEE10hipError_tPvRmT0_T1_T2_T3_T4_T5_mmT6_P12ihipStream_tbEUlT_E0_NS1_11comp_targetILNS1_3genE10ELNS1_11target_archE1201ELNS1_3gpuE5ELNS1_3repE0EEENS1_30default_config_static_selectorELNS0_4arch9wavefront6targetE1EEEvSP_ ; -- Begin function _ZN7rocprim17ROCPRIM_400000_NS6detail17trampoline_kernelINS0_14default_configENS1_21merge_config_selectorIsNS0_10empty_typeEEEZNS1_10merge_implIS3_N6thrust23THRUST_200600_302600_NS6detail15normal_iteratorINS9_10device_ptrIKsEEEESF_NSB_INSC_IsEEEEPS5_SI_SI_NS9_4lessIsEEEE10hipError_tPvRmT0_T1_T2_T3_T4_T5_mmT6_P12ihipStream_tbEUlT_E0_NS1_11comp_targetILNS1_3genE10ELNS1_11target_archE1201ELNS1_3gpuE5ELNS1_3repE0EEENS1_30default_config_static_selectorELNS0_4arch9wavefront6targetE1EEEvSP_
	.globl	_ZN7rocprim17ROCPRIM_400000_NS6detail17trampoline_kernelINS0_14default_configENS1_21merge_config_selectorIsNS0_10empty_typeEEEZNS1_10merge_implIS3_N6thrust23THRUST_200600_302600_NS6detail15normal_iteratorINS9_10device_ptrIKsEEEESF_NSB_INSC_IsEEEEPS5_SI_SI_NS9_4lessIsEEEE10hipError_tPvRmT0_T1_T2_T3_T4_T5_mmT6_P12ihipStream_tbEUlT_E0_NS1_11comp_targetILNS1_3genE10ELNS1_11target_archE1201ELNS1_3gpuE5ELNS1_3repE0EEENS1_30default_config_static_selectorELNS0_4arch9wavefront6targetE1EEEvSP_
	.p2align	8
	.type	_ZN7rocprim17ROCPRIM_400000_NS6detail17trampoline_kernelINS0_14default_configENS1_21merge_config_selectorIsNS0_10empty_typeEEEZNS1_10merge_implIS3_N6thrust23THRUST_200600_302600_NS6detail15normal_iteratorINS9_10device_ptrIKsEEEESF_NSB_INSC_IsEEEEPS5_SI_SI_NS9_4lessIsEEEE10hipError_tPvRmT0_T1_T2_T3_T4_T5_mmT6_P12ihipStream_tbEUlT_E0_NS1_11comp_targetILNS1_3genE10ELNS1_11target_archE1201ELNS1_3gpuE5ELNS1_3repE0EEENS1_30default_config_static_selectorELNS0_4arch9wavefront6targetE1EEEvSP_,@function
_ZN7rocprim17ROCPRIM_400000_NS6detail17trampoline_kernelINS0_14default_configENS1_21merge_config_selectorIsNS0_10empty_typeEEEZNS1_10merge_implIS3_N6thrust23THRUST_200600_302600_NS6detail15normal_iteratorINS9_10device_ptrIKsEEEESF_NSB_INSC_IsEEEEPS5_SI_SI_NS9_4lessIsEEEE10hipError_tPvRmT0_T1_T2_T3_T4_T5_mmT6_P12ihipStream_tbEUlT_E0_NS1_11comp_targetILNS1_3genE10ELNS1_11target_archE1201ELNS1_3gpuE5ELNS1_3repE0EEENS1_30default_config_static_selectorELNS0_4arch9wavefront6targetE1EEEvSP_: ; @_ZN7rocprim17ROCPRIM_400000_NS6detail17trampoline_kernelINS0_14default_configENS1_21merge_config_selectorIsNS0_10empty_typeEEEZNS1_10merge_implIS3_N6thrust23THRUST_200600_302600_NS6detail15normal_iteratorINS9_10device_ptrIKsEEEESF_NSB_INSC_IsEEEEPS5_SI_SI_NS9_4lessIsEEEE10hipError_tPvRmT0_T1_T2_T3_T4_T5_mmT6_P12ihipStream_tbEUlT_E0_NS1_11comp_targetILNS1_3genE10ELNS1_11target_archE1201ELNS1_3gpuE5ELNS1_3repE0EEENS1_30default_config_static_selectorELNS0_4arch9wavefront6targetE1EEEvSP_
; %bb.0:
	.section	.rodata,"a",@progbits
	.p2align	6, 0x0
	.amdhsa_kernel _ZN7rocprim17ROCPRIM_400000_NS6detail17trampoline_kernelINS0_14default_configENS1_21merge_config_selectorIsNS0_10empty_typeEEEZNS1_10merge_implIS3_N6thrust23THRUST_200600_302600_NS6detail15normal_iteratorINS9_10device_ptrIKsEEEESF_NSB_INSC_IsEEEEPS5_SI_SI_NS9_4lessIsEEEE10hipError_tPvRmT0_T1_T2_T3_T4_T5_mmT6_P12ihipStream_tbEUlT_E0_NS1_11comp_targetILNS1_3genE10ELNS1_11target_archE1201ELNS1_3gpuE5ELNS1_3repE0EEENS1_30default_config_static_selectorELNS0_4arch9wavefront6targetE1EEEvSP_
		.amdhsa_group_segment_fixed_size 0
		.amdhsa_private_segment_fixed_size 0
		.amdhsa_kernarg_size 88
		.amdhsa_user_sgpr_count 6
		.amdhsa_user_sgpr_private_segment_buffer 1
		.amdhsa_user_sgpr_dispatch_ptr 0
		.amdhsa_user_sgpr_queue_ptr 0
		.amdhsa_user_sgpr_kernarg_segment_ptr 1
		.amdhsa_user_sgpr_dispatch_id 0
		.amdhsa_user_sgpr_flat_scratch_init 0
		.amdhsa_user_sgpr_kernarg_preload_length 0
		.amdhsa_user_sgpr_kernarg_preload_offset 0
		.amdhsa_user_sgpr_private_segment_size 0
		.amdhsa_uses_dynamic_stack 0
		.amdhsa_system_sgpr_private_segment_wavefront_offset 0
		.amdhsa_system_sgpr_workgroup_id_x 1
		.amdhsa_system_sgpr_workgroup_id_y 0
		.amdhsa_system_sgpr_workgroup_id_z 0
		.amdhsa_system_sgpr_workgroup_info 0
		.amdhsa_system_vgpr_workitem_id 0
		.amdhsa_next_free_vgpr 1
		.amdhsa_next_free_sgpr 0
		.amdhsa_accum_offset 4
		.amdhsa_reserve_vcc 0
		.amdhsa_reserve_flat_scratch 0
		.amdhsa_float_round_mode_32 0
		.amdhsa_float_round_mode_16_64 0
		.amdhsa_float_denorm_mode_32 3
		.amdhsa_float_denorm_mode_16_64 3
		.amdhsa_dx10_clamp 1
		.amdhsa_ieee_mode 1
		.amdhsa_fp16_overflow 0
		.amdhsa_tg_split 0
		.amdhsa_exception_fp_ieee_invalid_op 0
		.amdhsa_exception_fp_denorm_src 0
		.amdhsa_exception_fp_ieee_div_zero 0
		.amdhsa_exception_fp_ieee_overflow 0
		.amdhsa_exception_fp_ieee_underflow 0
		.amdhsa_exception_fp_ieee_inexact 0
		.amdhsa_exception_int_div_zero 0
	.end_amdhsa_kernel
	.section	.text._ZN7rocprim17ROCPRIM_400000_NS6detail17trampoline_kernelINS0_14default_configENS1_21merge_config_selectorIsNS0_10empty_typeEEEZNS1_10merge_implIS3_N6thrust23THRUST_200600_302600_NS6detail15normal_iteratorINS9_10device_ptrIKsEEEESF_NSB_INSC_IsEEEEPS5_SI_SI_NS9_4lessIsEEEE10hipError_tPvRmT0_T1_T2_T3_T4_T5_mmT6_P12ihipStream_tbEUlT_E0_NS1_11comp_targetILNS1_3genE10ELNS1_11target_archE1201ELNS1_3gpuE5ELNS1_3repE0EEENS1_30default_config_static_selectorELNS0_4arch9wavefront6targetE1EEEvSP_,"axG",@progbits,_ZN7rocprim17ROCPRIM_400000_NS6detail17trampoline_kernelINS0_14default_configENS1_21merge_config_selectorIsNS0_10empty_typeEEEZNS1_10merge_implIS3_N6thrust23THRUST_200600_302600_NS6detail15normal_iteratorINS9_10device_ptrIKsEEEESF_NSB_INSC_IsEEEEPS5_SI_SI_NS9_4lessIsEEEE10hipError_tPvRmT0_T1_T2_T3_T4_T5_mmT6_P12ihipStream_tbEUlT_E0_NS1_11comp_targetILNS1_3genE10ELNS1_11target_archE1201ELNS1_3gpuE5ELNS1_3repE0EEENS1_30default_config_static_selectorELNS0_4arch9wavefront6targetE1EEEvSP_,comdat
.Lfunc_end294:
	.size	_ZN7rocprim17ROCPRIM_400000_NS6detail17trampoline_kernelINS0_14default_configENS1_21merge_config_selectorIsNS0_10empty_typeEEEZNS1_10merge_implIS3_N6thrust23THRUST_200600_302600_NS6detail15normal_iteratorINS9_10device_ptrIKsEEEESF_NSB_INSC_IsEEEEPS5_SI_SI_NS9_4lessIsEEEE10hipError_tPvRmT0_T1_T2_T3_T4_T5_mmT6_P12ihipStream_tbEUlT_E0_NS1_11comp_targetILNS1_3genE10ELNS1_11target_archE1201ELNS1_3gpuE5ELNS1_3repE0EEENS1_30default_config_static_selectorELNS0_4arch9wavefront6targetE1EEEvSP_, .Lfunc_end294-_ZN7rocprim17ROCPRIM_400000_NS6detail17trampoline_kernelINS0_14default_configENS1_21merge_config_selectorIsNS0_10empty_typeEEEZNS1_10merge_implIS3_N6thrust23THRUST_200600_302600_NS6detail15normal_iteratorINS9_10device_ptrIKsEEEESF_NSB_INSC_IsEEEEPS5_SI_SI_NS9_4lessIsEEEE10hipError_tPvRmT0_T1_T2_T3_T4_T5_mmT6_P12ihipStream_tbEUlT_E0_NS1_11comp_targetILNS1_3genE10ELNS1_11target_archE1201ELNS1_3gpuE5ELNS1_3repE0EEENS1_30default_config_static_selectorELNS0_4arch9wavefront6targetE1EEEvSP_
                                        ; -- End function
	.section	.AMDGPU.csdata,"",@progbits
; Kernel info:
; codeLenInByte = 0
; NumSgprs: 4
; NumVgprs: 0
; NumAgprs: 0
; TotalNumVgprs: 0
; ScratchSize: 0
; MemoryBound: 0
; FloatMode: 240
; IeeeMode: 1
; LDSByteSize: 0 bytes/workgroup (compile time only)
; SGPRBlocks: 0
; VGPRBlocks: 0
; NumSGPRsForWavesPerEU: 4
; NumVGPRsForWavesPerEU: 1
; AccumOffset: 4
; Occupancy: 8
; WaveLimiterHint : 0
; COMPUTE_PGM_RSRC2:SCRATCH_EN: 0
; COMPUTE_PGM_RSRC2:USER_SGPR: 6
; COMPUTE_PGM_RSRC2:TRAP_HANDLER: 0
; COMPUTE_PGM_RSRC2:TGID_X_EN: 1
; COMPUTE_PGM_RSRC2:TGID_Y_EN: 0
; COMPUTE_PGM_RSRC2:TGID_Z_EN: 0
; COMPUTE_PGM_RSRC2:TIDIG_COMP_CNT: 0
; COMPUTE_PGM_RSRC3_GFX90A:ACCUM_OFFSET: 0
; COMPUTE_PGM_RSRC3_GFX90A:TG_SPLIT: 0
	.section	.text._ZN7rocprim17ROCPRIM_400000_NS6detail17trampoline_kernelINS0_14default_configENS1_21merge_config_selectorIsNS0_10empty_typeEEEZNS1_10merge_implIS3_N6thrust23THRUST_200600_302600_NS6detail15normal_iteratorINS9_10device_ptrIKsEEEESF_NSB_INSC_IsEEEEPS5_SI_SI_NS9_4lessIsEEEE10hipError_tPvRmT0_T1_T2_T3_T4_T5_mmT6_P12ihipStream_tbEUlT_E0_NS1_11comp_targetILNS1_3genE10ELNS1_11target_archE1200ELNS1_3gpuE4ELNS1_3repE0EEENS1_30default_config_static_selectorELNS0_4arch9wavefront6targetE1EEEvSP_,"axG",@progbits,_ZN7rocprim17ROCPRIM_400000_NS6detail17trampoline_kernelINS0_14default_configENS1_21merge_config_selectorIsNS0_10empty_typeEEEZNS1_10merge_implIS3_N6thrust23THRUST_200600_302600_NS6detail15normal_iteratorINS9_10device_ptrIKsEEEESF_NSB_INSC_IsEEEEPS5_SI_SI_NS9_4lessIsEEEE10hipError_tPvRmT0_T1_T2_T3_T4_T5_mmT6_P12ihipStream_tbEUlT_E0_NS1_11comp_targetILNS1_3genE10ELNS1_11target_archE1200ELNS1_3gpuE4ELNS1_3repE0EEENS1_30default_config_static_selectorELNS0_4arch9wavefront6targetE1EEEvSP_,comdat
	.protected	_ZN7rocprim17ROCPRIM_400000_NS6detail17trampoline_kernelINS0_14default_configENS1_21merge_config_selectorIsNS0_10empty_typeEEEZNS1_10merge_implIS3_N6thrust23THRUST_200600_302600_NS6detail15normal_iteratorINS9_10device_ptrIKsEEEESF_NSB_INSC_IsEEEEPS5_SI_SI_NS9_4lessIsEEEE10hipError_tPvRmT0_T1_T2_T3_T4_T5_mmT6_P12ihipStream_tbEUlT_E0_NS1_11comp_targetILNS1_3genE10ELNS1_11target_archE1200ELNS1_3gpuE4ELNS1_3repE0EEENS1_30default_config_static_selectorELNS0_4arch9wavefront6targetE1EEEvSP_ ; -- Begin function _ZN7rocprim17ROCPRIM_400000_NS6detail17trampoline_kernelINS0_14default_configENS1_21merge_config_selectorIsNS0_10empty_typeEEEZNS1_10merge_implIS3_N6thrust23THRUST_200600_302600_NS6detail15normal_iteratorINS9_10device_ptrIKsEEEESF_NSB_INSC_IsEEEEPS5_SI_SI_NS9_4lessIsEEEE10hipError_tPvRmT0_T1_T2_T3_T4_T5_mmT6_P12ihipStream_tbEUlT_E0_NS1_11comp_targetILNS1_3genE10ELNS1_11target_archE1200ELNS1_3gpuE4ELNS1_3repE0EEENS1_30default_config_static_selectorELNS0_4arch9wavefront6targetE1EEEvSP_
	.globl	_ZN7rocprim17ROCPRIM_400000_NS6detail17trampoline_kernelINS0_14default_configENS1_21merge_config_selectorIsNS0_10empty_typeEEEZNS1_10merge_implIS3_N6thrust23THRUST_200600_302600_NS6detail15normal_iteratorINS9_10device_ptrIKsEEEESF_NSB_INSC_IsEEEEPS5_SI_SI_NS9_4lessIsEEEE10hipError_tPvRmT0_T1_T2_T3_T4_T5_mmT6_P12ihipStream_tbEUlT_E0_NS1_11comp_targetILNS1_3genE10ELNS1_11target_archE1200ELNS1_3gpuE4ELNS1_3repE0EEENS1_30default_config_static_selectorELNS0_4arch9wavefront6targetE1EEEvSP_
	.p2align	8
	.type	_ZN7rocprim17ROCPRIM_400000_NS6detail17trampoline_kernelINS0_14default_configENS1_21merge_config_selectorIsNS0_10empty_typeEEEZNS1_10merge_implIS3_N6thrust23THRUST_200600_302600_NS6detail15normal_iteratorINS9_10device_ptrIKsEEEESF_NSB_INSC_IsEEEEPS5_SI_SI_NS9_4lessIsEEEE10hipError_tPvRmT0_T1_T2_T3_T4_T5_mmT6_P12ihipStream_tbEUlT_E0_NS1_11comp_targetILNS1_3genE10ELNS1_11target_archE1200ELNS1_3gpuE4ELNS1_3repE0EEENS1_30default_config_static_selectorELNS0_4arch9wavefront6targetE1EEEvSP_,@function
_ZN7rocprim17ROCPRIM_400000_NS6detail17trampoline_kernelINS0_14default_configENS1_21merge_config_selectorIsNS0_10empty_typeEEEZNS1_10merge_implIS3_N6thrust23THRUST_200600_302600_NS6detail15normal_iteratorINS9_10device_ptrIKsEEEESF_NSB_INSC_IsEEEEPS5_SI_SI_NS9_4lessIsEEEE10hipError_tPvRmT0_T1_T2_T3_T4_T5_mmT6_P12ihipStream_tbEUlT_E0_NS1_11comp_targetILNS1_3genE10ELNS1_11target_archE1200ELNS1_3gpuE4ELNS1_3repE0EEENS1_30default_config_static_selectorELNS0_4arch9wavefront6targetE1EEEvSP_: ; @_ZN7rocprim17ROCPRIM_400000_NS6detail17trampoline_kernelINS0_14default_configENS1_21merge_config_selectorIsNS0_10empty_typeEEEZNS1_10merge_implIS3_N6thrust23THRUST_200600_302600_NS6detail15normal_iteratorINS9_10device_ptrIKsEEEESF_NSB_INSC_IsEEEEPS5_SI_SI_NS9_4lessIsEEEE10hipError_tPvRmT0_T1_T2_T3_T4_T5_mmT6_P12ihipStream_tbEUlT_E0_NS1_11comp_targetILNS1_3genE10ELNS1_11target_archE1200ELNS1_3gpuE4ELNS1_3repE0EEENS1_30default_config_static_selectorELNS0_4arch9wavefront6targetE1EEEvSP_
; %bb.0:
	.section	.rodata,"a",@progbits
	.p2align	6, 0x0
	.amdhsa_kernel _ZN7rocprim17ROCPRIM_400000_NS6detail17trampoline_kernelINS0_14default_configENS1_21merge_config_selectorIsNS0_10empty_typeEEEZNS1_10merge_implIS3_N6thrust23THRUST_200600_302600_NS6detail15normal_iteratorINS9_10device_ptrIKsEEEESF_NSB_INSC_IsEEEEPS5_SI_SI_NS9_4lessIsEEEE10hipError_tPvRmT0_T1_T2_T3_T4_T5_mmT6_P12ihipStream_tbEUlT_E0_NS1_11comp_targetILNS1_3genE10ELNS1_11target_archE1200ELNS1_3gpuE4ELNS1_3repE0EEENS1_30default_config_static_selectorELNS0_4arch9wavefront6targetE1EEEvSP_
		.amdhsa_group_segment_fixed_size 0
		.amdhsa_private_segment_fixed_size 0
		.amdhsa_kernarg_size 88
		.amdhsa_user_sgpr_count 6
		.amdhsa_user_sgpr_private_segment_buffer 1
		.amdhsa_user_sgpr_dispatch_ptr 0
		.amdhsa_user_sgpr_queue_ptr 0
		.amdhsa_user_sgpr_kernarg_segment_ptr 1
		.amdhsa_user_sgpr_dispatch_id 0
		.amdhsa_user_sgpr_flat_scratch_init 0
		.amdhsa_user_sgpr_kernarg_preload_length 0
		.amdhsa_user_sgpr_kernarg_preload_offset 0
		.amdhsa_user_sgpr_private_segment_size 0
		.amdhsa_uses_dynamic_stack 0
		.amdhsa_system_sgpr_private_segment_wavefront_offset 0
		.amdhsa_system_sgpr_workgroup_id_x 1
		.amdhsa_system_sgpr_workgroup_id_y 0
		.amdhsa_system_sgpr_workgroup_id_z 0
		.amdhsa_system_sgpr_workgroup_info 0
		.amdhsa_system_vgpr_workitem_id 0
		.amdhsa_next_free_vgpr 1
		.amdhsa_next_free_sgpr 0
		.amdhsa_accum_offset 4
		.amdhsa_reserve_vcc 0
		.amdhsa_reserve_flat_scratch 0
		.amdhsa_float_round_mode_32 0
		.amdhsa_float_round_mode_16_64 0
		.amdhsa_float_denorm_mode_32 3
		.amdhsa_float_denorm_mode_16_64 3
		.amdhsa_dx10_clamp 1
		.amdhsa_ieee_mode 1
		.amdhsa_fp16_overflow 0
		.amdhsa_tg_split 0
		.amdhsa_exception_fp_ieee_invalid_op 0
		.amdhsa_exception_fp_denorm_src 0
		.amdhsa_exception_fp_ieee_div_zero 0
		.amdhsa_exception_fp_ieee_overflow 0
		.amdhsa_exception_fp_ieee_underflow 0
		.amdhsa_exception_fp_ieee_inexact 0
		.amdhsa_exception_int_div_zero 0
	.end_amdhsa_kernel
	.section	.text._ZN7rocprim17ROCPRIM_400000_NS6detail17trampoline_kernelINS0_14default_configENS1_21merge_config_selectorIsNS0_10empty_typeEEEZNS1_10merge_implIS3_N6thrust23THRUST_200600_302600_NS6detail15normal_iteratorINS9_10device_ptrIKsEEEESF_NSB_INSC_IsEEEEPS5_SI_SI_NS9_4lessIsEEEE10hipError_tPvRmT0_T1_T2_T3_T4_T5_mmT6_P12ihipStream_tbEUlT_E0_NS1_11comp_targetILNS1_3genE10ELNS1_11target_archE1200ELNS1_3gpuE4ELNS1_3repE0EEENS1_30default_config_static_selectorELNS0_4arch9wavefront6targetE1EEEvSP_,"axG",@progbits,_ZN7rocprim17ROCPRIM_400000_NS6detail17trampoline_kernelINS0_14default_configENS1_21merge_config_selectorIsNS0_10empty_typeEEEZNS1_10merge_implIS3_N6thrust23THRUST_200600_302600_NS6detail15normal_iteratorINS9_10device_ptrIKsEEEESF_NSB_INSC_IsEEEEPS5_SI_SI_NS9_4lessIsEEEE10hipError_tPvRmT0_T1_T2_T3_T4_T5_mmT6_P12ihipStream_tbEUlT_E0_NS1_11comp_targetILNS1_3genE10ELNS1_11target_archE1200ELNS1_3gpuE4ELNS1_3repE0EEENS1_30default_config_static_selectorELNS0_4arch9wavefront6targetE1EEEvSP_,comdat
.Lfunc_end295:
	.size	_ZN7rocprim17ROCPRIM_400000_NS6detail17trampoline_kernelINS0_14default_configENS1_21merge_config_selectorIsNS0_10empty_typeEEEZNS1_10merge_implIS3_N6thrust23THRUST_200600_302600_NS6detail15normal_iteratorINS9_10device_ptrIKsEEEESF_NSB_INSC_IsEEEEPS5_SI_SI_NS9_4lessIsEEEE10hipError_tPvRmT0_T1_T2_T3_T4_T5_mmT6_P12ihipStream_tbEUlT_E0_NS1_11comp_targetILNS1_3genE10ELNS1_11target_archE1200ELNS1_3gpuE4ELNS1_3repE0EEENS1_30default_config_static_selectorELNS0_4arch9wavefront6targetE1EEEvSP_, .Lfunc_end295-_ZN7rocprim17ROCPRIM_400000_NS6detail17trampoline_kernelINS0_14default_configENS1_21merge_config_selectorIsNS0_10empty_typeEEEZNS1_10merge_implIS3_N6thrust23THRUST_200600_302600_NS6detail15normal_iteratorINS9_10device_ptrIKsEEEESF_NSB_INSC_IsEEEEPS5_SI_SI_NS9_4lessIsEEEE10hipError_tPvRmT0_T1_T2_T3_T4_T5_mmT6_P12ihipStream_tbEUlT_E0_NS1_11comp_targetILNS1_3genE10ELNS1_11target_archE1200ELNS1_3gpuE4ELNS1_3repE0EEENS1_30default_config_static_selectorELNS0_4arch9wavefront6targetE1EEEvSP_
                                        ; -- End function
	.section	.AMDGPU.csdata,"",@progbits
; Kernel info:
; codeLenInByte = 0
; NumSgprs: 4
; NumVgprs: 0
; NumAgprs: 0
; TotalNumVgprs: 0
; ScratchSize: 0
; MemoryBound: 0
; FloatMode: 240
; IeeeMode: 1
; LDSByteSize: 0 bytes/workgroup (compile time only)
; SGPRBlocks: 0
; VGPRBlocks: 0
; NumSGPRsForWavesPerEU: 4
; NumVGPRsForWavesPerEU: 1
; AccumOffset: 4
; Occupancy: 8
; WaveLimiterHint : 0
; COMPUTE_PGM_RSRC2:SCRATCH_EN: 0
; COMPUTE_PGM_RSRC2:USER_SGPR: 6
; COMPUTE_PGM_RSRC2:TRAP_HANDLER: 0
; COMPUTE_PGM_RSRC2:TGID_X_EN: 1
; COMPUTE_PGM_RSRC2:TGID_Y_EN: 0
; COMPUTE_PGM_RSRC2:TGID_Z_EN: 0
; COMPUTE_PGM_RSRC2:TIDIG_COMP_CNT: 0
; COMPUTE_PGM_RSRC3_GFX90A:ACCUM_OFFSET: 0
; COMPUTE_PGM_RSRC3_GFX90A:TG_SPLIT: 0
	.section	.text._ZN7rocprim17ROCPRIM_400000_NS6detail17trampoline_kernelINS0_14default_configENS1_21merge_config_selectorIsNS0_10empty_typeEEEZNS1_10merge_implIS3_N6thrust23THRUST_200600_302600_NS6detail15normal_iteratorINS9_10device_ptrIKsEEEESF_NSB_INSC_IsEEEEPS5_SI_SI_NS9_4lessIsEEEE10hipError_tPvRmT0_T1_T2_T3_T4_T5_mmT6_P12ihipStream_tbEUlT_E0_NS1_11comp_targetILNS1_3genE9ELNS1_11target_archE1100ELNS1_3gpuE3ELNS1_3repE0EEENS1_30default_config_static_selectorELNS0_4arch9wavefront6targetE1EEEvSP_,"axG",@progbits,_ZN7rocprim17ROCPRIM_400000_NS6detail17trampoline_kernelINS0_14default_configENS1_21merge_config_selectorIsNS0_10empty_typeEEEZNS1_10merge_implIS3_N6thrust23THRUST_200600_302600_NS6detail15normal_iteratorINS9_10device_ptrIKsEEEESF_NSB_INSC_IsEEEEPS5_SI_SI_NS9_4lessIsEEEE10hipError_tPvRmT0_T1_T2_T3_T4_T5_mmT6_P12ihipStream_tbEUlT_E0_NS1_11comp_targetILNS1_3genE9ELNS1_11target_archE1100ELNS1_3gpuE3ELNS1_3repE0EEENS1_30default_config_static_selectorELNS0_4arch9wavefront6targetE1EEEvSP_,comdat
	.protected	_ZN7rocprim17ROCPRIM_400000_NS6detail17trampoline_kernelINS0_14default_configENS1_21merge_config_selectorIsNS0_10empty_typeEEEZNS1_10merge_implIS3_N6thrust23THRUST_200600_302600_NS6detail15normal_iteratorINS9_10device_ptrIKsEEEESF_NSB_INSC_IsEEEEPS5_SI_SI_NS9_4lessIsEEEE10hipError_tPvRmT0_T1_T2_T3_T4_T5_mmT6_P12ihipStream_tbEUlT_E0_NS1_11comp_targetILNS1_3genE9ELNS1_11target_archE1100ELNS1_3gpuE3ELNS1_3repE0EEENS1_30default_config_static_selectorELNS0_4arch9wavefront6targetE1EEEvSP_ ; -- Begin function _ZN7rocprim17ROCPRIM_400000_NS6detail17trampoline_kernelINS0_14default_configENS1_21merge_config_selectorIsNS0_10empty_typeEEEZNS1_10merge_implIS3_N6thrust23THRUST_200600_302600_NS6detail15normal_iteratorINS9_10device_ptrIKsEEEESF_NSB_INSC_IsEEEEPS5_SI_SI_NS9_4lessIsEEEE10hipError_tPvRmT0_T1_T2_T3_T4_T5_mmT6_P12ihipStream_tbEUlT_E0_NS1_11comp_targetILNS1_3genE9ELNS1_11target_archE1100ELNS1_3gpuE3ELNS1_3repE0EEENS1_30default_config_static_selectorELNS0_4arch9wavefront6targetE1EEEvSP_
	.globl	_ZN7rocprim17ROCPRIM_400000_NS6detail17trampoline_kernelINS0_14default_configENS1_21merge_config_selectorIsNS0_10empty_typeEEEZNS1_10merge_implIS3_N6thrust23THRUST_200600_302600_NS6detail15normal_iteratorINS9_10device_ptrIKsEEEESF_NSB_INSC_IsEEEEPS5_SI_SI_NS9_4lessIsEEEE10hipError_tPvRmT0_T1_T2_T3_T4_T5_mmT6_P12ihipStream_tbEUlT_E0_NS1_11comp_targetILNS1_3genE9ELNS1_11target_archE1100ELNS1_3gpuE3ELNS1_3repE0EEENS1_30default_config_static_selectorELNS0_4arch9wavefront6targetE1EEEvSP_
	.p2align	8
	.type	_ZN7rocprim17ROCPRIM_400000_NS6detail17trampoline_kernelINS0_14default_configENS1_21merge_config_selectorIsNS0_10empty_typeEEEZNS1_10merge_implIS3_N6thrust23THRUST_200600_302600_NS6detail15normal_iteratorINS9_10device_ptrIKsEEEESF_NSB_INSC_IsEEEEPS5_SI_SI_NS9_4lessIsEEEE10hipError_tPvRmT0_T1_T2_T3_T4_T5_mmT6_P12ihipStream_tbEUlT_E0_NS1_11comp_targetILNS1_3genE9ELNS1_11target_archE1100ELNS1_3gpuE3ELNS1_3repE0EEENS1_30default_config_static_selectorELNS0_4arch9wavefront6targetE1EEEvSP_,@function
_ZN7rocprim17ROCPRIM_400000_NS6detail17trampoline_kernelINS0_14default_configENS1_21merge_config_selectorIsNS0_10empty_typeEEEZNS1_10merge_implIS3_N6thrust23THRUST_200600_302600_NS6detail15normal_iteratorINS9_10device_ptrIKsEEEESF_NSB_INSC_IsEEEEPS5_SI_SI_NS9_4lessIsEEEE10hipError_tPvRmT0_T1_T2_T3_T4_T5_mmT6_P12ihipStream_tbEUlT_E0_NS1_11comp_targetILNS1_3genE9ELNS1_11target_archE1100ELNS1_3gpuE3ELNS1_3repE0EEENS1_30default_config_static_selectorELNS0_4arch9wavefront6targetE1EEEvSP_: ; @_ZN7rocprim17ROCPRIM_400000_NS6detail17trampoline_kernelINS0_14default_configENS1_21merge_config_selectorIsNS0_10empty_typeEEEZNS1_10merge_implIS3_N6thrust23THRUST_200600_302600_NS6detail15normal_iteratorINS9_10device_ptrIKsEEEESF_NSB_INSC_IsEEEEPS5_SI_SI_NS9_4lessIsEEEE10hipError_tPvRmT0_T1_T2_T3_T4_T5_mmT6_P12ihipStream_tbEUlT_E0_NS1_11comp_targetILNS1_3genE9ELNS1_11target_archE1100ELNS1_3gpuE3ELNS1_3repE0EEENS1_30default_config_static_selectorELNS0_4arch9wavefront6targetE1EEEvSP_
; %bb.0:
	.section	.rodata,"a",@progbits
	.p2align	6, 0x0
	.amdhsa_kernel _ZN7rocprim17ROCPRIM_400000_NS6detail17trampoline_kernelINS0_14default_configENS1_21merge_config_selectorIsNS0_10empty_typeEEEZNS1_10merge_implIS3_N6thrust23THRUST_200600_302600_NS6detail15normal_iteratorINS9_10device_ptrIKsEEEESF_NSB_INSC_IsEEEEPS5_SI_SI_NS9_4lessIsEEEE10hipError_tPvRmT0_T1_T2_T3_T4_T5_mmT6_P12ihipStream_tbEUlT_E0_NS1_11comp_targetILNS1_3genE9ELNS1_11target_archE1100ELNS1_3gpuE3ELNS1_3repE0EEENS1_30default_config_static_selectorELNS0_4arch9wavefront6targetE1EEEvSP_
		.amdhsa_group_segment_fixed_size 0
		.amdhsa_private_segment_fixed_size 0
		.amdhsa_kernarg_size 88
		.amdhsa_user_sgpr_count 6
		.amdhsa_user_sgpr_private_segment_buffer 1
		.amdhsa_user_sgpr_dispatch_ptr 0
		.amdhsa_user_sgpr_queue_ptr 0
		.amdhsa_user_sgpr_kernarg_segment_ptr 1
		.amdhsa_user_sgpr_dispatch_id 0
		.amdhsa_user_sgpr_flat_scratch_init 0
		.amdhsa_user_sgpr_kernarg_preload_length 0
		.amdhsa_user_sgpr_kernarg_preload_offset 0
		.amdhsa_user_sgpr_private_segment_size 0
		.amdhsa_uses_dynamic_stack 0
		.amdhsa_system_sgpr_private_segment_wavefront_offset 0
		.amdhsa_system_sgpr_workgroup_id_x 1
		.amdhsa_system_sgpr_workgroup_id_y 0
		.amdhsa_system_sgpr_workgroup_id_z 0
		.amdhsa_system_sgpr_workgroup_info 0
		.amdhsa_system_vgpr_workitem_id 0
		.amdhsa_next_free_vgpr 1
		.amdhsa_next_free_sgpr 0
		.amdhsa_accum_offset 4
		.amdhsa_reserve_vcc 0
		.amdhsa_reserve_flat_scratch 0
		.amdhsa_float_round_mode_32 0
		.amdhsa_float_round_mode_16_64 0
		.amdhsa_float_denorm_mode_32 3
		.amdhsa_float_denorm_mode_16_64 3
		.amdhsa_dx10_clamp 1
		.amdhsa_ieee_mode 1
		.amdhsa_fp16_overflow 0
		.amdhsa_tg_split 0
		.amdhsa_exception_fp_ieee_invalid_op 0
		.amdhsa_exception_fp_denorm_src 0
		.amdhsa_exception_fp_ieee_div_zero 0
		.amdhsa_exception_fp_ieee_overflow 0
		.amdhsa_exception_fp_ieee_underflow 0
		.amdhsa_exception_fp_ieee_inexact 0
		.amdhsa_exception_int_div_zero 0
	.end_amdhsa_kernel
	.section	.text._ZN7rocprim17ROCPRIM_400000_NS6detail17trampoline_kernelINS0_14default_configENS1_21merge_config_selectorIsNS0_10empty_typeEEEZNS1_10merge_implIS3_N6thrust23THRUST_200600_302600_NS6detail15normal_iteratorINS9_10device_ptrIKsEEEESF_NSB_INSC_IsEEEEPS5_SI_SI_NS9_4lessIsEEEE10hipError_tPvRmT0_T1_T2_T3_T4_T5_mmT6_P12ihipStream_tbEUlT_E0_NS1_11comp_targetILNS1_3genE9ELNS1_11target_archE1100ELNS1_3gpuE3ELNS1_3repE0EEENS1_30default_config_static_selectorELNS0_4arch9wavefront6targetE1EEEvSP_,"axG",@progbits,_ZN7rocprim17ROCPRIM_400000_NS6detail17trampoline_kernelINS0_14default_configENS1_21merge_config_selectorIsNS0_10empty_typeEEEZNS1_10merge_implIS3_N6thrust23THRUST_200600_302600_NS6detail15normal_iteratorINS9_10device_ptrIKsEEEESF_NSB_INSC_IsEEEEPS5_SI_SI_NS9_4lessIsEEEE10hipError_tPvRmT0_T1_T2_T3_T4_T5_mmT6_P12ihipStream_tbEUlT_E0_NS1_11comp_targetILNS1_3genE9ELNS1_11target_archE1100ELNS1_3gpuE3ELNS1_3repE0EEENS1_30default_config_static_selectorELNS0_4arch9wavefront6targetE1EEEvSP_,comdat
.Lfunc_end296:
	.size	_ZN7rocprim17ROCPRIM_400000_NS6detail17trampoline_kernelINS0_14default_configENS1_21merge_config_selectorIsNS0_10empty_typeEEEZNS1_10merge_implIS3_N6thrust23THRUST_200600_302600_NS6detail15normal_iteratorINS9_10device_ptrIKsEEEESF_NSB_INSC_IsEEEEPS5_SI_SI_NS9_4lessIsEEEE10hipError_tPvRmT0_T1_T2_T3_T4_T5_mmT6_P12ihipStream_tbEUlT_E0_NS1_11comp_targetILNS1_3genE9ELNS1_11target_archE1100ELNS1_3gpuE3ELNS1_3repE0EEENS1_30default_config_static_selectorELNS0_4arch9wavefront6targetE1EEEvSP_, .Lfunc_end296-_ZN7rocprim17ROCPRIM_400000_NS6detail17trampoline_kernelINS0_14default_configENS1_21merge_config_selectorIsNS0_10empty_typeEEEZNS1_10merge_implIS3_N6thrust23THRUST_200600_302600_NS6detail15normal_iteratorINS9_10device_ptrIKsEEEESF_NSB_INSC_IsEEEEPS5_SI_SI_NS9_4lessIsEEEE10hipError_tPvRmT0_T1_T2_T3_T4_T5_mmT6_P12ihipStream_tbEUlT_E0_NS1_11comp_targetILNS1_3genE9ELNS1_11target_archE1100ELNS1_3gpuE3ELNS1_3repE0EEENS1_30default_config_static_selectorELNS0_4arch9wavefront6targetE1EEEvSP_
                                        ; -- End function
	.section	.AMDGPU.csdata,"",@progbits
; Kernel info:
; codeLenInByte = 0
; NumSgprs: 4
; NumVgprs: 0
; NumAgprs: 0
; TotalNumVgprs: 0
; ScratchSize: 0
; MemoryBound: 0
; FloatMode: 240
; IeeeMode: 1
; LDSByteSize: 0 bytes/workgroup (compile time only)
; SGPRBlocks: 0
; VGPRBlocks: 0
; NumSGPRsForWavesPerEU: 4
; NumVGPRsForWavesPerEU: 1
; AccumOffset: 4
; Occupancy: 8
; WaveLimiterHint : 0
; COMPUTE_PGM_RSRC2:SCRATCH_EN: 0
; COMPUTE_PGM_RSRC2:USER_SGPR: 6
; COMPUTE_PGM_RSRC2:TRAP_HANDLER: 0
; COMPUTE_PGM_RSRC2:TGID_X_EN: 1
; COMPUTE_PGM_RSRC2:TGID_Y_EN: 0
; COMPUTE_PGM_RSRC2:TGID_Z_EN: 0
; COMPUTE_PGM_RSRC2:TIDIG_COMP_CNT: 0
; COMPUTE_PGM_RSRC3_GFX90A:ACCUM_OFFSET: 0
; COMPUTE_PGM_RSRC3_GFX90A:TG_SPLIT: 0
	.section	.text._ZN7rocprim17ROCPRIM_400000_NS6detail17trampoline_kernelINS0_14default_configENS1_21merge_config_selectorIsNS0_10empty_typeEEEZNS1_10merge_implIS3_N6thrust23THRUST_200600_302600_NS6detail15normal_iteratorINS9_10device_ptrIKsEEEESF_NSB_INSC_IsEEEEPS5_SI_SI_NS9_4lessIsEEEE10hipError_tPvRmT0_T1_T2_T3_T4_T5_mmT6_P12ihipStream_tbEUlT_E0_NS1_11comp_targetILNS1_3genE8ELNS1_11target_archE1030ELNS1_3gpuE2ELNS1_3repE0EEENS1_30default_config_static_selectorELNS0_4arch9wavefront6targetE1EEEvSP_,"axG",@progbits,_ZN7rocprim17ROCPRIM_400000_NS6detail17trampoline_kernelINS0_14default_configENS1_21merge_config_selectorIsNS0_10empty_typeEEEZNS1_10merge_implIS3_N6thrust23THRUST_200600_302600_NS6detail15normal_iteratorINS9_10device_ptrIKsEEEESF_NSB_INSC_IsEEEEPS5_SI_SI_NS9_4lessIsEEEE10hipError_tPvRmT0_T1_T2_T3_T4_T5_mmT6_P12ihipStream_tbEUlT_E0_NS1_11comp_targetILNS1_3genE8ELNS1_11target_archE1030ELNS1_3gpuE2ELNS1_3repE0EEENS1_30default_config_static_selectorELNS0_4arch9wavefront6targetE1EEEvSP_,comdat
	.protected	_ZN7rocprim17ROCPRIM_400000_NS6detail17trampoline_kernelINS0_14default_configENS1_21merge_config_selectorIsNS0_10empty_typeEEEZNS1_10merge_implIS3_N6thrust23THRUST_200600_302600_NS6detail15normal_iteratorINS9_10device_ptrIKsEEEESF_NSB_INSC_IsEEEEPS5_SI_SI_NS9_4lessIsEEEE10hipError_tPvRmT0_T1_T2_T3_T4_T5_mmT6_P12ihipStream_tbEUlT_E0_NS1_11comp_targetILNS1_3genE8ELNS1_11target_archE1030ELNS1_3gpuE2ELNS1_3repE0EEENS1_30default_config_static_selectorELNS0_4arch9wavefront6targetE1EEEvSP_ ; -- Begin function _ZN7rocprim17ROCPRIM_400000_NS6detail17trampoline_kernelINS0_14default_configENS1_21merge_config_selectorIsNS0_10empty_typeEEEZNS1_10merge_implIS3_N6thrust23THRUST_200600_302600_NS6detail15normal_iteratorINS9_10device_ptrIKsEEEESF_NSB_INSC_IsEEEEPS5_SI_SI_NS9_4lessIsEEEE10hipError_tPvRmT0_T1_T2_T3_T4_T5_mmT6_P12ihipStream_tbEUlT_E0_NS1_11comp_targetILNS1_3genE8ELNS1_11target_archE1030ELNS1_3gpuE2ELNS1_3repE0EEENS1_30default_config_static_selectorELNS0_4arch9wavefront6targetE1EEEvSP_
	.globl	_ZN7rocprim17ROCPRIM_400000_NS6detail17trampoline_kernelINS0_14default_configENS1_21merge_config_selectorIsNS0_10empty_typeEEEZNS1_10merge_implIS3_N6thrust23THRUST_200600_302600_NS6detail15normal_iteratorINS9_10device_ptrIKsEEEESF_NSB_INSC_IsEEEEPS5_SI_SI_NS9_4lessIsEEEE10hipError_tPvRmT0_T1_T2_T3_T4_T5_mmT6_P12ihipStream_tbEUlT_E0_NS1_11comp_targetILNS1_3genE8ELNS1_11target_archE1030ELNS1_3gpuE2ELNS1_3repE0EEENS1_30default_config_static_selectorELNS0_4arch9wavefront6targetE1EEEvSP_
	.p2align	8
	.type	_ZN7rocprim17ROCPRIM_400000_NS6detail17trampoline_kernelINS0_14default_configENS1_21merge_config_selectorIsNS0_10empty_typeEEEZNS1_10merge_implIS3_N6thrust23THRUST_200600_302600_NS6detail15normal_iteratorINS9_10device_ptrIKsEEEESF_NSB_INSC_IsEEEEPS5_SI_SI_NS9_4lessIsEEEE10hipError_tPvRmT0_T1_T2_T3_T4_T5_mmT6_P12ihipStream_tbEUlT_E0_NS1_11comp_targetILNS1_3genE8ELNS1_11target_archE1030ELNS1_3gpuE2ELNS1_3repE0EEENS1_30default_config_static_selectorELNS0_4arch9wavefront6targetE1EEEvSP_,@function
_ZN7rocprim17ROCPRIM_400000_NS6detail17trampoline_kernelINS0_14default_configENS1_21merge_config_selectorIsNS0_10empty_typeEEEZNS1_10merge_implIS3_N6thrust23THRUST_200600_302600_NS6detail15normal_iteratorINS9_10device_ptrIKsEEEESF_NSB_INSC_IsEEEEPS5_SI_SI_NS9_4lessIsEEEE10hipError_tPvRmT0_T1_T2_T3_T4_T5_mmT6_P12ihipStream_tbEUlT_E0_NS1_11comp_targetILNS1_3genE8ELNS1_11target_archE1030ELNS1_3gpuE2ELNS1_3repE0EEENS1_30default_config_static_selectorELNS0_4arch9wavefront6targetE1EEEvSP_: ; @_ZN7rocprim17ROCPRIM_400000_NS6detail17trampoline_kernelINS0_14default_configENS1_21merge_config_selectorIsNS0_10empty_typeEEEZNS1_10merge_implIS3_N6thrust23THRUST_200600_302600_NS6detail15normal_iteratorINS9_10device_ptrIKsEEEESF_NSB_INSC_IsEEEEPS5_SI_SI_NS9_4lessIsEEEE10hipError_tPvRmT0_T1_T2_T3_T4_T5_mmT6_P12ihipStream_tbEUlT_E0_NS1_11comp_targetILNS1_3genE8ELNS1_11target_archE1030ELNS1_3gpuE2ELNS1_3repE0EEENS1_30default_config_static_selectorELNS0_4arch9wavefront6targetE1EEEvSP_
; %bb.0:
	.section	.rodata,"a",@progbits
	.p2align	6, 0x0
	.amdhsa_kernel _ZN7rocprim17ROCPRIM_400000_NS6detail17trampoline_kernelINS0_14default_configENS1_21merge_config_selectorIsNS0_10empty_typeEEEZNS1_10merge_implIS3_N6thrust23THRUST_200600_302600_NS6detail15normal_iteratorINS9_10device_ptrIKsEEEESF_NSB_INSC_IsEEEEPS5_SI_SI_NS9_4lessIsEEEE10hipError_tPvRmT0_T1_T2_T3_T4_T5_mmT6_P12ihipStream_tbEUlT_E0_NS1_11comp_targetILNS1_3genE8ELNS1_11target_archE1030ELNS1_3gpuE2ELNS1_3repE0EEENS1_30default_config_static_selectorELNS0_4arch9wavefront6targetE1EEEvSP_
		.amdhsa_group_segment_fixed_size 0
		.amdhsa_private_segment_fixed_size 0
		.amdhsa_kernarg_size 88
		.amdhsa_user_sgpr_count 6
		.amdhsa_user_sgpr_private_segment_buffer 1
		.amdhsa_user_sgpr_dispatch_ptr 0
		.amdhsa_user_sgpr_queue_ptr 0
		.amdhsa_user_sgpr_kernarg_segment_ptr 1
		.amdhsa_user_sgpr_dispatch_id 0
		.amdhsa_user_sgpr_flat_scratch_init 0
		.amdhsa_user_sgpr_kernarg_preload_length 0
		.amdhsa_user_sgpr_kernarg_preload_offset 0
		.amdhsa_user_sgpr_private_segment_size 0
		.amdhsa_uses_dynamic_stack 0
		.amdhsa_system_sgpr_private_segment_wavefront_offset 0
		.amdhsa_system_sgpr_workgroup_id_x 1
		.amdhsa_system_sgpr_workgroup_id_y 0
		.amdhsa_system_sgpr_workgroup_id_z 0
		.amdhsa_system_sgpr_workgroup_info 0
		.amdhsa_system_vgpr_workitem_id 0
		.amdhsa_next_free_vgpr 1
		.amdhsa_next_free_sgpr 0
		.amdhsa_accum_offset 4
		.amdhsa_reserve_vcc 0
		.amdhsa_reserve_flat_scratch 0
		.amdhsa_float_round_mode_32 0
		.amdhsa_float_round_mode_16_64 0
		.amdhsa_float_denorm_mode_32 3
		.amdhsa_float_denorm_mode_16_64 3
		.amdhsa_dx10_clamp 1
		.amdhsa_ieee_mode 1
		.amdhsa_fp16_overflow 0
		.amdhsa_tg_split 0
		.amdhsa_exception_fp_ieee_invalid_op 0
		.amdhsa_exception_fp_denorm_src 0
		.amdhsa_exception_fp_ieee_div_zero 0
		.amdhsa_exception_fp_ieee_overflow 0
		.amdhsa_exception_fp_ieee_underflow 0
		.amdhsa_exception_fp_ieee_inexact 0
		.amdhsa_exception_int_div_zero 0
	.end_amdhsa_kernel
	.section	.text._ZN7rocprim17ROCPRIM_400000_NS6detail17trampoline_kernelINS0_14default_configENS1_21merge_config_selectorIsNS0_10empty_typeEEEZNS1_10merge_implIS3_N6thrust23THRUST_200600_302600_NS6detail15normal_iteratorINS9_10device_ptrIKsEEEESF_NSB_INSC_IsEEEEPS5_SI_SI_NS9_4lessIsEEEE10hipError_tPvRmT0_T1_T2_T3_T4_T5_mmT6_P12ihipStream_tbEUlT_E0_NS1_11comp_targetILNS1_3genE8ELNS1_11target_archE1030ELNS1_3gpuE2ELNS1_3repE0EEENS1_30default_config_static_selectorELNS0_4arch9wavefront6targetE1EEEvSP_,"axG",@progbits,_ZN7rocprim17ROCPRIM_400000_NS6detail17trampoline_kernelINS0_14default_configENS1_21merge_config_selectorIsNS0_10empty_typeEEEZNS1_10merge_implIS3_N6thrust23THRUST_200600_302600_NS6detail15normal_iteratorINS9_10device_ptrIKsEEEESF_NSB_INSC_IsEEEEPS5_SI_SI_NS9_4lessIsEEEE10hipError_tPvRmT0_T1_T2_T3_T4_T5_mmT6_P12ihipStream_tbEUlT_E0_NS1_11comp_targetILNS1_3genE8ELNS1_11target_archE1030ELNS1_3gpuE2ELNS1_3repE0EEENS1_30default_config_static_selectorELNS0_4arch9wavefront6targetE1EEEvSP_,comdat
.Lfunc_end297:
	.size	_ZN7rocprim17ROCPRIM_400000_NS6detail17trampoline_kernelINS0_14default_configENS1_21merge_config_selectorIsNS0_10empty_typeEEEZNS1_10merge_implIS3_N6thrust23THRUST_200600_302600_NS6detail15normal_iteratorINS9_10device_ptrIKsEEEESF_NSB_INSC_IsEEEEPS5_SI_SI_NS9_4lessIsEEEE10hipError_tPvRmT0_T1_T2_T3_T4_T5_mmT6_P12ihipStream_tbEUlT_E0_NS1_11comp_targetILNS1_3genE8ELNS1_11target_archE1030ELNS1_3gpuE2ELNS1_3repE0EEENS1_30default_config_static_selectorELNS0_4arch9wavefront6targetE1EEEvSP_, .Lfunc_end297-_ZN7rocprim17ROCPRIM_400000_NS6detail17trampoline_kernelINS0_14default_configENS1_21merge_config_selectorIsNS0_10empty_typeEEEZNS1_10merge_implIS3_N6thrust23THRUST_200600_302600_NS6detail15normal_iteratorINS9_10device_ptrIKsEEEESF_NSB_INSC_IsEEEEPS5_SI_SI_NS9_4lessIsEEEE10hipError_tPvRmT0_T1_T2_T3_T4_T5_mmT6_P12ihipStream_tbEUlT_E0_NS1_11comp_targetILNS1_3genE8ELNS1_11target_archE1030ELNS1_3gpuE2ELNS1_3repE0EEENS1_30default_config_static_selectorELNS0_4arch9wavefront6targetE1EEEvSP_
                                        ; -- End function
	.section	.AMDGPU.csdata,"",@progbits
; Kernel info:
; codeLenInByte = 0
; NumSgprs: 4
; NumVgprs: 0
; NumAgprs: 0
; TotalNumVgprs: 0
; ScratchSize: 0
; MemoryBound: 0
; FloatMode: 240
; IeeeMode: 1
; LDSByteSize: 0 bytes/workgroup (compile time only)
; SGPRBlocks: 0
; VGPRBlocks: 0
; NumSGPRsForWavesPerEU: 4
; NumVGPRsForWavesPerEU: 1
; AccumOffset: 4
; Occupancy: 8
; WaveLimiterHint : 0
; COMPUTE_PGM_RSRC2:SCRATCH_EN: 0
; COMPUTE_PGM_RSRC2:USER_SGPR: 6
; COMPUTE_PGM_RSRC2:TRAP_HANDLER: 0
; COMPUTE_PGM_RSRC2:TGID_X_EN: 1
; COMPUTE_PGM_RSRC2:TGID_Y_EN: 0
; COMPUTE_PGM_RSRC2:TGID_Z_EN: 0
; COMPUTE_PGM_RSRC2:TIDIG_COMP_CNT: 0
; COMPUTE_PGM_RSRC3_GFX90A:ACCUM_OFFSET: 0
; COMPUTE_PGM_RSRC3_GFX90A:TG_SPLIT: 0
	.section	.text._ZN7rocprim17ROCPRIM_400000_NS6detail17trampoline_kernelINS0_14default_configENS1_22reduce_config_selectorIN6thrust23THRUST_200600_302600_NS5tupleIblNS6_9null_typeES8_S8_S8_S8_S8_S8_S8_EEEEZNS1_11reduce_implILb1ES3_NS6_12zip_iteratorINS7_INS6_11hip_rocprim26transform_input_iterator_tIbNSD_35transform_pair_of_input_iterators_tIbNS6_6detail15normal_iteratorINS6_10device_ptrIKsEEEESL_NS6_8equal_toIsEEEENSG_9not_fun_tINSD_8identityEEEEENSD_19counting_iterator_tIlEES8_S8_S8_S8_S8_S8_S8_S8_EEEEPS9_S9_NSD_9__find_if7functorIS9_EEEE10hipError_tPvRmT1_T2_T3_mT4_P12ihipStream_tbEUlT_E0_NS1_11comp_targetILNS1_3genE0ELNS1_11target_archE4294967295ELNS1_3gpuE0ELNS1_3repE0EEENS1_30default_config_static_selectorELNS0_4arch9wavefront6targetE1EEEvS14_,"axG",@progbits,_ZN7rocprim17ROCPRIM_400000_NS6detail17trampoline_kernelINS0_14default_configENS1_22reduce_config_selectorIN6thrust23THRUST_200600_302600_NS5tupleIblNS6_9null_typeES8_S8_S8_S8_S8_S8_S8_EEEEZNS1_11reduce_implILb1ES3_NS6_12zip_iteratorINS7_INS6_11hip_rocprim26transform_input_iterator_tIbNSD_35transform_pair_of_input_iterators_tIbNS6_6detail15normal_iteratorINS6_10device_ptrIKsEEEESL_NS6_8equal_toIsEEEENSG_9not_fun_tINSD_8identityEEEEENSD_19counting_iterator_tIlEES8_S8_S8_S8_S8_S8_S8_S8_EEEEPS9_S9_NSD_9__find_if7functorIS9_EEEE10hipError_tPvRmT1_T2_T3_mT4_P12ihipStream_tbEUlT_E0_NS1_11comp_targetILNS1_3genE0ELNS1_11target_archE4294967295ELNS1_3gpuE0ELNS1_3repE0EEENS1_30default_config_static_selectorELNS0_4arch9wavefront6targetE1EEEvS14_,comdat
	.protected	_ZN7rocprim17ROCPRIM_400000_NS6detail17trampoline_kernelINS0_14default_configENS1_22reduce_config_selectorIN6thrust23THRUST_200600_302600_NS5tupleIblNS6_9null_typeES8_S8_S8_S8_S8_S8_S8_EEEEZNS1_11reduce_implILb1ES3_NS6_12zip_iteratorINS7_INS6_11hip_rocprim26transform_input_iterator_tIbNSD_35transform_pair_of_input_iterators_tIbNS6_6detail15normal_iteratorINS6_10device_ptrIKsEEEESL_NS6_8equal_toIsEEEENSG_9not_fun_tINSD_8identityEEEEENSD_19counting_iterator_tIlEES8_S8_S8_S8_S8_S8_S8_S8_EEEEPS9_S9_NSD_9__find_if7functorIS9_EEEE10hipError_tPvRmT1_T2_T3_mT4_P12ihipStream_tbEUlT_E0_NS1_11comp_targetILNS1_3genE0ELNS1_11target_archE4294967295ELNS1_3gpuE0ELNS1_3repE0EEENS1_30default_config_static_selectorELNS0_4arch9wavefront6targetE1EEEvS14_ ; -- Begin function _ZN7rocprim17ROCPRIM_400000_NS6detail17trampoline_kernelINS0_14default_configENS1_22reduce_config_selectorIN6thrust23THRUST_200600_302600_NS5tupleIblNS6_9null_typeES8_S8_S8_S8_S8_S8_S8_EEEEZNS1_11reduce_implILb1ES3_NS6_12zip_iteratorINS7_INS6_11hip_rocprim26transform_input_iterator_tIbNSD_35transform_pair_of_input_iterators_tIbNS6_6detail15normal_iteratorINS6_10device_ptrIKsEEEESL_NS6_8equal_toIsEEEENSG_9not_fun_tINSD_8identityEEEEENSD_19counting_iterator_tIlEES8_S8_S8_S8_S8_S8_S8_S8_EEEEPS9_S9_NSD_9__find_if7functorIS9_EEEE10hipError_tPvRmT1_T2_T3_mT4_P12ihipStream_tbEUlT_E0_NS1_11comp_targetILNS1_3genE0ELNS1_11target_archE4294967295ELNS1_3gpuE0ELNS1_3repE0EEENS1_30default_config_static_selectorELNS0_4arch9wavefront6targetE1EEEvS14_
	.globl	_ZN7rocprim17ROCPRIM_400000_NS6detail17trampoline_kernelINS0_14default_configENS1_22reduce_config_selectorIN6thrust23THRUST_200600_302600_NS5tupleIblNS6_9null_typeES8_S8_S8_S8_S8_S8_S8_EEEEZNS1_11reduce_implILb1ES3_NS6_12zip_iteratorINS7_INS6_11hip_rocprim26transform_input_iterator_tIbNSD_35transform_pair_of_input_iterators_tIbNS6_6detail15normal_iteratorINS6_10device_ptrIKsEEEESL_NS6_8equal_toIsEEEENSG_9not_fun_tINSD_8identityEEEEENSD_19counting_iterator_tIlEES8_S8_S8_S8_S8_S8_S8_S8_EEEEPS9_S9_NSD_9__find_if7functorIS9_EEEE10hipError_tPvRmT1_T2_T3_mT4_P12ihipStream_tbEUlT_E0_NS1_11comp_targetILNS1_3genE0ELNS1_11target_archE4294967295ELNS1_3gpuE0ELNS1_3repE0EEENS1_30default_config_static_selectorELNS0_4arch9wavefront6targetE1EEEvS14_
	.p2align	8
	.type	_ZN7rocprim17ROCPRIM_400000_NS6detail17trampoline_kernelINS0_14default_configENS1_22reduce_config_selectorIN6thrust23THRUST_200600_302600_NS5tupleIblNS6_9null_typeES8_S8_S8_S8_S8_S8_S8_EEEEZNS1_11reduce_implILb1ES3_NS6_12zip_iteratorINS7_INS6_11hip_rocprim26transform_input_iterator_tIbNSD_35transform_pair_of_input_iterators_tIbNS6_6detail15normal_iteratorINS6_10device_ptrIKsEEEESL_NS6_8equal_toIsEEEENSG_9not_fun_tINSD_8identityEEEEENSD_19counting_iterator_tIlEES8_S8_S8_S8_S8_S8_S8_S8_EEEEPS9_S9_NSD_9__find_if7functorIS9_EEEE10hipError_tPvRmT1_T2_T3_mT4_P12ihipStream_tbEUlT_E0_NS1_11comp_targetILNS1_3genE0ELNS1_11target_archE4294967295ELNS1_3gpuE0ELNS1_3repE0EEENS1_30default_config_static_selectorELNS0_4arch9wavefront6targetE1EEEvS14_,@function
_ZN7rocprim17ROCPRIM_400000_NS6detail17trampoline_kernelINS0_14default_configENS1_22reduce_config_selectorIN6thrust23THRUST_200600_302600_NS5tupleIblNS6_9null_typeES8_S8_S8_S8_S8_S8_S8_EEEEZNS1_11reduce_implILb1ES3_NS6_12zip_iteratorINS7_INS6_11hip_rocprim26transform_input_iterator_tIbNSD_35transform_pair_of_input_iterators_tIbNS6_6detail15normal_iteratorINS6_10device_ptrIKsEEEESL_NS6_8equal_toIsEEEENSG_9not_fun_tINSD_8identityEEEEENSD_19counting_iterator_tIlEES8_S8_S8_S8_S8_S8_S8_S8_EEEEPS9_S9_NSD_9__find_if7functorIS9_EEEE10hipError_tPvRmT1_T2_T3_mT4_P12ihipStream_tbEUlT_E0_NS1_11comp_targetILNS1_3genE0ELNS1_11target_archE4294967295ELNS1_3gpuE0ELNS1_3repE0EEENS1_30default_config_static_selectorELNS0_4arch9wavefront6targetE1EEEvS14_: ; @_ZN7rocprim17ROCPRIM_400000_NS6detail17trampoline_kernelINS0_14default_configENS1_22reduce_config_selectorIN6thrust23THRUST_200600_302600_NS5tupleIblNS6_9null_typeES8_S8_S8_S8_S8_S8_S8_EEEEZNS1_11reduce_implILb1ES3_NS6_12zip_iteratorINS7_INS6_11hip_rocprim26transform_input_iterator_tIbNSD_35transform_pair_of_input_iterators_tIbNS6_6detail15normal_iteratorINS6_10device_ptrIKsEEEESL_NS6_8equal_toIsEEEENSG_9not_fun_tINSD_8identityEEEEENSD_19counting_iterator_tIlEES8_S8_S8_S8_S8_S8_S8_S8_EEEEPS9_S9_NSD_9__find_if7functorIS9_EEEE10hipError_tPvRmT1_T2_T3_mT4_P12ihipStream_tbEUlT_E0_NS1_11comp_targetILNS1_3genE0ELNS1_11target_archE4294967295ELNS1_3gpuE0ELNS1_3repE0EEENS1_30default_config_static_selectorELNS0_4arch9wavefront6targetE1EEEvS14_
; %bb.0:
	.section	.rodata,"a",@progbits
	.p2align	6, 0x0
	.amdhsa_kernel _ZN7rocprim17ROCPRIM_400000_NS6detail17trampoline_kernelINS0_14default_configENS1_22reduce_config_selectorIN6thrust23THRUST_200600_302600_NS5tupleIblNS6_9null_typeES8_S8_S8_S8_S8_S8_S8_EEEEZNS1_11reduce_implILb1ES3_NS6_12zip_iteratorINS7_INS6_11hip_rocprim26transform_input_iterator_tIbNSD_35transform_pair_of_input_iterators_tIbNS6_6detail15normal_iteratorINS6_10device_ptrIKsEEEESL_NS6_8equal_toIsEEEENSG_9not_fun_tINSD_8identityEEEEENSD_19counting_iterator_tIlEES8_S8_S8_S8_S8_S8_S8_S8_EEEEPS9_S9_NSD_9__find_if7functorIS9_EEEE10hipError_tPvRmT1_T2_T3_mT4_P12ihipStream_tbEUlT_E0_NS1_11comp_targetILNS1_3genE0ELNS1_11target_archE4294967295ELNS1_3gpuE0ELNS1_3repE0EEENS1_30default_config_static_selectorELNS0_4arch9wavefront6targetE1EEEvS14_
		.amdhsa_group_segment_fixed_size 0
		.amdhsa_private_segment_fixed_size 0
		.amdhsa_kernarg_size 104
		.amdhsa_user_sgpr_count 6
		.amdhsa_user_sgpr_private_segment_buffer 1
		.amdhsa_user_sgpr_dispatch_ptr 0
		.amdhsa_user_sgpr_queue_ptr 0
		.amdhsa_user_sgpr_kernarg_segment_ptr 1
		.amdhsa_user_sgpr_dispatch_id 0
		.amdhsa_user_sgpr_flat_scratch_init 0
		.amdhsa_user_sgpr_kernarg_preload_length 0
		.amdhsa_user_sgpr_kernarg_preload_offset 0
		.amdhsa_user_sgpr_private_segment_size 0
		.amdhsa_uses_dynamic_stack 0
		.amdhsa_system_sgpr_private_segment_wavefront_offset 0
		.amdhsa_system_sgpr_workgroup_id_x 1
		.amdhsa_system_sgpr_workgroup_id_y 0
		.amdhsa_system_sgpr_workgroup_id_z 0
		.amdhsa_system_sgpr_workgroup_info 0
		.amdhsa_system_vgpr_workitem_id 0
		.amdhsa_next_free_vgpr 1
		.amdhsa_next_free_sgpr 0
		.amdhsa_accum_offset 4
		.amdhsa_reserve_vcc 0
		.amdhsa_reserve_flat_scratch 0
		.amdhsa_float_round_mode_32 0
		.amdhsa_float_round_mode_16_64 0
		.amdhsa_float_denorm_mode_32 3
		.amdhsa_float_denorm_mode_16_64 3
		.amdhsa_dx10_clamp 1
		.amdhsa_ieee_mode 1
		.amdhsa_fp16_overflow 0
		.amdhsa_tg_split 0
		.amdhsa_exception_fp_ieee_invalid_op 0
		.amdhsa_exception_fp_denorm_src 0
		.amdhsa_exception_fp_ieee_div_zero 0
		.amdhsa_exception_fp_ieee_overflow 0
		.amdhsa_exception_fp_ieee_underflow 0
		.amdhsa_exception_fp_ieee_inexact 0
		.amdhsa_exception_int_div_zero 0
	.end_amdhsa_kernel
	.section	.text._ZN7rocprim17ROCPRIM_400000_NS6detail17trampoline_kernelINS0_14default_configENS1_22reduce_config_selectorIN6thrust23THRUST_200600_302600_NS5tupleIblNS6_9null_typeES8_S8_S8_S8_S8_S8_S8_EEEEZNS1_11reduce_implILb1ES3_NS6_12zip_iteratorINS7_INS6_11hip_rocprim26transform_input_iterator_tIbNSD_35transform_pair_of_input_iterators_tIbNS6_6detail15normal_iteratorINS6_10device_ptrIKsEEEESL_NS6_8equal_toIsEEEENSG_9not_fun_tINSD_8identityEEEEENSD_19counting_iterator_tIlEES8_S8_S8_S8_S8_S8_S8_S8_EEEEPS9_S9_NSD_9__find_if7functorIS9_EEEE10hipError_tPvRmT1_T2_T3_mT4_P12ihipStream_tbEUlT_E0_NS1_11comp_targetILNS1_3genE0ELNS1_11target_archE4294967295ELNS1_3gpuE0ELNS1_3repE0EEENS1_30default_config_static_selectorELNS0_4arch9wavefront6targetE1EEEvS14_,"axG",@progbits,_ZN7rocprim17ROCPRIM_400000_NS6detail17trampoline_kernelINS0_14default_configENS1_22reduce_config_selectorIN6thrust23THRUST_200600_302600_NS5tupleIblNS6_9null_typeES8_S8_S8_S8_S8_S8_S8_EEEEZNS1_11reduce_implILb1ES3_NS6_12zip_iteratorINS7_INS6_11hip_rocprim26transform_input_iterator_tIbNSD_35transform_pair_of_input_iterators_tIbNS6_6detail15normal_iteratorINS6_10device_ptrIKsEEEESL_NS6_8equal_toIsEEEENSG_9not_fun_tINSD_8identityEEEEENSD_19counting_iterator_tIlEES8_S8_S8_S8_S8_S8_S8_S8_EEEEPS9_S9_NSD_9__find_if7functorIS9_EEEE10hipError_tPvRmT1_T2_T3_mT4_P12ihipStream_tbEUlT_E0_NS1_11comp_targetILNS1_3genE0ELNS1_11target_archE4294967295ELNS1_3gpuE0ELNS1_3repE0EEENS1_30default_config_static_selectorELNS0_4arch9wavefront6targetE1EEEvS14_,comdat
.Lfunc_end298:
	.size	_ZN7rocprim17ROCPRIM_400000_NS6detail17trampoline_kernelINS0_14default_configENS1_22reduce_config_selectorIN6thrust23THRUST_200600_302600_NS5tupleIblNS6_9null_typeES8_S8_S8_S8_S8_S8_S8_EEEEZNS1_11reduce_implILb1ES3_NS6_12zip_iteratorINS7_INS6_11hip_rocprim26transform_input_iterator_tIbNSD_35transform_pair_of_input_iterators_tIbNS6_6detail15normal_iteratorINS6_10device_ptrIKsEEEESL_NS6_8equal_toIsEEEENSG_9not_fun_tINSD_8identityEEEEENSD_19counting_iterator_tIlEES8_S8_S8_S8_S8_S8_S8_S8_EEEEPS9_S9_NSD_9__find_if7functorIS9_EEEE10hipError_tPvRmT1_T2_T3_mT4_P12ihipStream_tbEUlT_E0_NS1_11comp_targetILNS1_3genE0ELNS1_11target_archE4294967295ELNS1_3gpuE0ELNS1_3repE0EEENS1_30default_config_static_selectorELNS0_4arch9wavefront6targetE1EEEvS14_, .Lfunc_end298-_ZN7rocprim17ROCPRIM_400000_NS6detail17trampoline_kernelINS0_14default_configENS1_22reduce_config_selectorIN6thrust23THRUST_200600_302600_NS5tupleIblNS6_9null_typeES8_S8_S8_S8_S8_S8_S8_EEEEZNS1_11reduce_implILb1ES3_NS6_12zip_iteratorINS7_INS6_11hip_rocprim26transform_input_iterator_tIbNSD_35transform_pair_of_input_iterators_tIbNS6_6detail15normal_iteratorINS6_10device_ptrIKsEEEESL_NS6_8equal_toIsEEEENSG_9not_fun_tINSD_8identityEEEEENSD_19counting_iterator_tIlEES8_S8_S8_S8_S8_S8_S8_S8_EEEEPS9_S9_NSD_9__find_if7functorIS9_EEEE10hipError_tPvRmT1_T2_T3_mT4_P12ihipStream_tbEUlT_E0_NS1_11comp_targetILNS1_3genE0ELNS1_11target_archE4294967295ELNS1_3gpuE0ELNS1_3repE0EEENS1_30default_config_static_selectorELNS0_4arch9wavefront6targetE1EEEvS14_
                                        ; -- End function
	.section	.AMDGPU.csdata,"",@progbits
; Kernel info:
; codeLenInByte = 0
; NumSgprs: 4
; NumVgprs: 0
; NumAgprs: 0
; TotalNumVgprs: 0
; ScratchSize: 0
; MemoryBound: 0
; FloatMode: 240
; IeeeMode: 1
; LDSByteSize: 0 bytes/workgroup (compile time only)
; SGPRBlocks: 0
; VGPRBlocks: 0
; NumSGPRsForWavesPerEU: 4
; NumVGPRsForWavesPerEU: 1
; AccumOffset: 4
; Occupancy: 8
; WaveLimiterHint : 0
; COMPUTE_PGM_RSRC2:SCRATCH_EN: 0
; COMPUTE_PGM_RSRC2:USER_SGPR: 6
; COMPUTE_PGM_RSRC2:TRAP_HANDLER: 0
; COMPUTE_PGM_RSRC2:TGID_X_EN: 1
; COMPUTE_PGM_RSRC2:TGID_Y_EN: 0
; COMPUTE_PGM_RSRC2:TGID_Z_EN: 0
; COMPUTE_PGM_RSRC2:TIDIG_COMP_CNT: 0
; COMPUTE_PGM_RSRC3_GFX90A:ACCUM_OFFSET: 0
; COMPUTE_PGM_RSRC3_GFX90A:TG_SPLIT: 0
	.section	.text._ZN7rocprim17ROCPRIM_400000_NS6detail17trampoline_kernelINS0_14default_configENS1_22reduce_config_selectorIN6thrust23THRUST_200600_302600_NS5tupleIblNS6_9null_typeES8_S8_S8_S8_S8_S8_S8_EEEEZNS1_11reduce_implILb1ES3_NS6_12zip_iteratorINS7_INS6_11hip_rocprim26transform_input_iterator_tIbNSD_35transform_pair_of_input_iterators_tIbNS6_6detail15normal_iteratorINS6_10device_ptrIKsEEEESL_NS6_8equal_toIsEEEENSG_9not_fun_tINSD_8identityEEEEENSD_19counting_iterator_tIlEES8_S8_S8_S8_S8_S8_S8_S8_EEEEPS9_S9_NSD_9__find_if7functorIS9_EEEE10hipError_tPvRmT1_T2_T3_mT4_P12ihipStream_tbEUlT_E0_NS1_11comp_targetILNS1_3genE5ELNS1_11target_archE942ELNS1_3gpuE9ELNS1_3repE0EEENS1_30default_config_static_selectorELNS0_4arch9wavefront6targetE1EEEvS14_,"axG",@progbits,_ZN7rocprim17ROCPRIM_400000_NS6detail17trampoline_kernelINS0_14default_configENS1_22reduce_config_selectorIN6thrust23THRUST_200600_302600_NS5tupleIblNS6_9null_typeES8_S8_S8_S8_S8_S8_S8_EEEEZNS1_11reduce_implILb1ES3_NS6_12zip_iteratorINS7_INS6_11hip_rocprim26transform_input_iterator_tIbNSD_35transform_pair_of_input_iterators_tIbNS6_6detail15normal_iteratorINS6_10device_ptrIKsEEEESL_NS6_8equal_toIsEEEENSG_9not_fun_tINSD_8identityEEEEENSD_19counting_iterator_tIlEES8_S8_S8_S8_S8_S8_S8_S8_EEEEPS9_S9_NSD_9__find_if7functorIS9_EEEE10hipError_tPvRmT1_T2_T3_mT4_P12ihipStream_tbEUlT_E0_NS1_11comp_targetILNS1_3genE5ELNS1_11target_archE942ELNS1_3gpuE9ELNS1_3repE0EEENS1_30default_config_static_selectorELNS0_4arch9wavefront6targetE1EEEvS14_,comdat
	.protected	_ZN7rocprim17ROCPRIM_400000_NS6detail17trampoline_kernelINS0_14default_configENS1_22reduce_config_selectorIN6thrust23THRUST_200600_302600_NS5tupleIblNS6_9null_typeES8_S8_S8_S8_S8_S8_S8_EEEEZNS1_11reduce_implILb1ES3_NS6_12zip_iteratorINS7_INS6_11hip_rocprim26transform_input_iterator_tIbNSD_35transform_pair_of_input_iterators_tIbNS6_6detail15normal_iteratorINS6_10device_ptrIKsEEEESL_NS6_8equal_toIsEEEENSG_9not_fun_tINSD_8identityEEEEENSD_19counting_iterator_tIlEES8_S8_S8_S8_S8_S8_S8_S8_EEEEPS9_S9_NSD_9__find_if7functorIS9_EEEE10hipError_tPvRmT1_T2_T3_mT4_P12ihipStream_tbEUlT_E0_NS1_11comp_targetILNS1_3genE5ELNS1_11target_archE942ELNS1_3gpuE9ELNS1_3repE0EEENS1_30default_config_static_selectorELNS0_4arch9wavefront6targetE1EEEvS14_ ; -- Begin function _ZN7rocprim17ROCPRIM_400000_NS6detail17trampoline_kernelINS0_14default_configENS1_22reduce_config_selectorIN6thrust23THRUST_200600_302600_NS5tupleIblNS6_9null_typeES8_S8_S8_S8_S8_S8_S8_EEEEZNS1_11reduce_implILb1ES3_NS6_12zip_iteratorINS7_INS6_11hip_rocprim26transform_input_iterator_tIbNSD_35transform_pair_of_input_iterators_tIbNS6_6detail15normal_iteratorINS6_10device_ptrIKsEEEESL_NS6_8equal_toIsEEEENSG_9not_fun_tINSD_8identityEEEEENSD_19counting_iterator_tIlEES8_S8_S8_S8_S8_S8_S8_S8_EEEEPS9_S9_NSD_9__find_if7functorIS9_EEEE10hipError_tPvRmT1_T2_T3_mT4_P12ihipStream_tbEUlT_E0_NS1_11comp_targetILNS1_3genE5ELNS1_11target_archE942ELNS1_3gpuE9ELNS1_3repE0EEENS1_30default_config_static_selectorELNS0_4arch9wavefront6targetE1EEEvS14_
	.globl	_ZN7rocprim17ROCPRIM_400000_NS6detail17trampoline_kernelINS0_14default_configENS1_22reduce_config_selectorIN6thrust23THRUST_200600_302600_NS5tupleIblNS6_9null_typeES8_S8_S8_S8_S8_S8_S8_EEEEZNS1_11reduce_implILb1ES3_NS6_12zip_iteratorINS7_INS6_11hip_rocprim26transform_input_iterator_tIbNSD_35transform_pair_of_input_iterators_tIbNS6_6detail15normal_iteratorINS6_10device_ptrIKsEEEESL_NS6_8equal_toIsEEEENSG_9not_fun_tINSD_8identityEEEEENSD_19counting_iterator_tIlEES8_S8_S8_S8_S8_S8_S8_S8_EEEEPS9_S9_NSD_9__find_if7functorIS9_EEEE10hipError_tPvRmT1_T2_T3_mT4_P12ihipStream_tbEUlT_E0_NS1_11comp_targetILNS1_3genE5ELNS1_11target_archE942ELNS1_3gpuE9ELNS1_3repE0EEENS1_30default_config_static_selectorELNS0_4arch9wavefront6targetE1EEEvS14_
	.p2align	8
	.type	_ZN7rocprim17ROCPRIM_400000_NS6detail17trampoline_kernelINS0_14default_configENS1_22reduce_config_selectorIN6thrust23THRUST_200600_302600_NS5tupleIblNS6_9null_typeES8_S8_S8_S8_S8_S8_S8_EEEEZNS1_11reduce_implILb1ES3_NS6_12zip_iteratorINS7_INS6_11hip_rocprim26transform_input_iterator_tIbNSD_35transform_pair_of_input_iterators_tIbNS6_6detail15normal_iteratorINS6_10device_ptrIKsEEEESL_NS6_8equal_toIsEEEENSG_9not_fun_tINSD_8identityEEEEENSD_19counting_iterator_tIlEES8_S8_S8_S8_S8_S8_S8_S8_EEEEPS9_S9_NSD_9__find_if7functorIS9_EEEE10hipError_tPvRmT1_T2_T3_mT4_P12ihipStream_tbEUlT_E0_NS1_11comp_targetILNS1_3genE5ELNS1_11target_archE942ELNS1_3gpuE9ELNS1_3repE0EEENS1_30default_config_static_selectorELNS0_4arch9wavefront6targetE1EEEvS14_,@function
_ZN7rocprim17ROCPRIM_400000_NS6detail17trampoline_kernelINS0_14default_configENS1_22reduce_config_selectorIN6thrust23THRUST_200600_302600_NS5tupleIblNS6_9null_typeES8_S8_S8_S8_S8_S8_S8_EEEEZNS1_11reduce_implILb1ES3_NS6_12zip_iteratorINS7_INS6_11hip_rocprim26transform_input_iterator_tIbNSD_35transform_pair_of_input_iterators_tIbNS6_6detail15normal_iteratorINS6_10device_ptrIKsEEEESL_NS6_8equal_toIsEEEENSG_9not_fun_tINSD_8identityEEEEENSD_19counting_iterator_tIlEES8_S8_S8_S8_S8_S8_S8_S8_EEEEPS9_S9_NSD_9__find_if7functorIS9_EEEE10hipError_tPvRmT1_T2_T3_mT4_P12ihipStream_tbEUlT_E0_NS1_11comp_targetILNS1_3genE5ELNS1_11target_archE942ELNS1_3gpuE9ELNS1_3repE0EEENS1_30default_config_static_selectorELNS0_4arch9wavefront6targetE1EEEvS14_: ; @_ZN7rocprim17ROCPRIM_400000_NS6detail17trampoline_kernelINS0_14default_configENS1_22reduce_config_selectorIN6thrust23THRUST_200600_302600_NS5tupleIblNS6_9null_typeES8_S8_S8_S8_S8_S8_S8_EEEEZNS1_11reduce_implILb1ES3_NS6_12zip_iteratorINS7_INS6_11hip_rocprim26transform_input_iterator_tIbNSD_35transform_pair_of_input_iterators_tIbNS6_6detail15normal_iteratorINS6_10device_ptrIKsEEEESL_NS6_8equal_toIsEEEENSG_9not_fun_tINSD_8identityEEEEENSD_19counting_iterator_tIlEES8_S8_S8_S8_S8_S8_S8_S8_EEEEPS9_S9_NSD_9__find_if7functorIS9_EEEE10hipError_tPvRmT1_T2_T3_mT4_P12ihipStream_tbEUlT_E0_NS1_11comp_targetILNS1_3genE5ELNS1_11target_archE942ELNS1_3gpuE9ELNS1_3repE0EEENS1_30default_config_static_selectorELNS0_4arch9wavefront6targetE1EEEvS14_
; %bb.0:
	.section	.rodata,"a",@progbits
	.p2align	6, 0x0
	.amdhsa_kernel _ZN7rocprim17ROCPRIM_400000_NS6detail17trampoline_kernelINS0_14default_configENS1_22reduce_config_selectorIN6thrust23THRUST_200600_302600_NS5tupleIblNS6_9null_typeES8_S8_S8_S8_S8_S8_S8_EEEEZNS1_11reduce_implILb1ES3_NS6_12zip_iteratorINS7_INS6_11hip_rocprim26transform_input_iterator_tIbNSD_35transform_pair_of_input_iterators_tIbNS6_6detail15normal_iteratorINS6_10device_ptrIKsEEEESL_NS6_8equal_toIsEEEENSG_9not_fun_tINSD_8identityEEEEENSD_19counting_iterator_tIlEES8_S8_S8_S8_S8_S8_S8_S8_EEEEPS9_S9_NSD_9__find_if7functorIS9_EEEE10hipError_tPvRmT1_T2_T3_mT4_P12ihipStream_tbEUlT_E0_NS1_11comp_targetILNS1_3genE5ELNS1_11target_archE942ELNS1_3gpuE9ELNS1_3repE0EEENS1_30default_config_static_selectorELNS0_4arch9wavefront6targetE1EEEvS14_
		.amdhsa_group_segment_fixed_size 0
		.amdhsa_private_segment_fixed_size 0
		.amdhsa_kernarg_size 104
		.amdhsa_user_sgpr_count 6
		.amdhsa_user_sgpr_private_segment_buffer 1
		.amdhsa_user_sgpr_dispatch_ptr 0
		.amdhsa_user_sgpr_queue_ptr 0
		.amdhsa_user_sgpr_kernarg_segment_ptr 1
		.amdhsa_user_sgpr_dispatch_id 0
		.amdhsa_user_sgpr_flat_scratch_init 0
		.amdhsa_user_sgpr_kernarg_preload_length 0
		.amdhsa_user_sgpr_kernarg_preload_offset 0
		.amdhsa_user_sgpr_private_segment_size 0
		.amdhsa_uses_dynamic_stack 0
		.amdhsa_system_sgpr_private_segment_wavefront_offset 0
		.amdhsa_system_sgpr_workgroup_id_x 1
		.amdhsa_system_sgpr_workgroup_id_y 0
		.amdhsa_system_sgpr_workgroup_id_z 0
		.amdhsa_system_sgpr_workgroup_info 0
		.amdhsa_system_vgpr_workitem_id 0
		.amdhsa_next_free_vgpr 1
		.amdhsa_next_free_sgpr 0
		.amdhsa_accum_offset 4
		.amdhsa_reserve_vcc 0
		.amdhsa_reserve_flat_scratch 0
		.amdhsa_float_round_mode_32 0
		.amdhsa_float_round_mode_16_64 0
		.amdhsa_float_denorm_mode_32 3
		.amdhsa_float_denorm_mode_16_64 3
		.amdhsa_dx10_clamp 1
		.amdhsa_ieee_mode 1
		.amdhsa_fp16_overflow 0
		.amdhsa_tg_split 0
		.amdhsa_exception_fp_ieee_invalid_op 0
		.amdhsa_exception_fp_denorm_src 0
		.amdhsa_exception_fp_ieee_div_zero 0
		.amdhsa_exception_fp_ieee_overflow 0
		.amdhsa_exception_fp_ieee_underflow 0
		.amdhsa_exception_fp_ieee_inexact 0
		.amdhsa_exception_int_div_zero 0
	.end_amdhsa_kernel
	.section	.text._ZN7rocprim17ROCPRIM_400000_NS6detail17trampoline_kernelINS0_14default_configENS1_22reduce_config_selectorIN6thrust23THRUST_200600_302600_NS5tupleIblNS6_9null_typeES8_S8_S8_S8_S8_S8_S8_EEEEZNS1_11reduce_implILb1ES3_NS6_12zip_iteratorINS7_INS6_11hip_rocprim26transform_input_iterator_tIbNSD_35transform_pair_of_input_iterators_tIbNS6_6detail15normal_iteratorINS6_10device_ptrIKsEEEESL_NS6_8equal_toIsEEEENSG_9not_fun_tINSD_8identityEEEEENSD_19counting_iterator_tIlEES8_S8_S8_S8_S8_S8_S8_S8_EEEEPS9_S9_NSD_9__find_if7functorIS9_EEEE10hipError_tPvRmT1_T2_T3_mT4_P12ihipStream_tbEUlT_E0_NS1_11comp_targetILNS1_3genE5ELNS1_11target_archE942ELNS1_3gpuE9ELNS1_3repE0EEENS1_30default_config_static_selectorELNS0_4arch9wavefront6targetE1EEEvS14_,"axG",@progbits,_ZN7rocprim17ROCPRIM_400000_NS6detail17trampoline_kernelINS0_14default_configENS1_22reduce_config_selectorIN6thrust23THRUST_200600_302600_NS5tupleIblNS6_9null_typeES8_S8_S8_S8_S8_S8_S8_EEEEZNS1_11reduce_implILb1ES3_NS6_12zip_iteratorINS7_INS6_11hip_rocprim26transform_input_iterator_tIbNSD_35transform_pair_of_input_iterators_tIbNS6_6detail15normal_iteratorINS6_10device_ptrIKsEEEESL_NS6_8equal_toIsEEEENSG_9not_fun_tINSD_8identityEEEEENSD_19counting_iterator_tIlEES8_S8_S8_S8_S8_S8_S8_S8_EEEEPS9_S9_NSD_9__find_if7functorIS9_EEEE10hipError_tPvRmT1_T2_T3_mT4_P12ihipStream_tbEUlT_E0_NS1_11comp_targetILNS1_3genE5ELNS1_11target_archE942ELNS1_3gpuE9ELNS1_3repE0EEENS1_30default_config_static_selectorELNS0_4arch9wavefront6targetE1EEEvS14_,comdat
.Lfunc_end299:
	.size	_ZN7rocprim17ROCPRIM_400000_NS6detail17trampoline_kernelINS0_14default_configENS1_22reduce_config_selectorIN6thrust23THRUST_200600_302600_NS5tupleIblNS6_9null_typeES8_S8_S8_S8_S8_S8_S8_EEEEZNS1_11reduce_implILb1ES3_NS6_12zip_iteratorINS7_INS6_11hip_rocprim26transform_input_iterator_tIbNSD_35transform_pair_of_input_iterators_tIbNS6_6detail15normal_iteratorINS6_10device_ptrIKsEEEESL_NS6_8equal_toIsEEEENSG_9not_fun_tINSD_8identityEEEEENSD_19counting_iterator_tIlEES8_S8_S8_S8_S8_S8_S8_S8_EEEEPS9_S9_NSD_9__find_if7functorIS9_EEEE10hipError_tPvRmT1_T2_T3_mT4_P12ihipStream_tbEUlT_E0_NS1_11comp_targetILNS1_3genE5ELNS1_11target_archE942ELNS1_3gpuE9ELNS1_3repE0EEENS1_30default_config_static_selectorELNS0_4arch9wavefront6targetE1EEEvS14_, .Lfunc_end299-_ZN7rocprim17ROCPRIM_400000_NS6detail17trampoline_kernelINS0_14default_configENS1_22reduce_config_selectorIN6thrust23THRUST_200600_302600_NS5tupleIblNS6_9null_typeES8_S8_S8_S8_S8_S8_S8_EEEEZNS1_11reduce_implILb1ES3_NS6_12zip_iteratorINS7_INS6_11hip_rocprim26transform_input_iterator_tIbNSD_35transform_pair_of_input_iterators_tIbNS6_6detail15normal_iteratorINS6_10device_ptrIKsEEEESL_NS6_8equal_toIsEEEENSG_9not_fun_tINSD_8identityEEEEENSD_19counting_iterator_tIlEES8_S8_S8_S8_S8_S8_S8_S8_EEEEPS9_S9_NSD_9__find_if7functorIS9_EEEE10hipError_tPvRmT1_T2_T3_mT4_P12ihipStream_tbEUlT_E0_NS1_11comp_targetILNS1_3genE5ELNS1_11target_archE942ELNS1_3gpuE9ELNS1_3repE0EEENS1_30default_config_static_selectorELNS0_4arch9wavefront6targetE1EEEvS14_
                                        ; -- End function
	.section	.AMDGPU.csdata,"",@progbits
; Kernel info:
; codeLenInByte = 0
; NumSgprs: 4
; NumVgprs: 0
; NumAgprs: 0
; TotalNumVgprs: 0
; ScratchSize: 0
; MemoryBound: 0
; FloatMode: 240
; IeeeMode: 1
; LDSByteSize: 0 bytes/workgroup (compile time only)
; SGPRBlocks: 0
; VGPRBlocks: 0
; NumSGPRsForWavesPerEU: 4
; NumVGPRsForWavesPerEU: 1
; AccumOffset: 4
; Occupancy: 8
; WaveLimiterHint : 0
; COMPUTE_PGM_RSRC2:SCRATCH_EN: 0
; COMPUTE_PGM_RSRC2:USER_SGPR: 6
; COMPUTE_PGM_RSRC2:TRAP_HANDLER: 0
; COMPUTE_PGM_RSRC2:TGID_X_EN: 1
; COMPUTE_PGM_RSRC2:TGID_Y_EN: 0
; COMPUTE_PGM_RSRC2:TGID_Z_EN: 0
; COMPUTE_PGM_RSRC2:TIDIG_COMP_CNT: 0
; COMPUTE_PGM_RSRC3_GFX90A:ACCUM_OFFSET: 0
; COMPUTE_PGM_RSRC3_GFX90A:TG_SPLIT: 0
	.section	.text._ZN7rocprim17ROCPRIM_400000_NS6detail17trampoline_kernelINS0_14default_configENS1_22reduce_config_selectorIN6thrust23THRUST_200600_302600_NS5tupleIblNS6_9null_typeES8_S8_S8_S8_S8_S8_S8_EEEEZNS1_11reduce_implILb1ES3_NS6_12zip_iteratorINS7_INS6_11hip_rocprim26transform_input_iterator_tIbNSD_35transform_pair_of_input_iterators_tIbNS6_6detail15normal_iteratorINS6_10device_ptrIKsEEEESL_NS6_8equal_toIsEEEENSG_9not_fun_tINSD_8identityEEEEENSD_19counting_iterator_tIlEES8_S8_S8_S8_S8_S8_S8_S8_EEEEPS9_S9_NSD_9__find_if7functorIS9_EEEE10hipError_tPvRmT1_T2_T3_mT4_P12ihipStream_tbEUlT_E0_NS1_11comp_targetILNS1_3genE4ELNS1_11target_archE910ELNS1_3gpuE8ELNS1_3repE0EEENS1_30default_config_static_selectorELNS0_4arch9wavefront6targetE1EEEvS14_,"axG",@progbits,_ZN7rocprim17ROCPRIM_400000_NS6detail17trampoline_kernelINS0_14default_configENS1_22reduce_config_selectorIN6thrust23THRUST_200600_302600_NS5tupleIblNS6_9null_typeES8_S8_S8_S8_S8_S8_S8_EEEEZNS1_11reduce_implILb1ES3_NS6_12zip_iteratorINS7_INS6_11hip_rocprim26transform_input_iterator_tIbNSD_35transform_pair_of_input_iterators_tIbNS6_6detail15normal_iteratorINS6_10device_ptrIKsEEEESL_NS6_8equal_toIsEEEENSG_9not_fun_tINSD_8identityEEEEENSD_19counting_iterator_tIlEES8_S8_S8_S8_S8_S8_S8_S8_EEEEPS9_S9_NSD_9__find_if7functorIS9_EEEE10hipError_tPvRmT1_T2_T3_mT4_P12ihipStream_tbEUlT_E0_NS1_11comp_targetILNS1_3genE4ELNS1_11target_archE910ELNS1_3gpuE8ELNS1_3repE0EEENS1_30default_config_static_selectorELNS0_4arch9wavefront6targetE1EEEvS14_,comdat
	.protected	_ZN7rocprim17ROCPRIM_400000_NS6detail17trampoline_kernelINS0_14default_configENS1_22reduce_config_selectorIN6thrust23THRUST_200600_302600_NS5tupleIblNS6_9null_typeES8_S8_S8_S8_S8_S8_S8_EEEEZNS1_11reduce_implILb1ES3_NS6_12zip_iteratorINS7_INS6_11hip_rocprim26transform_input_iterator_tIbNSD_35transform_pair_of_input_iterators_tIbNS6_6detail15normal_iteratorINS6_10device_ptrIKsEEEESL_NS6_8equal_toIsEEEENSG_9not_fun_tINSD_8identityEEEEENSD_19counting_iterator_tIlEES8_S8_S8_S8_S8_S8_S8_S8_EEEEPS9_S9_NSD_9__find_if7functorIS9_EEEE10hipError_tPvRmT1_T2_T3_mT4_P12ihipStream_tbEUlT_E0_NS1_11comp_targetILNS1_3genE4ELNS1_11target_archE910ELNS1_3gpuE8ELNS1_3repE0EEENS1_30default_config_static_selectorELNS0_4arch9wavefront6targetE1EEEvS14_ ; -- Begin function _ZN7rocprim17ROCPRIM_400000_NS6detail17trampoline_kernelINS0_14default_configENS1_22reduce_config_selectorIN6thrust23THRUST_200600_302600_NS5tupleIblNS6_9null_typeES8_S8_S8_S8_S8_S8_S8_EEEEZNS1_11reduce_implILb1ES3_NS6_12zip_iteratorINS7_INS6_11hip_rocprim26transform_input_iterator_tIbNSD_35transform_pair_of_input_iterators_tIbNS6_6detail15normal_iteratorINS6_10device_ptrIKsEEEESL_NS6_8equal_toIsEEEENSG_9not_fun_tINSD_8identityEEEEENSD_19counting_iterator_tIlEES8_S8_S8_S8_S8_S8_S8_S8_EEEEPS9_S9_NSD_9__find_if7functorIS9_EEEE10hipError_tPvRmT1_T2_T3_mT4_P12ihipStream_tbEUlT_E0_NS1_11comp_targetILNS1_3genE4ELNS1_11target_archE910ELNS1_3gpuE8ELNS1_3repE0EEENS1_30default_config_static_selectorELNS0_4arch9wavefront6targetE1EEEvS14_
	.globl	_ZN7rocprim17ROCPRIM_400000_NS6detail17trampoline_kernelINS0_14default_configENS1_22reduce_config_selectorIN6thrust23THRUST_200600_302600_NS5tupleIblNS6_9null_typeES8_S8_S8_S8_S8_S8_S8_EEEEZNS1_11reduce_implILb1ES3_NS6_12zip_iteratorINS7_INS6_11hip_rocprim26transform_input_iterator_tIbNSD_35transform_pair_of_input_iterators_tIbNS6_6detail15normal_iteratorINS6_10device_ptrIKsEEEESL_NS6_8equal_toIsEEEENSG_9not_fun_tINSD_8identityEEEEENSD_19counting_iterator_tIlEES8_S8_S8_S8_S8_S8_S8_S8_EEEEPS9_S9_NSD_9__find_if7functorIS9_EEEE10hipError_tPvRmT1_T2_T3_mT4_P12ihipStream_tbEUlT_E0_NS1_11comp_targetILNS1_3genE4ELNS1_11target_archE910ELNS1_3gpuE8ELNS1_3repE0EEENS1_30default_config_static_selectorELNS0_4arch9wavefront6targetE1EEEvS14_
	.p2align	8
	.type	_ZN7rocprim17ROCPRIM_400000_NS6detail17trampoline_kernelINS0_14default_configENS1_22reduce_config_selectorIN6thrust23THRUST_200600_302600_NS5tupleIblNS6_9null_typeES8_S8_S8_S8_S8_S8_S8_EEEEZNS1_11reduce_implILb1ES3_NS6_12zip_iteratorINS7_INS6_11hip_rocprim26transform_input_iterator_tIbNSD_35transform_pair_of_input_iterators_tIbNS6_6detail15normal_iteratorINS6_10device_ptrIKsEEEESL_NS6_8equal_toIsEEEENSG_9not_fun_tINSD_8identityEEEEENSD_19counting_iterator_tIlEES8_S8_S8_S8_S8_S8_S8_S8_EEEEPS9_S9_NSD_9__find_if7functorIS9_EEEE10hipError_tPvRmT1_T2_T3_mT4_P12ihipStream_tbEUlT_E0_NS1_11comp_targetILNS1_3genE4ELNS1_11target_archE910ELNS1_3gpuE8ELNS1_3repE0EEENS1_30default_config_static_selectorELNS0_4arch9wavefront6targetE1EEEvS14_,@function
_ZN7rocprim17ROCPRIM_400000_NS6detail17trampoline_kernelINS0_14default_configENS1_22reduce_config_selectorIN6thrust23THRUST_200600_302600_NS5tupleIblNS6_9null_typeES8_S8_S8_S8_S8_S8_S8_EEEEZNS1_11reduce_implILb1ES3_NS6_12zip_iteratorINS7_INS6_11hip_rocprim26transform_input_iterator_tIbNSD_35transform_pair_of_input_iterators_tIbNS6_6detail15normal_iteratorINS6_10device_ptrIKsEEEESL_NS6_8equal_toIsEEEENSG_9not_fun_tINSD_8identityEEEEENSD_19counting_iterator_tIlEES8_S8_S8_S8_S8_S8_S8_S8_EEEEPS9_S9_NSD_9__find_if7functorIS9_EEEE10hipError_tPvRmT1_T2_T3_mT4_P12ihipStream_tbEUlT_E0_NS1_11comp_targetILNS1_3genE4ELNS1_11target_archE910ELNS1_3gpuE8ELNS1_3repE0EEENS1_30default_config_static_selectorELNS0_4arch9wavefront6targetE1EEEvS14_: ; @_ZN7rocprim17ROCPRIM_400000_NS6detail17trampoline_kernelINS0_14default_configENS1_22reduce_config_selectorIN6thrust23THRUST_200600_302600_NS5tupleIblNS6_9null_typeES8_S8_S8_S8_S8_S8_S8_EEEEZNS1_11reduce_implILb1ES3_NS6_12zip_iteratorINS7_INS6_11hip_rocprim26transform_input_iterator_tIbNSD_35transform_pair_of_input_iterators_tIbNS6_6detail15normal_iteratorINS6_10device_ptrIKsEEEESL_NS6_8equal_toIsEEEENSG_9not_fun_tINSD_8identityEEEEENSD_19counting_iterator_tIlEES8_S8_S8_S8_S8_S8_S8_S8_EEEEPS9_S9_NSD_9__find_if7functorIS9_EEEE10hipError_tPvRmT1_T2_T3_mT4_P12ihipStream_tbEUlT_E0_NS1_11comp_targetILNS1_3genE4ELNS1_11target_archE910ELNS1_3gpuE8ELNS1_3repE0EEENS1_30default_config_static_selectorELNS0_4arch9wavefront6targetE1EEEvS14_
; %bb.0:
	s_load_dwordx8 s[8:15], s[4:5], 0x20
	s_load_dwordx4 s[0:3], s[4:5], 0x0
	s_load_dwordx4 s[16:19], s[4:5], 0x40
	s_mov_b32 s25, 0
	s_mov_b32 s7, s25
	s_waitcnt lgkmcnt(0)
	s_lshl_b64 s[20:21], s[10:11], 1
	s_add_u32 s22, s0, s20
	s_addc_u32 s23, s1, s21
	s_add_u32 s26, s2, s20
	s_addc_u32 s27, s3, s21
	s_lshl_b32 s24, s6, 9
	s_lshr_b64 s[0:1], s[12:13], 9
	s_lshl_b64 s[2:3], s[24:25], 1
	s_add_u32 s20, s22, s2
	s_addc_u32 s21, s23, s3
	s_add_u32 s22, s26, s2
	s_addc_u32 s23, s27, s3
	;; [unrolled: 2-line block ×4, first 2 shown]
	s_cmp_lg_u64 s[0:1], s[6:7]
	v_lshlrev_b32_e32 v1, 1, v0
	s_cbranch_scc0 .LBB300_18
; %bb.1:
	global_load_ushort v2, v1, s[22:23] offset:512
	global_load_ushort v3, v1, s[22:23]
	global_load_ushort v4, v1, s[20:21] offset:512
	global_load_ushort v5, v1, s[20:21]
	v_mov_b32_e32 v6, s9
	v_add_co_u32_e32 v7, vcc, s8, v0
	v_addc_co_u32_e32 v6, vcc, 0, v6, vcc
	v_add_co_u32_e32 v8, vcc, 0x100, v7
	v_addc_co_u32_e32 v9, vcc, 0, v6, vcc
	s_waitcnt vmcnt(1)
	v_cmp_ne_u16_e32 vcc, v4, v2
	s_waitcnt vmcnt(0)
	v_cmp_ne_u16_e64 s[0:1], v5, v3
	v_cndmask_b32_e64 v3, v9, v6, s[0:1]
	v_cndmask_b32_e64 v2, v8, v7, s[0:1]
	s_or_b64 s[0:1], s[0:1], vcc
	v_cndmask_b32_e64 v6, 0, 1, s[0:1]
	v_mov_b32_dpp v4, v2 quad_perm:[1,0,3,2] row_mask:0xf bank_mask:0xf bound_ctrl:1
	v_mov_b32_dpp v5, v3 quad_perm:[1,0,3,2] row_mask:0xf bank_mask:0xf bound_ctrl:1
	;; [unrolled: 1-line block ×3, first 2 shown]
	v_and_b32_e32 v8, 1, v7
	v_cmp_eq_u32_e32 vcc, 1, v8
	s_and_saveexec_b64 s[2:3], vcc
; %bb.2:
	v_cmp_lt_i64_e32 vcc, v[2:3], v[4:5]
	v_cndmask_b32_e64 v7, v7, 1, s[0:1]
	s_and_b64 vcc, s[0:1], vcc
	v_cndmask_b32_e32 v2, v4, v2, vcc
	v_and_b32_e32 v4, 1, v7
	v_cndmask_b32_e32 v3, v5, v3, vcc
	v_cmp_eq_u32_e32 vcc, 1, v4
	s_andn2_b64 s[0:1], s[0:1], exec
	s_and_b64 s[10:11], vcc, exec
	v_and_b32_e32 v6, 0xff, v7
	s_or_b64 s[0:1], s[0:1], s[10:11]
; %bb.3:
	s_or_b64 exec, exec, s[2:3]
	v_mov_b32_dpp v7, v6 quad_perm:[2,3,0,1] row_mask:0xf bank_mask:0xf bound_ctrl:1
	v_and_b32_e32 v8, 1, v7
	v_mov_b32_dpp v4, v2 quad_perm:[2,3,0,1] row_mask:0xf bank_mask:0xf bound_ctrl:1
	v_mov_b32_dpp v5, v3 quad_perm:[2,3,0,1] row_mask:0xf bank_mask:0xf bound_ctrl:1
	v_cmp_eq_u32_e32 vcc, 1, v8
	s_and_saveexec_b64 s[2:3], vcc
; %bb.4:
	v_cmp_lt_i64_e32 vcc, v[2:3], v[4:5]
	v_cndmask_b32_e64 v7, v7, 1, s[0:1]
	s_and_b64 vcc, s[0:1], vcc
	v_cndmask_b32_e32 v2, v4, v2, vcc
	v_and_b32_e32 v4, 1, v7
	v_cndmask_b32_e32 v3, v5, v3, vcc
	v_cmp_eq_u32_e32 vcc, 1, v4
	s_andn2_b64 s[0:1], s[0:1], exec
	s_and_b64 s[10:11], vcc, exec
	v_and_b32_e32 v6, 0xff, v7
	s_or_b64 s[0:1], s[0:1], s[10:11]
; %bb.5:
	s_or_b64 exec, exec, s[2:3]
	v_mov_b32_dpp v7, v6 row_ror:4 row_mask:0xf bank_mask:0xf bound_ctrl:1
	v_and_b32_e32 v8, 1, v7
	v_mov_b32_dpp v4, v2 row_ror:4 row_mask:0xf bank_mask:0xf bound_ctrl:1
	v_mov_b32_dpp v5, v3 row_ror:4 row_mask:0xf bank_mask:0xf bound_ctrl:1
	v_cmp_eq_u32_e32 vcc, 1, v8
	s_and_saveexec_b64 s[2:3], vcc
; %bb.6:
	v_cmp_lt_i64_e32 vcc, v[2:3], v[4:5]
	v_cndmask_b32_e64 v7, v7, 1, s[0:1]
	s_and_b64 vcc, s[0:1], vcc
	v_cndmask_b32_e32 v2, v4, v2, vcc
	v_and_b32_e32 v4, 1, v7
	v_cndmask_b32_e32 v3, v5, v3, vcc
	v_cmp_eq_u32_e32 vcc, 1, v4
	s_andn2_b64 s[0:1], s[0:1], exec
	s_and_b64 s[10:11], vcc, exec
	v_and_b32_e32 v6, 0xff, v7
	s_or_b64 s[0:1], s[0:1], s[10:11]
; %bb.7:
	s_or_b64 exec, exec, s[2:3]
	v_mov_b32_dpp v7, v6 row_ror:8 row_mask:0xf bank_mask:0xf bound_ctrl:1
	v_and_b32_e32 v8, 1, v7
	v_mov_b32_dpp v4, v2 row_ror:8 row_mask:0xf bank_mask:0xf bound_ctrl:1
	v_mov_b32_dpp v5, v3 row_ror:8 row_mask:0xf bank_mask:0xf bound_ctrl:1
	v_cmp_eq_u32_e32 vcc, 1, v8
	s_and_saveexec_b64 s[2:3], vcc
; %bb.8:
	v_cmp_lt_i64_e32 vcc, v[2:3], v[4:5]
	v_cndmask_b32_e64 v7, v7, 1, s[0:1]
	s_and_b64 vcc, s[0:1], vcc
	v_cndmask_b32_e32 v2, v4, v2, vcc
	v_and_b32_e32 v4, 1, v7
	v_cndmask_b32_e32 v3, v5, v3, vcc
	v_cmp_eq_u32_e32 vcc, 1, v4
	s_andn2_b64 s[0:1], s[0:1], exec
	s_and_b64 s[10:11], vcc, exec
	v_and_b32_e32 v6, 0xff, v7
	s_or_b64 s[0:1], s[0:1], s[10:11]
; %bb.9:
	s_or_b64 exec, exec, s[2:3]
	v_mov_b32_dpp v7, v6 row_bcast:15 row_mask:0xf bank_mask:0xf bound_ctrl:1
	v_and_b32_e32 v8, 1, v7
	v_mov_b32_dpp v4, v2 row_bcast:15 row_mask:0xf bank_mask:0xf bound_ctrl:1
	v_mov_b32_dpp v5, v3 row_bcast:15 row_mask:0xf bank_mask:0xf bound_ctrl:1
	v_cmp_eq_u32_e32 vcc, 1, v8
	s_and_saveexec_b64 s[2:3], vcc
; %bb.10:
	v_cmp_lt_i64_e32 vcc, v[2:3], v[4:5]
	v_cndmask_b32_e64 v7, v7, 1, s[0:1]
	s_and_b64 vcc, s[0:1], vcc
	v_cndmask_b32_e32 v2, v4, v2, vcc
	v_and_b32_e32 v4, 1, v7
	v_cndmask_b32_e32 v3, v5, v3, vcc
	v_cmp_eq_u32_e32 vcc, 1, v4
	s_andn2_b64 s[0:1], s[0:1], exec
	s_and_b64 s[10:11], vcc, exec
	v_and_b32_e32 v6, 0xff, v7
	s_or_b64 s[0:1], s[0:1], s[10:11]
; %bb.11:
	s_or_b64 exec, exec, s[2:3]
	v_mov_b32_dpp v7, v6 row_bcast:31 row_mask:0xf bank_mask:0xf bound_ctrl:1
	v_and_b32_e32 v8, 1, v7
	v_mov_b32_dpp v4, v2 row_bcast:31 row_mask:0xf bank_mask:0xf bound_ctrl:1
	v_mov_b32_dpp v5, v3 row_bcast:31 row_mask:0xf bank_mask:0xf bound_ctrl:1
	v_cmp_eq_u32_e32 vcc, 1, v8
	s_and_saveexec_b64 s[2:3], vcc
; %bb.12:
	v_cmp_lt_i64_e32 vcc, v[2:3], v[4:5]
	v_and_b32_e32 v6, 0xff, v7
	s_and_b64 vcc, s[0:1], vcc
	v_cndmask_b32_e32 v2, v4, v2, vcc
	v_cndmask_b32_e32 v3, v5, v3, vcc
	v_cndmask_b32_e64 v6, v6, 1, s[0:1]
; %bb.13:
	s_or_b64 exec, exec, s[2:3]
	v_mbcnt_lo_u32_b32 v4, -1, 0
	v_mbcnt_hi_u32_b32 v4, -1, v4
	v_bfrev_b32_e32 v5, 0.5
	v_lshl_or_b32 v5, v4, 2, v5
	ds_bpermute_b32 v6, v5, v6
	ds_bpermute_b32 v2, v5, v2
	;; [unrolled: 1-line block ×3, first 2 shown]
	v_cmp_eq_u32_e32 vcc, 0, v4
	s_and_saveexec_b64 s[0:1], vcc
	s_cbranch_execz .LBB300_15
; %bb.14:
	v_lshrrev_b32_e32 v5, 2, v0
	v_and_b32_e32 v5, 48, v5
	s_waitcnt lgkmcnt(2)
	ds_write_b8 v5, v6
	s_waitcnt lgkmcnt(1)
	ds_write_b64 v5, v[2:3] offset:8
.LBB300_15:
	s_or_b64 exec, exec, s[0:1]
	v_cmp_gt_u32_e32 vcc, 64, v0
	s_waitcnt lgkmcnt(0)
	s_barrier
	s_and_saveexec_b64 s[2:3], vcc
	s_cbranch_execz .LBB300_17
; %bb.16:
	v_and_b32_e32 v5, 3, v4
	v_lshlrev_b32_e32 v2, 4, v5
	ds_read_u8 v8, v2
	ds_read_b64 v[2:3], v2 offset:8
	v_cmp_ne_u32_e32 vcc, 3, v5
	v_addc_co_u32_e32 v6, vcc, 0, v4, vcc
	s_waitcnt lgkmcnt(1)
	v_and_b32_e32 v7, 0xff, v8
	v_lshlrev_b32_e32 v9, 2, v6
	ds_bpermute_b32 v10, v9, v7
	s_waitcnt lgkmcnt(1)
	ds_bpermute_b32 v6, v9, v2
	ds_bpermute_b32 v7, v9, v3
	v_and_b32_e32 v9, 1, v8
	s_waitcnt lgkmcnt(2)
	v_and_b32_e32 v11, 1, v10
	v_cmp_eq_u32_e64 s[0:1], 1, v11
	s_waitcnt lgkmcnt(0)
	v_cmp_lt_i64_e32 vcc, v[6:7], v[2:3]
	s_and_b64 vcc, s[0:1], vcc
	v_cndmask_b32_e64 v8, v8, 1, s[0:1]
	v_cndmask_b32_e32 v2, v2, v6, vcc
	v_cndmask_b32_e32 v3, v3, v7, vcc
	v_cmp_eq_u32_e32 vcc, 1, v9
	v_cndmask_b32_e32 v8, v10, v8, vcc
	v_cndmask_b32_e32 v3, v7, v3, vcc
	;; [unrolled: 1-line block ×3, first 2 shown]
	v_cmp_gt_u32_e32 vcc, 2, v5
	v_cndmask_b32_e64 v5, 0, 1, vcc
	v_lshlrev_b32_e32 v5, 1, v5
	v_and_b32_e32 v6, 0xff, v8
	v_add_lshl_u32 v5, v5, v4, 2
	ds_bpermute_b32 v6, v5, v6
	ds_bpermute_b32 v4, v5, v2
	;; [unrolled: 1-line block ×3, first 2 shown]
	v_and_b32_e32 v7, 1, v8
	s_waitcnt lgkmcnt(2)
	v_and_b32_e32 v9, 1, v6
	v_cmp_eq_u32_e64 s[0:1], 1, v9
	s_waitcnt lgkmcnt(0)
	v_cmp_lt_i64_e32 vcc, v[4:5], v[2:3]
	s_and_b64 vcc, s[0:1], vcc
	v_cndmask_b32_e64 v8, v8, 1, s[0:1]
	v_cndmask_b32_e32 v2, v2, v4, vcc
	v_cndmask_b32_e32 v3, v3, v5, vcc
	v_cmp_eq_u32_e32 vcc, 1, v7
	v_cndmask_b32_e32 v6, v6, v8, vcc
	v_cndmask_b32_e32 v3, v5, v3, vcc
	;; [unrolled: 1-line block ×3, first 2 shown]
	v_and_b32_e32 v6, 0xff, v6
.LBB300_17:
	s_or_b64 exec, exec, s[2:3]
	s_load_dword s10, s[4:5], 0x50
	s_load_dwordx2 s[2:3], s[4:5], 0x58
	s_branch .LBB300_46
.LBB300_18:
                                        ; implicit-def: $vgpr2_vgpr3
                                        ; implicit-def: $vgpr6
	s_load_dword s10, s[4:5], 0x50
	s_load_dwordx2 s[2:3], s[4:5], 0x58
	s_cbranch_execz .LBB300_46
; %bb.19:
	s_sub_i32 s11, s12, s24
	v_pk_mov_b32 v[4:5], 0, 0
	v_cmp_gt_u32_e32 vcc, s11, v0
	v_mov_b32_e32 v6, 0
	v_pk_mov_b32 v[2:3], v[4:5], v[4:5] op_sel:[0,1]
	v_mov_b32_e32 v7, 0
	s_and_saveexec_b64 s[0:1], vcc
	s_cbranch_execz .LBB300_21
; %bb.20:
	global_load_ushort v7, v1, s[20:21]
	global_load_ushort v8, v1, s[22:23]
	v_mov_b32_e32 v3, s9
	v_add_co_u32_e32 v2, vcc, s8, v0
	v_addc_co_u32_e32 v3, vcc, 0, v3, vcc
	s_waitcnt vmcnt(0)
	v_cmp_ne_u16_e32 vcc, v7, v8
	v_cndmask_b32_e64 v7, 0, 1, vcc
.LBB300_21:
	s_or_b64 exec, exec, s[0:1]
	v_or_b32_e32 v8, 0x100, v0
	v_cmp_gt_u32_e32 vcc, s11, v8
	s_and_saveexec_b64 s[4:5], vcc
	s_cbranch_execz .LBB300_23
; %bb.22:
	global_load_ushort v6, v1, s[20:21] offset:512
	global_load_ushort v9, v1, s[22:23] offset:512
	v_mov_b32_e32 v1, s9
	v_add_co_u32_e64 v4, s[0:1], s8, v8
	v_addc_co_u32_e64 v5, s[0:1], 0, v1, s[0:1]
	s_waitcnt vmcnt(0)
	v_cmp_ne_u16_e64 s[0:1], v6, v9
	v_cndmask_b32_e64 v6, 0, 1, s[0:1]
.LBB300_23:
	s_or_b64 exec, exec, s[4:5]
	s_and_saveexec_b64 s[4:5], vcc
	s_cbranch_execz .LBB300_25
; %bb.24:
	v_and_b32_e32 v8, 1, v6
	v_cmp_lt_i64_e32 vcc, v[4:5], v[2:3]
	v_cmp_eq_u32_e64 s[0:1], 1, v8
	v_and_b32_e32 v1, 1, v7
	s_and_b64 vcc, s[0:1], vcc
	v_cndmask_b32_e64 v7, v7, 1, s[0:1]
	v_cndmask_b32_e32 v2, v2, v4, vcc
	v_cndmask_b32_e32 v3, v3, v5, vcc
	v_cmp_eq_u32_e32 vcc, 1, v1
	v_cndmask_b32_e32 v7, v6, v7, vcc
	v_cndmask_b32_e32 v3, v5, v3, vcc
	;; [unrolled: 1-line block ×3, first 2 shown]
.LBB300_25:
	s_or_b64 exec, exec, s[4:5]
	v_mbcnt_lo_u32_b32 v1, -1, 0
	v_mbcnt_hi_u32_b32 v1, -1, v1
	v_and_b32_e32 v8, 63, v1
	v_cmp_ne_u32_e32 vcc, 63, v8
	v_addc_co_u32_e32 v4, vcc, 0, v1, vcc
	v_and_b32_e32 v6, 0xffff, v7
	v_lshlrev_b32_e32 v5, 2, v4
	ds_bpermute_b32 v10, v5, v6
	ds_bpermute_b32 v4, v5, v2
	;; [unrolled: 1-line block ×3, first 2 shown]
	s_min_u32 s8, s11, 0x100
	v_and_b32_e32 v9, 0xc0, v0
	v_sub_u32_e64 v9, s8, v9 clamp
	v_add_u32_e32 v11, 1, v8
	v_cmp_lt_u32_e32 vcc, v11, v9
	s_and_saveexec_b64 s[4:5], vcc
	s_cbranch_execz .LBB300_27
; %bb.26:
	s_waitcnt lgkmcnt(0)
	v_and_b32_e32 v11, 1, v10
	v_cmp_lt_i64_e32 vcc, v[4:5], v[2:3]
	v_cmp_eq_u32_e64 s[0:1], 1, v11
	v_and_b32_e32 v6, 1, v7
	s_and_b64 vcc, s[0:1], vcc
	v_cndmask_b32_e64 v7, v7, 1, s[0:1]
	v_cndmask_b32_e32 v2, v2, v4, vcc
	v_cndmask_b32_e32 v3, v3, v5, vcc
	v_cmp_eq_u32_e32 vcc, 1, v6
	v_cndmask_b32_e32 v7, v10, v7, vcc
	v_cndmask_b32_e32 v3, v5, v3, vcc
	;; [unrolled: 1-line block ×3, first 2 shown]
	v_and_b32_e32 v6, 0xff, v7
.LBB300_27:
	s_or_b64 exec, exec, s[4:5]
	v_cmp_gt_u32_e32 vcc, 62, v8
	s_waitcnt lgkmcnt(0)
	v_cndmask_b32_e64 v4, 0, 1, vcc
	v_lshlrev_b32_e32 v4, 1, v4
	v_add_lshl_u32 v5, v4, v1, 2
	ds_bpermute_b32 v10, v5, v6
	ds_bpermute_b32 v4, v5, v2
	ds_bpermute_b32 v5, v5, v3
	v_add_u32_e32 v11, 2, v8
	v_cmp_lt_u32_e32 vcc, v11, v9
	s_and_saveexec_b64 s[4:5], vcc
	s_cbranch_execz .LBB300_29
; %bb.28:
	s_waitcnt lgkmcnt(2)
	v_and_b32_e32 v11, 1, v10
	s_waitcnt lgkmcnt(0)
	v_cmp_lt_i64_e32 vcc, v[4:5], v[2:3]
	v_cmp_eq_u32_e64 s[0:1], 1, v11
	v_and_b32_e32 v6, 1, v7
	s_and_b64 vcc, s[0:1], vcc
	v_cndmask_b32_e64 v7, v7, 1, s[0:1]
	v_cndmask_b32_e32 v2, v2, v4, vcc
	v_cndmask_b32_e32 v3, v3, v5, vcc
	v_cmp_eq_u32_e32 vcc, 1, v6
	v_cndmask_b32_e32 v7, v10, v7, vcc
	v_cndmask_b32_e32 v3, v5, v3, vcc
	v_cndmask_b32_e32 v2, v4, v2, vcc
	v_and_b32_e32 v6, 0xff, v7
.LBB300_29:
	s_or_b64 exec, exec, s[4:5]
	v_cmp_gt_u32_e32 vcc, 60, v8
	s_waitcnt lgkmcnt(1)
	v_cndmask_b32_e64 v4, 0, 1, vcc
	v_lshlrev_b32_e32 v4, 2, v4
	s_waitcnt lgkmcnt(0)
	v_add_lshl_u32 v5, v4, v1, 2
	ds_bpermute_b32 v10, v5, v6
	ds_bpermute_b32 v4, v5, v2
	ds_bpermute_b32 v5, v5, v3
	v_add_u32_e32 v11, 4, v8
	v_cmp_lt_u32_e32 vcc, v11, v9
	s_and_saveexec_b64 s[4:5], vcc
	s_cbranch_execz .LBB300_31
; %bb.30:
	s_waitcnt lgkmcnt(2)
	v_and_b32_e32 v11, 1, v10
	s_waitcnt lgkmcnt(0)
	v_cmp_lt_i64_e32 vcc, v[4:5], v[2:3]
	v_cmp_eq_u32_e64 s[0:1], 1, v11
	v_and_b32_e32 v6, 1, v7
	s_and_b64 vcc, s[0:1], vcc
	v_cndmask_b32_e64 v7, v7, 1, s[0:1]
	v_cndmask_b32_e32 v2, v2, v4, vcc
	v_cndmask_b32_e32 v3, v3, v5, vcc
	v_cmp_eq_u32_e32 vcc, 1, v6
	v_cndmask_b32_e32 v7, v10, v7, vcc
	v_cndmask_b32_e32 v3, v5, v3, vcc
	v_cndmask_b32_e32 v2, v4, v2, vcc
	v_and_b32_e32 v6, 0xff, v7
.LBB300_31:
	s_or_b64 exec, exec, s[4:5]
	v_cmp_gt_u32_e32 vcc, 56, v8
	s_waitcnt lgkmcnt(1)
	v_cndmask_b32_e64 v4, 0, 1, vcc
	v_lshlrev_b32_e32 v4, 3, v4
	s_waitcnt lgkmcnt(0)
	;; [unrolled: 31-line block ×4, first 2 shown]
	v_add_lshl_u32 v5, v4, v1, 2
	ds_bpermute_b32 v10, v5, v6
	ds_bpermute_b32 v4, v5, v2
	ds_bpermute_b32 v5, v5, v3
	v_add_u32_e32 v8, 32, v8
	v_cmp_lt_u32_e32 vcc, v8, v9
	s_and_saveexec_b64 s[4:5], vcc
	s_cbranch_execz .LBB300_37
; %bb.36:
	s_waitcnt lgkmcnt(2)
	v_and_b32_e32 v8, 1, v10
	s_waitcnt lgkmcnt(0)
	v_cmp_lt_i64_e32 vcc, v[4:5], v[2:3]
	v_cmp_eq_u32_e64 s[0:1], 1, v8
	v_and_b32_e32 v6, 1, v7
	s_and_b64 vcc, s[0:1], vcc
	v_cndmask_b32_e64 v7, v7, 1, s[0:1]
	v_cndmask_b32_e32 v2, v2, v4, vcc
	v_cndmask_b32_e32 v3, v3, v5, vcc
	v_cmp_eq_u32_e32 vcc, 1, v6
	v_cndmask_b32_e32 v7, v10, v7, vcc
	v_cndmask_b32_e32 v3, v5, v3, vcc
	;; [unrolled: 1-line block ×3, first 2 shown]
	v_and_b32_e32 v6, 0xff, v7
.LBB300_37:
	s_or_b64 exec, exec, s[4:5]
	v_cmp_eq_u32_e32 vcc, 0, v1
	s_and_saveexec_b64 s[0:1], vcc
	s_cbranch_execz .LBB300_39
; %bb.38:
	s_waitcnt lgkmcnt(1)
	v_lshrrev_b32_e32 v4, 2, v0
	v_and_b32_e32 v4, 48, v4
	ds_write_b8 v4, v7 offset:64
	ds_write_b64 v4, v[2:3] offset:72
.LBB300_39:
	s_or_b64 exec, exec, s[0:1]
	v_cmp_gt_u32_e32 vcc, 4, v0
	s_waitcnt lgkmcnt(0)
	s_barrier
	s_and_saveexec_b64 s[4:5], vcc
	s_cbranch_execz .LBB300_45
; %bb.40:
	v_lshlrev_b32_e32 v2, 4, v1
	ds_read_u8 v7, v2 offset:64
	ds_read_b64 v[2:3], v2 offset:72
	v_and_b32_e32 v8, 3, v1
	v_cmp_ne_u32_e32 vcc, 3, v8
	v_addc_co_u32_e32 v4, vcc, 0, v1, vcc
	s_waitcnt lgkmcnt(1)
	v_and_b32_e32 v6, 0xff, v7
	v_lshlrev_b32_e32 v5, 2, v4
	ds_bpermute_b32 v9, v5, v6
	s_waitcnt lgkmcnt(1)
	ds_bpermute_b32 v4, v5, v2
	ds_bpermute_b32 v5, v5, v3
	s_add_i32 s8, s8, 63
	s_lshr_b32 s11, s8, 6
	v_add_u32_e32 v10, 1, v8
	v_cmp_gt_u32_e32 vcc, s11, v10
	s_and_saveexec_b64 s[8:9], vcc
	s_cbranch_execz .LBB300_42
; %bb.41:
	s_waitcnt lgkmcnt(2)
	v_and_b32_e32 v10, 1, v9
	s_waitcnt lgkmcnt(0)
	v_cmp_lt_i64_e32 vcc, v[4:5], v[2:3]
	v_cmp_eq_u32_e64 s[0:1], 1, v10
	v_and_b32_e32 v6, 1, v7
	s_and_b64 vcc, s[0:1], vcc
	v_cndmask_b32_e64 v7, v7, 1, s[0:1]
	v_cndmask_b32_e32 v2, v2, v4, vcc
	v_cndmask_b32_e32 v3, v3, v5, vcc
	v_cmp_eq_u32_e32 vcc, 1, v6
	v_cndmask_b32_e32 v7, v9, v7, vcc
	v_cndmask_b32_e32 v3, v5, v3, vcc
	;; [unrolled: 1-line block ×3, first 2 shown]
	v_and_b32_e32 v6, 0xff, v7
.LBB300_42:
	s_or_b64 exec, exec, s[8:9]
	v_cmp_gt_u32_e32 vcc, 2, v8
	s_waitcnt lgkmcnt(1)
	v_cndmask_b32_e64 v4, 0, 1, vcc
	v_lshlrev_b32_e32 v4, 1, v4
	s_waitcnt lgkmcnt(0)
	v_add_lshl_u32 v5, v4, v1, 2
	ds_bpermute_b32 v1, v5, v6
	ds_bpermute_b32 v4, v5, v2
	;; [unrolled: 1-line block ×3, first 2 shown]
	v_add_u32_e32 v8, 2, v8
	v_cmp_gt_u32_e32 vcc, s11, v8
	s_and_saveexec_b64 s[8:9], vcc
	s_cbranch_execz .LBB300_44
; %bb.43:
	s_waitcnt lgkmcnt(2)
	v_and_b32_e32 v8, 1, v1
	s_waitcnt lgkmcnt(0)
	v_cmp_lt_i64_e32 vcc, v[4:5], v[2:3]
	v_cmp_eq_u32_e64 s[0:1], 1, v8
	v_and_b32_e32 v6, 1, v7
	s_and_b64 vcc, s[0:1], vcc
	v_cndmask_b32_e64 v7, v7, 1, s[0:1]
	v_cndmask_b32_e32 v2, v2, v4, vcc
	v_cndmask_b32_e32 v3, v3, v5, vcc
	v_cmp_eq_u32_e32 vcc, 1, v6
	v_cndmask_b32_e32 v1, v1, v7, vcc
	v_cndmask_b32_e32 v3, v5, v3, vcc
	;; [unrolled: 1-line block ×3, first 2 shown]
	v_and_b32_e32 v6, 0xff, v1
.LBB300_44:
	s_or_b64 exec, exec, s[8:9]
.LBB300_45:
	s_or_b64 exec, exec, s[4:5]
.LBB300_46:
	v_cmp_eq_u32_e32 vcc, 0, v0
	s_and_saveexec_b64 s[0:1], vcc
	s_cbranch_execnz .LBB300_48
; %bb.47:
	s_endpgm
.LBB300_48:
	s_mul_i32 s0, s18, s17
	s_mul_hi_u32 s1, s18, s16
	s_add_i32 s0, s1, s0
	s_mul_i32 s1, s19, s16
	s_add_i32 s1, s0, s1
	s_mul_i32 s0, s18, s16
	s_lshl_b64 s[0:1], s[0:1], 4
	s_add_u32 s4, s14, s0
	s_addc_u32 s5, s15, s1
	s_cmp_eq_u64 s[12:13], 0
	s_waitcnt lgkmcnt(0)
	v_mov_b32_e32 v0, s3
	s_cselect_b64 vcc, -1, 0
	v_cndmask_b32_e32 v1, v3, v0, vcc
	v_mov_b32_e32 v0, s2
	s_lshl_b64 s[0:1], s[6:7], 4
	v_cndmask_b32_e32 v0, v2, v0, vcc
	v_mov_b32_e32 v2, s10
	s_add_u32 s0, s4, s0
	v_cndmask_b32_e32 v2, v6, v2, vcc
	s_addc_u32 s1, s5, s1
	v_mov_b32_e32 v3, 0
	global_store_byte v3, v2, s[0:1]
	global_store_dwordx2 v3, v[0:1], s[0:1] offset:8
	s_endpgm
	.section	.rodata,"a",@progbits
	.p2align	6, 0x0
	.amdhsa_kernel _ZN7rocprim17ROCPRIM_400000_NS6detail17trampoline_kernelINS0_14default_configENS1_22reduce_config_selectorIN6thrust23THRUST_200600_302600_NS5tupleIblNS6_9null_typeES8_S8_S8_S8_S8_S8_S8_EEEEZNS1_11reduce_implILb1ES3_NS6_12zip_iteratorINS7_INS6_11hip_rocprim26transform_input_iterator_tIbNSD_35transform_pair_of_input_iterators_tIbNS6_6detail15normal_iteratorINS6_10device_ptrIKsEEEESL_NS6_8equal_toIsEEEENSG_9not_fun_tINSD_8identityEEEEENSD_19counting_iterator_tIlEES8_S8_S8_S8_S8_S8_S8_S8_EEEEPS9_S9_NSD_9__find_if7functorIS9_EEEE10hipError_tPvRmT1_T2_T3_mT4_P12ihipStream_tbEUlT_E0_NS1_11comp_targetILNS1_3genE4ELNS1_11target_archE910ELNS1_3gpuE8ELNS1_3repE0EEENS1_30default_config_static_selectorELNS0_4arch9wavefront6targetE1EEEvS14_
		.amdhsa_group_segment_fixed_size 128
		.amdhsa_private_segment_fixed_size 0
		.amdhsa_kernarg_size 104
		.amdhsa_user_sgpr_count 6
		.amdhsa_user_sgpr_private_segment_buffer 1
		.amdhsa_user_sgpr_dispatch_ptr 0
		.amdhsa_user_sgpr_queue_ptr 0
		.amdhsa_user_sgpr_kernarg_segment_ptr 1
		.amdhsa_user_sgpr_dispatch_id 0
		.amdhsa_user_sgpr_flat_scratch_init 0
		.amdhsa_user_sgpr_kernarg_preload_length 0
		.amdhsa_user_sgpr_kernarg_preload_offset 0
		.amdhsa_user_sgpr_private_segment_size 0
		.amdhsa_uses_dynamic_stack 0
		.amdhsa_system_sgpr_private_segment_wavefront_offset 0
		.amdhsa_system_sgpr_workgroup_id_x 1
		.amdhsa_system_sgpr_workgroup_id_y 0
		.amdhsa_system_sgpr_workgroup_id_z 0
		.amdhsa_system_sgpr_workgroup_info 0
		.amdhsa_system_vgpr_workitem_id 0
		.amdhsa_next_free_vgpr 12
		.amdhsa_next_free_sgpr 28
		.amdhsa_accum_offset 12
		.amdhsa_reserve_vcc 1
		.amdhsa_reserve_flat_scratch 0
		.amdhsa_float_round_mode_32 0
		.amdhsa_float_round_mode_16_64 0
		.amdhsa_float_denorm_mode_32 3
		.amdhsa_float_denorm_mode_16_64 3
		.amdhsa_dx10_clamp 1
		.amdhsa_ieee_mode 1
		.amdhsa_fp16_overflow 0
		.amdhsa_tg_split 0
		.amdhsa_exception_fp_ieee_invalid_op 0
		.amdhsa_exception_fp_denorm_src 0
		.amdhsa_exception_fp_ieee_div_zero 0
		.amdhsa_exception_fp_ieee_overflow 0
		.amdhsa_exception_fp_ieee_underflow 0
		.amdhsa_exception_fp_ieee_inexact 0
		.amdhsa_exception_int_div_zero 0
	.end_amdhsa_kernel
	.section	.text._ZN7rocprim17ROCPRIM_400000_NS6detail17trampoline_kernelINS0_14default_configENS1_22reduce_config_selectorIN6thrust23THRUST_200600_302600_NS5tupleIblNS6_9null_typeES8_S8_S8_S8_S8_S8_S8_EEEEZNS1_11reduce_implILb1ES3_NS6_12zip_iteratorINS7_INS6_11hip_rocprim26transform_input_iterator_tIbNSD_35transform_pair_of_input_iterators_tIbNS6_6detail15normal_iteratorINS6_10device_ptrIKsEEEESL_NS6_8equal_toIsEEEENSG_9not_fun_tINSD_8identityEEEEENSD_19counting_iterator_tIlEES8_S8_S8_S8_S8_S8_S8_S8_EEEEPS9_S9_NSD_9__find_if7functorIS9_EEEE10hipError_tPvRmT1_T2_T3_mT4_P12ihipStream_tbEUlT_E0_NS1_11comp_targetILNS1_3genE4ELNS1_11target_archE910ELNS1_3gpuE8ELNS1_3repE0EEENS1_30default_config_static_selectorELNS0_4arch9wavefront6targetE1EEEvS14_,"axG",@progbits,_ZN7rocprim17ROCPRIM_400000_NS6detail17trampoline_kernelINS0_14default_configENS1_22reduce_config_selectorIN6thrust23THRUST_200600_302600_NS5tupleIblNS6_9null_typeES8_S8_S8_S8_S8_S8_S8_EEEEZNS1_11reduce_implILb1ES3_NS6_12zip_iteratorINS7_INS6_11hip_rocprim26transform_input_iterator_tIbNSD_35transform_pair_of_input_iterators_tIbNS6_6detail15normal_iteratorINS6_10device_ptrIKsEEEESL_NS6_8equal_toIsEEEENSG_9not_fun_tINSD_8identityEEEEENSD_19counting_iterator_tIlEES8_S8_S8_S8_S8_S8_S8_S8_EEEEPS9_S9_NSD_9__find_if7functorIS9_EEEE10hipError_tPvRmT1_T2_T3_mT4_P12ihipStream_tbEUlT_E0_NS1_11comp_targetILNS1_3genE4ELNS1_11target_archE910ELNS1_3gpuE8ELNS1_3repE0EEENS1_30default_config_static_selectorELNS0_4arch9wavefront6targetE1EEEvS14_,comdat
.Lfunc_end300:
	.size	_ZN7rocprim17ROCPRIM_400000_NS6detail17trampoline_kernelINS0_14default_configENS1_22reduce_config_selectorIN6thrust23THRUST_200600_302600_NS5tupleIblNS6_9null_typeES8_S8_S8_S8_S8_S8_S8_EEEEZNS1_11reduce_implILb1ES3_NS6_12zip_iteratorINS7_INS6_11hip_rocprim26transform_input_iterator_tIbNSD_35transform_pair_of_input_iterators_tIbNS6_6detail15normal_iteratorINS6_10device_ptrIKsEEEESL_NS6_8equal_toIsEEEENSG_9not_fun_tINSD_8identityEEEEENSD_19counting_iterator_tIlEES8_S8_S8_S8_S8_S8_S8_S8_EEEEPS9_S9_NSD_9__find_if7functorIS9_EEEE10hipError_tPvRmT1_T2_T3_mT4_P12ihipStream_tbEUlT_E0_NS1_11comp_targetILNS1_3genE4ELNS1_11target_archE910ELNS1_3gpuE8ELNS1_3repE0EEENS1_30default_config_static_selectorELNS0_4arch9wavefront6targetE1EEEvS14_, .Lfunc_end300-_ZN7rocprim17ROCPRIM_400000_NS6detail17trampoline_kernelINS0_14default_configENS1_22reduce_config_selectorIN6thrust23THRUST_200600_302600_NS5tupleIblNS6_9null_typeES8_S8_S8_S8_S8_S8_S8_EEEEZNS1_11reduce_implILb1ES3_NS6_12zip_iteratorINS7_INS6_11hip_rocprim26transform_input_iterator_tIbNSD_35transform_pair_of_input_iterators_tIbNS6_6detail15normal_iteratorINS6_10device_ptrIKsEEEESL_NS6_8equal_toIsEEEENSG_9not_fun_tINSD_8identityEEEEENSD_19counting_iterator_tIlEES8_S8_S8_S8_S8_S8_S8_S8_EEEEPS9_S9_NSD_9__find_if7functorIS9_EEEE10hipError_tPvRmT1_T2_T3_mT4_P12ihipStream_tbEUlT_E0_NS1_11comp_targetILNS1_3genE4ELNS1_11target_archE910ELNS1_3gpuE8ELNS1_3repE0EEENS1_30default_config_static_selectorELNS0_4arch9wavefront6targetE1EEEvS14_
                                        ; -- End function
	.section	.AMDGPU.csdata,"",@progbits
; Kernel info:
; codeLenInByte = 2844
; NumSgprs: 32
; NumVgprs: 12
; NumAgprs: 0
; TotalNumVgprs: 12
; ScratchSize: 0
; MemoryBound: 0
; FloatMode: 240
; IeeeMode: 1
; LDSByteSize: 128 bytes/workgroup (compile time only)
; SGPRBlocks: 3
; VGPRBlocks: 1
; NumSGPRsForWavesPerEU: 32
; NumVGPRsForWavesPerEU: 12
; AccumOffset: 12
; Occupancy: 8
; WaveLimiterHint : 0
; COMPUTE_PGM_RSRC2:SCRATCH_EN: 0
; COMPUTE_PGM_RSRC2:USER_SGPR: 6
; COMPUTE_PGM_RSRC2:TRAP_HANDLER: 0
; COMPUTE_PGM_RSRC2:TGID_X_EN: 1
; COMPUTE_PGM_RSRC2:TGID_Y_EN: 0
; COMPUTE_PGM_RSRC2:TGID_Z_EN: 0
; COMPUTE_PGM_RSRC2:TIDIG_COMP_CNT: 0
; COMPUTE_PGM_RSRC3_GFX90A:ACCUM_OFFSET: 2
; COMPUTE_PGM_RSRC3_GFX90A:TG_SPLIT: 0
	.section	.text._ZN7rocprim17ROCPRIM_400000_NS6detail17trampoline_kernelINS0_14default_configENS1_22reduce_config_selectorIN6thrust23THRUST_200600_302600_NS5tupleIblNS6_9null_typeES8_S8_S8_S8_S8_S8_S8_EEEEZNS1_11reduce_implILb1ES3_NS6_12zip_iteratorINS7_INS6_11hip_rocprim26transform_input_iterator_tIbNSD_35transform_pair_of_input_iterators_tIbNS6_6detail15normal_iteratorINS6_10device_ptrIKsEEEESL_NS6_8equal_toIsEEEENSG_9not_fun_tINSD_8identityEEEEENSD_19counting_iterator_tIlEES8_S8_S8_S8_S8_S8_S8_S8_EEEEPS9_S9_NSD_9__find_if7functorIS9_EEEE10hipError_tPvRmT1_T2_T3_mT4_P12ihipStream_tbEUlT_E0_NS1_11comp_targetILNS1_3genE3ELNS1_11target_archE908ELNS1_3gpuE7ELNS1_3repE0EEENS1_30default_config_static_selectorELNS0_4arch9wavefront6targetE1EEEvS14_,"axG",@progbits,_ZN7rocprim17ROCPRIM_400000_NS6detail17trampoline_kernelINS0_14default_configENS1_22reduce_config_selectorIN6thrust23THRUST_200600_302600_NS5tupleIblNS6_9null_typeES8_S8_S8_S8_S8_S8_S8_EEEEZNS1_11reduce_implILb1ES3_NS6_12zip_iteratorINS7_INS6_11hip_rocprim26transform_input_iterator_tIbNSD_35transform_pair_of_input_iterators_tIbNS6_6detail15normal_iteratorINS6_10device_ptrIKsEEEESL_NS6_8equal_toIsEEEENSG_9not_fun_tINSD_8identityEEEEENSD_19counting_iterator_tIlEES8_S8_S8_S8_S8_S8_S8_S8_EEEEPS9_S9_NSD_9__find_if7functorIS9_EEEE10hipError_tPvRmT1_T2_T3_mT4_P12ihipStream_tbEUlT_E0_NS1_11comp_targetILNS1_3genE3ELNS1_11target_archE908ELNS1_3gpuE7ELNS1_3repE0EEENS1_30default_config_static_selectorELNS0_4arch9wavefront6targetE1EEEvS14_,comdat
	.protected	_ZN7rocprim17ROCPRIM_400000_NS6detail17trampoline_kernelINS0_14default_configENS1_22reduce_config_selectorIN6thrust23THRUST_200600_302600_NS5tupleIblNS6_9null_typeES8_S8_S8_S8_S8_S8_S8_EEEEZNS1_11reduce_implILb1ES3_NS6_12zip_iteratorINS7_INS6_11hip_rocprim26transform_input_iterator_tIbNSD_35transform_pair_of_input_iterators_tIbNS6_6detail15normal_iteratorINS6_10device_ptrIKsEEEESL_NS6_8equal_toIsEEEENSG_9not_fun_tINSD_8identityEEEEENSD_19counting_iterator_tIlEES8_S8_S8_S8_S8_S8_S8_S8_EEEEPS9_S9_NSD_9__find_if7functorIS9_EEEE10hipError_tPvRmT1_T2_T3_mT4_P12ihipStream_tbEUlT_E0_NS1_11comp_targetILNS1_3genE3ELNS1_11target_archE908ELNS1_3gpuE7ELNS1_3repE0EEENS1_30default_config_static_selectorELNS0_4arch9wavefront6targetE1EEEvS14_ ; -- Begin function _ZN7rocprim17ROCPRIM_400000_NS6detail17trampoline_kernelINS0_14default_configENS1_22reduce_config_selectorIN6thrust23THRUST_200600_302600_NS5tupleIblNS6_9null_typeES8_S8_S8_S8_S8_S8_S8_EEEEZNS1_11reduce_implILb1ES3_NS6_12zip_iteratorINS7_INS6_11hip_rocprim26transform_input_iterator_tIbNSD_35transform_pair_of_input_iterators_tIbNS6_6detail15normal_iteratorINS6_10device_ptrIKsEEEESL_NS6_8equal_toIsEEEENSG_9not_fun_tINSD_8identityEEEEENSD_19counting_iterator_tIlEES8_S8_S8_S8_S8_S8_S8_S8_EEEEPS9_S9_NSD_9__find_if7functorIS9_EEEE10hipError_tPvRmT1_T2_T3_mT4_P12ihipStream_tbEUlT_E0_NS1_11comp_targetILNS1_3genE3ELNS1_11target_archE908ELNS1_3gpuE7ELNS1_3repE0EEENS1_30default_config_static_selectorELNS0_4arch9wavefront6targetE1EEEvS14_
	.globl	_ZN7rocprim17ROCPRIM_400000_NS6detail17trampoline_kernelINS0_14default_configENS1_22reduce_config_selectorIN6thrust23THRUST_200600_302600_NS5tupleIblNS6_9null_typeES8_S8_S8_S8_S8_S8_S8_EEEEZNS1_11reduce_implILb1ES3_NS6_12zip_iteratorINS7_INS6_11hip_rocprim26transform_input_iterator_tIbNSD_35transform_pair_of_input_iterators_tIbNS6_6detail15normal_iteratorINS6_10device_ptrIKsEEEESL_NS6_8equal_toIsEEEENSG_9not_fun_tINSD_8identityEEEEENSD_19counting_iterator_tIlEES8_S8_S8_S8_S8_S8_S8_S8_EEEEPS9_S9_NSD_9__find_if7functorIS9_EEEE10hipError_tPvRmT1_T2_T3_mT4_P12ihipStream_tbEUlT_E0_NS1_11comp_targetILNS1_3genE3ELNS1_11target_archE908ELNS1_3gpuE7ELNS1_3repE0EEENS1_30default_config_static_selectorELNS0_4arch9wavefront6targetE1EEEvS14_
	.p2align	8
	.type	_ZN7rocprim17ROCPRIM_400000_NS6detail17trampoline_kernelINS0_14default_configENS1_22reduce_config_selectorIN6thrust23THRUST_200600_302600_NS5tupleIblNS6_9null_typeES8_S8_S8_S8_S8_S8_S8_EEEEZNS1_11reduce_implILb1ES3_NS6_12zip_iteratorINS7_INS6_11hip_rocprim26transform_input_iterator_tIbNSD_35transform_pair_of_input_iterators_tIbNS6_6detail15normal_iteratorINS6_10device_ptrIKsEEEESL_NS6_8equal_toIsEEEENSG_9not_fun_tINSD_8identityEEEEENSD_19counting_iterator_tIlEES8_S8_S8_S8_S8_S8_S8_S8_EEEEPS9_S9_NSD_9__find_if7functorIS9_EEEE10hipError_tPvRmT1_T2_T3_mT4_P12ihipStream_tbEUlT_E0_NS1_11comp_targetILNS1_3genE3ELNS1_11target_archE908ELNS1_3gpuE7ELNS1_3repE0EEENS1_30default_config_static_selectorELNS0_4arch9wavefront6targetE1EEEvS14_,@function
_ZN7rocprim17ROCPRIM_400000_NS6detail17trampoline_kernelINS0_14default_configENS1_22reduce_config_selectorIN6thrust23THRUST_200600_302600_NS5tupleIblNS6_9null_typeES8_S8_S8_S8_S8_S8_S8_EEEEZNS1_11reduce_implILb1ES3_NS6_12zip_iteratorINS7_INS6_11hip_rocprim26transform_input_iterator_tIbNSD_35transform_pair_of_input_iterators_tIbNS6_6detail15normal_iteratorINS6_10device_ptrIKsEEEESL_NS6_8equal_toIsEEEENSG_9not_fun_tINSD_8identityEEEEENSD_19counting_iterator_tIlEES8_S8_S8_S8_S8_S8_S8_S8_EEEEPS9_S9_NSD_9__find_if7functorIS9_EEEE10hipError_tPvRmT1_T2_T3_mT4_P12ihipStream_tbEUlT_E0_NS1_11comp_targetILNS1_3genE3ELNS1_11target_archE908ELNS1_3gpuE7ELNS1_3repE0EEENS1_30default_config_static_selectorELNS0_4arch9wavefront6targetE1EEEvS14_: ; @_ZN7rocprim17ROCPRIM_400000_NS6detail17trampoline_kernelINS0_14default_configENS1_22reduce_config_selectorIN6thrust23THRUST_200600_302600_NS5tupleIblNS6_9null_typeES8_S8_S8_S8_S8_S8_S8_EEEEZNS1_11reduce_implILb1ES3_NS6_12zip_iteratorINS7_INS6_11hip_rocprim26transform_input_iterator_tIbNSD_35transform_pair_of_input_iterators_tIbNS6_6detail15normal_iteratorINS6_10device_ptrIKsEEEESL_NS6_8equal_toIsEEEENSG_9not_fun_tINSD_8identityEEEEENSD_19counting_iterator_tIlEES8_S8_S8_S8_S8_S8_S8_S8_EEEEPS9_S9_NSD_9__find_if7functorIS9_EEEE10hipError_tPvRmT1_T2_T3_mT4_P12ihipStream_tbEUlT_E0_NS1_11comp_targetILNS1_3genE3ELNS1_11target_archE908ELNS1_3gpuE7ELNS1_3repE0EEENS1_30default_config_static_selectorELNS0_4arch9wavefront6targetE1EEEvS14_
; %bb.0:
	.section	.rodata,"a",@progbits
	.p2align	6, 0x0
	.amdhsa_kernel _ZN7rocprim17ROCPRIM_400000_NS6detail17trampoline_kernelINS0_14default_configENS1_22reduce_config_selectorIN6thrust23THRUST_200600_302600_NS5tupleIblNS6_9null_typeES8_S8_S8_S8_S8_S8_S8_EEEEZNS1_11reduce_implILb1ES3_NS6_12zip_iteratorINS7_INS6_11hip_rocprim26transform_input_iterator_tIbNSD_35transform_pair_of_input_iterators_tIbNS6_6detail15normal_iteratorINS6_10device_ptrIKsEEEESL_NS6_8equal_toIsEEEENSG_9not_fun_tINSD_8identityEEEEENSD_19counting_iterator_tIlEES8_S8_S8_S8_S8_S8_S8_S8_EEEEPS9_S9_NSD_9__find_if7functorIS9_EEEE10hipError_tPvRmT1_T2_T3_mT4_P12ihipStream_tbEUlT_E0_NS1_11comp_targetILNS1_3genE3ELNS1_11target_archE908ELNS1_3gpuE7ELNS1_3repE0EEENS1_30default_config_static_selectorELNS0_4arch9wavefront6targetE1EEEvS14_
		.amdhsa_group_segment_fixed_size 0
		.amdhsa_private_segment_fixed_size 0
		.amdhsa_kernarg_size 104
		.amdhsa_user_sgpr_count 6
		.amdhsa_user_sgpr_private_segment_buffer 1
		.amdhsa_user_sgpr_dispatch_ptr 0
		.amdhsa_user_sgpr_queue_ptr 0
		.amdhsa_user_sgpr_kernarg_segment_ptr 1
		.amdhsa_user_sgpr_dispatch_id 0
		.amdhsa_user_sgpr_flat_scratch_init 0
		.amdhsa_user_sgpr_kernarg_preload_length 0
		.amdhsa_user_sgpr_kernarg_preload_offset 0
		.amdhsa_user_sgpr_private_segment_size 0
		.amdhsa_uses_dynamic_stack 0
		.amdhsa_system_sgpr_private_segment_wavefront_offset 0
		.amdhsa_system_sgpr_workgroup_id_x 1
		.amdhsa_system_sgpr_workgroup_id_y 0
		.amdhsa_system_sgpr_workgroup_id_z 0
		.amdhsa_system_sgpr_workgroup_info 0
		.amdhsa_system_vgpr_workitem_id 0
		.amdhsa_next_free_vgpr 1
		.amdhsa_next_free_sgpr 0
		.amdhsa_accum_offset 4
		.amdhsa_reserve_vcc 0
		.amdhsa_reserve_flat_scratch 0
		.amdhsa_float_round_mode_32 0
		.amdhsa_float_round_mode_16_64 0
		.amdhsa_float_denorm_mode_32 3
		.amdhsa_float_denorm_mode_16_64 3
		.amdhsa_dx10_clamp 1
		.amdhsa_ieee_mode 1
		.amdhsa_fp16_overflow 0
		.amdhsa_tg_split 0
		.amdhsa_exception_fp_ieee_invalid_op 0
		.amdhsa_exception_fp_denorm_src 0
		.amdhsa_exception_fp_ieee_div_zero 0
		.amdhsa_exception_fp_ieee_overflow 0
		.amdhsa_exception_fp_ieee_underflow 0
		.amdhsa_exception_fp_ieee_inexact 0
		.amdhsa_exception_int_div_zero 0
	.end_amdhsa_kernel
	.section	.text._ZN7rocprim17ROCPRIM_400000_NS6detail17trampoline_kernelINS0_14default_configENS1_22reduce_config_selectorIN6thrust23THRUST_200600_302600_NS5tupleIblNS6_9null_typeES8_S8_S8_S8_S8_S8_S8_EEEEZNS1_11reduce_implILb1ES3_NS6_12zip_iteratorINS7_INS6_11hip_rocprim26transform_input_iterator_tIbNSD_35transform_pair_of_input_iterators_tIbNS6_6detail15normal_iteratorINS6_10device_ptrIKsEEEESL_NS6_8equal_toIsEEEENSG_9not_fun_tINSD_8identityEEEEENSD_19counting_iterator_tIlEES8_S8_S8_S8_S8_S8_S8_S8_EEEEPS9_S9_NSD_9__find_if7functorIS9_EEEE10hipError_tPvRmT1_T2_T3_mT4_P12ihipStream_tbEUlT_E0_NS1_11comp_targetILNS1_3genE3ELNS1_11target_archE908ELNS1_3gpuE7ELNS1_3repE0EEENS1_30default_config_static_selectorELNS0_4arch9wavefront6targetE1EEEvS14_,"axG",@progbits,_ZN7rocprim17ROCPRIM_400000_NS6detail17trampoline_kernelINS0_14default_configENS1_22reduce_config_selectorIN6thrust23THRUST_200600_302600_NS5tupleIblNS6_9null_typeES8_S8_S8_S8_S8_S8_S8_EEEEZNS1_11reduce_implILb1ES3_NS6_12zip_iteratorINS7_INS6_11hip_rocprim26transform_input_iterator_tIbNSD_35transform_pair_of_input_iterators_tIbNS6_6detail15normal_iteratorINS6_10device_ptrIKsEEEESL_NS6_8equal_toIsEEEENSG_9not_fun_tINSD_8identityEEEEENSD_19counting_iterator_tIlEES8_S8_S8_S8_S8_S8_S8_S8_EEEEPS9_S9_NSD_9__find_if7functorIS9_EEEE10hipError_tPvRmT1_T2_T3_mT4_P12ihipStream_tbEUlT_E0_NS1_11comp_targetILNS1_3genE3ELNS1_11target_archE908ELNS1_3gpuE7ELNS1_3repE0EEENS1_30default_config_static_selectorELNS0_4arch9wavefront6targetE1EEEvS14_,comdat
.Lfunc_end301:
	.size	_ZN7rocprim17ROCPRIM_400000_NS6detail17trampoline_kernelINS0_14default_configENS1_22reduce_config_selectorIN6thrust23THRUST_200600_302600_NS5tupleIblNS6_9null_typeES8_S8_S8_S8_S8_S8_S8_EEEEZNS1_11reduce_implILb1ES3_NS6_12zip_iteratorINS7_INS6_11hip_rocprim26transform_input_iterator_tIbNSD_35transform_pair_of_input_iterators_tIbNS6_6detail15normal_iteratorINS6_10device_ptrIKsEEEESL_NS6_8equal_toIsEEEENSG_9not_fun_tINSD_8identityEEEEENSD_19counting_iterator_tIlEES8_S8_S8_S8_S8_S8_S8_S8_EEEEPS9_S9_NSD_9__find_if7functorIS9_EEEE10hipError_tPvRmT1_T2_T3_mT4_P12ihipStream_tbEUlT_E0_NS1_11comp_targetILNS1_3genE3ELNS1_11target_archE908ELNS1_3gpuE7ELNS1_3repE0EEENS1_30default_config_static_selectorELNS0_4arch9wavefront6targetE1EEEvS14_, .Lfunc_end301-_ZN7rocprim17ROCPRIM_400000_NS6detail17trampoline_kernelINS0_14default_configENS1_22reduce_config_selectorIN6thrust23THRUST_200600_302600_NS5tupleIblNS6_9null_typeES8_S8_S8_S8_S8_S8_S8_EEEEZNS1_11reduce_implILb1ES3_NS6_12zip_iteratorINS7_INS6_11hip_rocprim26transform_input_iterator_tIbNSD_35transform_pair_of_input_iterators_tIbNS6_6detail15normal_iteratorINS6_10device_ptrIKsEEEESL_NS6_8equal_toIsEEEENSG_9not_fun_tINSD_8identityEEEEENSD_19counting_iterator_tIlEES8_S8_S8_S8_S8_S8_S8_S8_EEEEPS9_S9_NSD_9__find_if7functorIS9_EEEE10hipError_tPvRmT1_T2_T3_mT4_P12ihipStream_tbEUlT_E0_NS1_11comp_targetILNS1_3genE3ELNS1_11target_archE908ELNS1_3gpuE7ELNS1_3repE0EEENS1_30default_config_static_selectorELNS0_4arch9wavefront6targetE1EEEvS14_
                                        ; -- End function
	.section	.AMDGPU.csdata,"",@progbits
; Kernel info:
; codeLenInByte = 0
; NumSgprs: 4
; NumVgprs: 0
; NumAgprs: 0
; TotalNumVgprs: 0
; ScratchSize: 0
; MemoryBound: 0
; FloatMode: 240
; IeeeMode: 1
; LDSByteSize: 0 bytes/workgroup (compile time only)
; SGPRBlocks: 0
; VGPRBlocks: 0
; NumSGPRsForWavesPerEU: 4
; NumVGPRsForWavesPerEU: 1
; AccumOffset: 4
; Occupancy: 8
; WaveLimiterHint : 0
; COMPUTE_PGM_RSRC2:SCRATCH_EN: 0
; COMPUTE_PGM_RSRC2:USER_SGPR: 6
; COMPUTE_PGM_RSRC2:TRAP_HANDLER: 0
; COMPUTE_PGM_RSRC2:TGID_X_EN: 1
; COMPUTE_PGM_RSRC2:TGID_Y_EN: 0
; COMPUTE_PGM_RSRC2:TGID_Z_EN: 0
; COMPUTE_PGM_RSRC2:TIDIG_COMP_CNT: 0
; COMPUTE_PGM_RSRC3_GFX90A:ACCUM_OFFSET: 0
; COMPUTE_PGM_RSRC3_GFX90A:TG_SPLIT: 0
	.section	.text._ZN7rocprim17ROCPRIM_400000_NS6detail17trampoline_kernelINS0_14default_configENS1_22reduce_config_selectorIN6thrust23THRUST_200600_302600_NS5tupleIblNS6_9null_typeES8_S8_S8_S8_S8_S8_S8_EEEEZNS1_11reduce_implILb1ES3_NS6_12zip_iteratorINS7_INS6_11hip_rocprim26transform_input_iterator_tIbNSD_35transform_pair_of_input_iterators_tIbNS6_6detail15normal_iteratorINS6_10device_ptrIKsEEEESL_NS6_8equal_toIsEEEENSG_9not_fun_tINSD_8identityEEEEENSD_19counting_iterator_tIlEES8_S8_S8_S8_S8_S8_S8_S8_EEEEPS9_S9_NSD_9__find_if7functorIS9_EEEE10hipError_tPvRmT1_T2_T3_mT4_P12ihipStream_tbEUlT_E0_NS1_11comp_targetILNS1_3genE2ELNS1_11target_archE906ELNS1_3gpuE6ELNS1_3repE0EEENS1_30default_config_static_selectorELNS0_4arch9wavefront6targetE1EEEvS14_,"axG",@progbits,_ZN7rocprim17ROCPRIM_400000_NS6detail17trampoline_kernelINS0_14default_configENS1_22reduce_config_selectorIN6thrust23THRUST_200600_302600_NS5tupleIblNS6_9null_typeES8_S8_S8_S8_S8_S8_S8_EEEEZNS1_11reduce_implILb1ES3_NS6_12zip_iteratorINS7_INS6_11hip_rocprim26transform_input_iterator_tIbNSD_35transform_pair_of_input_iterators_tIbNS6_6detail15normal_iteratorINS6_10device_ptrIKsEEEESL_NS6_8equal_toIsEEEENSG_9not_fun_tINSD_8identityEEEEENSD_19counting_iterator_tIlEES8_S8_S8_S8_S8_S8_S8_S8_EEEEPS9_S9_NSD_9__find_if7functorIS9_EEEE10hipError_tPvRmT1_T2_T3_mT4_P12ihipStream_tbEUlT_E0_NS1_11comp_targetILNS1_3genE2ELNS1_11target_archE906ELNS1_3gpuE6ELNS1_3repE0EEENS1_30default_config_static_selectorELNS0_4arch9wavefront6targetE1EEEvS14_,comdat
	.protected	_ZN7rocprim17ROCPRIM_400000_NS6detail17trampoline_kernelINS0_14default_configENS1_22reduce_config_selectorIN6thrust23THRUST_200600_302600_NS5tupleIblNS6_9null_typeES8_S8_S8_S8_S8_S8_S8_EEEEZNS1_11reduce_implILb1ES3_NS6_12zip_iteratorINS7_INS6_11hip_rocprim26transform_input_iterator_tIbNSD_35transform_pair_of_input_iterators_tIbNS6_6detail15normal_iteratorINS6_10device_ptrIKsEEEESL_NS6_8equal_toIsEEEENSG_9not_fun_tINSD_8identityEEEEENSD_19counting_iterator_tIlEES8_S8_S8_S8_S8_S8_S8_S8_EEEEPS9_S9_NSD_9__find_if7functorIS9_EEEE10hipError_tPvRmT1_T2_T3_mT4_P12ihipStream_tbEUlT_E0_NS1_11comp_targetILNS1_3genE2ELNS1_11target_archE906ELNS1_3gpuE6ELNS1_3repE0EEENS1_30default_config_static_selectorELNS0_4arch9wavefront6targetE1EEEvS14_ ; -- Begin function _ZN7rocprim17ROCPRIM_400000_NS6detail17trampoline_kernelINS0_14default_configENS1_22reduce_config_selectorIN6thrust23THRUST_200600_302600_NS5tupleIblNS6_9null_typeES8_S8_S8_S8_S8_S8_S8_EEEEZNS1_11reduce_implILb1ES3_NS6_12zip_iteratorINS7_INS6_11hip_rocprim26transform_input_iterator_tIbNSD_35transform_pair_of_input_iterators_tIbNS6_6detail15normal_iteratorINS6_10device_ptrIKsEEEESL_NS6_8equal_toIsEEEENSG_9not_fun_tINSD_8identityEEEEENSD_19counting_iterator_tIlEES8_S8_S8_S8_S8_S8_S8_S8_EEEEPS9_S9_NSD_9__find_if7functorIS9_EEEE10hipError_tPvRmT1_T2_T3_mT4_P12ihipStream_tbEUlT_E0_NS1_11comp_targetILNS1_3genE2ELNS1_11target_archE906ELNS1_3gpuE6ELNS1_3repE0EEENS1_30default_config_static_selectorELNS0_4arch9wavefront6targetE1EEEvS14_
	.globl	_ZN7rocprim17ROCPRIM_400000_NS6detail17trampoline_kernelINS0_14default_configENS1_22reduce_config_selectorIN6thrust23THRUST_200600_302600_NS5tupleIblNS6_9null_typeES8_S8_S8_S8_S8_S8_S8_EEEEZNS1_11reduce_implILb1ES3_NS6_12zip_iteratorINS7_INS6_11hip_rocprim26transform_input_iterator_tIbNSD_35transform_pair_of_input_iterators_tIbNS6_6detail15normal_iteratorINS6_10device_ptrIKsEEEESL_NS6_8equal_toIsEEEENSG_9not_fun_tINSD_8identityEEEEENSD_19counting_iterator_tIlEES8_S8_S8_S8_S8_S8_S8_S8_EEEEPS9_S9_NSD_9__find_if7functorIS9_EEEE10hipError_tPvRmT1_T2_T3_mT4_P12ihipStream_tbEUlT_E0_NS1_11comp_targetILNS1_3genE2ELNS1_11target_archE906ELNS1_3gpuE6ELNS1_3repE0EEENS1_30default_config_static_selectorELNS0_4arch9wavefront6targetE1EEEvS14_
	.p2align	8
	.type	_ZN7rocprim17ROCPRIM_400000_NS6detail17trampoline_kernelINS0_14default_configENS1_22reduce_config_selectorIN6thrust23THRUST_200600_302600_NS5tupleIblNS6_9null_typeES8_S8_S8_S8_S8_S8_S8_EEEEZNS1_11reduce_implILb1ES3_NS6_12zip_iteratorINS7_INS6_11hip_rocprim26transform_input_iterator_tIbNSD_35transform_pair_of_input_iterators_tIbNS6_6detail15normal_iteratorINS6_10device_ptrIKsEEEESL_NS6_8equal_toIsEEEENSG_9not_fun_tINSD_8identityEEEEENSD_19counting_iterator_tIlEES8_S8_S8_S8_S8_S8_S8_S8_EEEEPS9_S9_NSD_9__find_if7functorIS9_EEEE10hipError_tPvRmT1_T2_T3_mT4_P12ihipStream_tbEUlT_E0_NS1_11comp_targetILNS1_3genE2ELNS1_11target_archE906ELNS1_3gpuE6ELNS1_3repE0EEENS1_30default_config_static_selectorELNS0_4arch9wavefront6targetE1EEEvS14_,@function
_ZN7rocprim17ROCPRIM_400000_NS6detail17trampoline_kernelINS0_14default_configENS1_22reduce_config_selectorIN6thrust23THRUST_200600_302600_NS5tupleIblNS6_9null_typeES8_S8_S8_S8_S8_S8_S8_EEEEZNS1_11reduce_implILb1ES3_NS6_12zip_iteratorINS7_INS6_11hip_rocprim26transform_input_iterator_tIbNSD_35transform_pair_of_input_iterators_tIbNS6_6detail15normal_iteratorINS6_10device_ptrIKsEEEESL_NS6_8equal_toIsEEEENSG_9not_fun_tINSD_8identityEEEEENSD_19counting_iterator_tIlEES8_S8_S8_S8_S8_S8_S8_S8_EEEEPS9_S9_NSD_9__find_if7functorIS9_EEEE10hipError_tPvRmT1_T2_T3_mT4_P12ihipStream_tbEUlT_E0_NS1_11comp_targetILNS1_3genE2ELNS1_11target_archE906ELNS1_3gpuE6ELNS1_3repE0EEENS1_30default_config_static_selectorELNS0_4arch9wavefront6targetE1EEEvS14_: ; @_ZN7rocprim17ROCPRIM_400000_NS6detail17trampoline_kernelINS0_14default_configENS1_22reduce_config_selectorIN6thrust23THRUST_200600_302600_NS5tupleIblNS6_9null_typeES8_S8_S8_S8_S8_S8_S8_EEEEZNS1_11reduce_implILb1ES3_NS6_12zip_iteratorINS7_INS6_11hip_rocprim26transform_input_iterator_tIbNSD_35transform_pair_of_input_iterators_tIbNS6_6detail15normal_iteratorINS6_10device_ptrIKsEEEESL_NS6_8equal_toIsEEEENSG_9not_fun_tINSD_8identityEEEEENSD_19counting_iterator_tIlEES8_S8_S8_S8_S8_S8_S8_S8_EEEEPS9_S9_NSD_9__find_if7functorIS9_EEEE10hipError_tPvRmT1_T2_T3_mT4_P12ihipStream_tbEUlT_E0_NS1_11comp_targetILNS1_3genE2ELNS1_11target_archE906ELNS1_3gpuE6ELNS1_3repE0EEENS1_30default_config_static_selectorELNS0_4arch9wavefront6targetE1EEEvS14_
; %bb.0:
	.section	.rodata,"a",@progbits
	.p2align	6, 0x0
	.amdhsa_kernel _ZN7rocprim17ROCPRIM_400000_NS6detail17trampoline_kernelINS0_14default_configENS1_22reduce_config_selectorIN6thrust23THRUST_200600_302600_NS5tupleIblNS6_9null_typeES8_S8_S8_S8_S8_S8_S8_EEEEZNS1_11reduce_implILb1ES3_NS6_12zip_iteratorINS7_INS6_11hip_rocprim26transform_input_iterator_tIbNSD_35transform_pair_of_input_iterators_tIbNS6_6detail15normal_iteratorINS6_10device_ptrIKsEEEESL_NS6_8equal_toIsEEEENSG_9not_fun_tINSD_8identityEEEEENSD_19counting_iterator_tIlEES8_S8_S8_S8_S8_S8_S8_S8_EEEEPS9_S9_NSD_9__find_if7functorIS9_EEEE10hipError_tPvRmT1_T2_T3_mT4_P12ihipStream_tbEUlT_E0_NS1_11comp_targetILNS1_3genE2ELNS1_11target_archE906ELNS1_3gpuE6ELNS1_3repE0EEENS1_30default_config_static_selectorELNS0_4arch9wavefront6targetE1EEEvS14_
		.amdhsa_group_segment_fixed_size 0
		.amdhsa_private_segment_fixed_size 0
		.amdhsa_kernarg_size 104
		.amdhsa_user_sgpr_count 6
		.amdhsa_user_sgpr_private_segment_buffer 1
		.amdhsa_user_sgpr_dispatch_ptr 0
		.amdhsa_user_sgpr_queue_ptr 0
		.amdhsa_user_sgpr_kernarg_segment_ptr 1
		.amdhsa_user_sgpr_dispatch_id 0
		.amdhsa_user_sgpr_flat_scratch_init 0
		.amdhsa_user_sgpr_kernarg_preload_length 0
		.amdhsa_user_sgpr_kernarg_preload_offset 0
		.amdhsa_user_sgpr_private_segment_size 0
		.amdhsa_uses_dynamic_stack 0
		.amdhsa_system_sgpr_private_segment_wavefront_offset 0
		.amdhsa_system_sgpr_workgroup_id_x 1
		.amdhsa_system_sgpr_workgroup_id_y 0
		.amdhsa_system_sgpr_workgroup_id_z 0
		.amdhsa_system_sgpr_workgroup_info 0
		.amdhsa_system_vgpr_workitem_id 0
		.amdhsa_next_free_vgpr 1
		.amdhsa_next_free_sgpr 0
		.amdhsa_accum_offset 4
		.amdhsa_reserve_vcc 0
		.amdhsa_reserve_flat_scratch 0
		.amdhsa_float_round_mode_32 0
		.amdhsa_float_round_mode_16_64 0
		.amdhsa_float_denorm_mode_32 3
		.amdhsa_float_denorm_mode_16_64 3
		.amdhsa_dx10_clamp 1
		.amdhsa_ieee_mode 1
		.amdhsa_fp16_overflow 0
		.amdhsa_tg_split 0
		.amdhsa_exception_fp_ieee_invalid_op 0
		.amdhsa_exception_fp_denorm_src 0
		.amdhsa_exception_fp_ieee_div_zero 0
		.amdhsa_exception_fp_ieee_overflow 0
		.amdhsa_exception_fp_ieee_underflow 0
		.amdhsa_exception_fp_ieee_inexact 0
		.amdhsa_exception_int_div_zero 0
	.end_amdhsa_kernel
	.section	.text._ZN7rocprim17ROCPRIM_400000_NS6detail17trampoline_kernelINS0_14default_configENS1_22reduce_config_selectorIN6thrust23THRUST_200600_302600_NS5tupleIblNS6_9null_typeES8_S8_S8_S8_S8_S8_S8_EEEEZNS1_11reduce_implILb1ES3_NS6_12zip_iteratorINS7_INS6_11hip_rocprim26transform_input_iterator_tIbNSD_35transform_pair_of_input_iterators_tIbNS6_6detail15normal_iteratorINS6_10device_ptrIKsEEEESL_NS6_8equal_toIsEEEENSG_9not_fun_tINSD_8identityEEEEENSD_19counting_iterator_tIlEES8_S8_S8_S8_S8_S8_S8_S8_EEEEPS9_S9_NSD_9__find_if7functorIS9_EEEE10hipError_tPvRmT1_T2_T3_mT4_P12ihipStream_tbEUlT_E0_NS1_11comp_targetILNS1_3genE2ELNS1_11target_archE906ELNS1_3gpuE6ELNS1_3repE0EEENS1_30default_config_static_selectorELNS0_4arch9wavefront6targetE1EEEvS14_,"axG",@progbits,_ZN7rocprim17ROCPRIM_400000_NS6detail17trampoline_kernelINS0_14default_configENS1_22reduce_config_selectorIN6thrust23THRUST_200600_302600_NS5tupleIblNS6_9null_typeES8_S8_S8_S8_S8_S8_S8_EEEEZNS1_11reduce_implILb1ES3_NS6_12zip_iteratorINS7_INS6_11hip_rocprim26transform_input_iterator_tIbNSD_35transform_pair_of_input_iterators_tIbNS6_6detail15normal_iteratorINS6_10device_ptrIKsEEEESL_NS6_8equal_toIsEEEENSG_9not_fun_tINSD_8identityEEEEENSD_19counting_iterator_tIlEES8_S8_S8_S8_S8_S8_S8_S8_EEEEPS9_S9_NSD_9__find_if7functorIS9_EEEE10hipError_tPvRmT1_T2_T3_mT4_P12ihipStream_tbEUlT_E0_NS1_11comp_targetILNS1_3genE2ELNS1_11target_archE906ELNS1_3gpuE6ELNS1_3repE0EEENS1_30default_config_static_selectorELNS0_4arch9wavefront6targetE1EEEvS14_,comdat
.Lfunc_end302:
	.size	_ZN7rocprim17ROCPRIM_400000_NS6detail17trampoline_kernelINS0_14default_configENS1_22reduce_config_selectorIN6thrust23THRUST_200600_302600_NS5tupleIblNS6_9null_typeES8_S8_S8_S8_S8_S8_S8_EEEEZNS1_11reduce_implILb1ES3_NS6_12zip_iteratorINS7_INS6_11hip_rocprim26transform_input_iterator_tIbNSD_35transform_pair_of_input_iterators_tIbNS6_6detail15normal_iteratorINS6_10device_ptrIKsEEEESL_NS6_8equal_toIsEEEENSG_9not_fun_tINSD_8identityEEEEENSD_19counting_iterator_tIlEES8_S8_S8_S8_S8_S8_S8_S8_EEEEPS9_S9_NSD_9__find_if7functorIS9_EEEE10hipError_tPvRmT1_T2_T3_mT4_P12ihipStream_tbEUlT_E0_NS1_11comp_targetILNS1_3genE2ELNS1_11target_archE906ELNS1_3gpuE6ELNS1_3repE0EEENS1_30default_config_static_selectorELNS0_4arch9wavefront6targetE1EEEvS14_, .Lfunc_end302-_ZN7rocprim17ROCPRIM_400000_NS6detail17trampoline_kernelINS0_14default_configENS1_22reduce_config_selectorIN6thrust23THRUST_200600_302600_NS5tupleIblNS6_9null_typeES8_S8_S8_S8_S8_S8_S8_EEEEZNS1_11reduce_implILb1ES3_NS6_12zip_iteratorINS7_INS6_11hip_rocprim26transform_input_iterator_tIbNSD_35transform_pair_of_input_iterators_tIbNS6_6detail15normal_iteratorINS6_10device_ptrIKsEEEESL_NS6_8equal_toIsEEEENSG_9not_fun_tINSD_8identityEEEEENSD_19counting_iterator_tIlEES8_S8_S8_S8_S8_S8_S8_S8_EEEEPS9_S9_NSD_9__find_if7functorIS9_EEEE10hipError_tPvRmT1_T2_T3_mT4_P12ihipStream_tbEUlT_E0_NS1_11comp_targetILNS1_3genE2ELNS1_11target_archE906ELNS1_3gpuE6ELNS1_3repE0EEENS1_30default_config_static_selectorELNS0_4arch9wavefront6targetE1EEEvS14_
                                        ; -- End function
	.section	.AMDGPU.csdata,"",@progbits
; Kernel info:
; codeLenInByte = 0
; NumSgprs: 4
; NumVgprs: 0
; NumAgprs: 0
; TotalNumVgprs: 0
; ScratchSize: 0
; MemoryBound: 0
; FloatMode: 240
; IeeeMode: 1
; LDSByteSize: 0 bytes/workgroup (compile time only)
; SGPRBlocks: 0
; VGPRBlocks: 0
; NumSGPRsForWavesPerEU: 4
; NumVGPRsForWavesPerEU: 1
; AccumOffset: 4
; Occupancy: 8
; WaveLimiterHint : 0
; COMPUTE_PGM_RSRC2:SCRATCH_EN: 0
; COMPUTE_PGM_RSRC2:USER_SGPR: 6
; COMPUTE_PGM_RSRC2:TRAP_HANDLER: 0
; COMPUTE_PGM_RSRC2:TGID_X_EN: 1
; COMPUTE_PGM_RSRC2:TGID_Y_EN: 0
; COMPUTE_PGM_RSRC2:TGID_Z_EN: 0
; COMPUTE_PGM_RSRC2:TIDIG_COMP_CNT: 0
; COMPUTE_PGM_RSRC3_GFX90A:ACCUM_OFFSET: 0
; COMPUTE_PGM_RSRC3_GFX90A:TG_SPLIT: 0
	.section	.text._ZN7rocprim17ROCPRIM_400000_NS6detail17trampoline_kernelINS0_14default_configENS1_22reduce_config_selectorIN6thrust23THRUST_200600_302600_NS5tupleIblNS6_9null_typeES8_S8_S8_S8_S8_S8_S8_EEEEZNS1_11reduce_implILb1ES3_NS6_12zip_iteratorINS7_INS6_11hip_rocprim26transform_input_iterator_tIbNSD_35transform_pair_of_input_iterators_tIbNS6_6detail15normal_iteratorINS6_10device_ptrIKsEEEESL_NS6_8equal_toIsEEEENSG_9not_fun_tINSD_8identityEEEEENSD_19counting_iterator_tIlEES8_S8_S8_S8_S8_S8_S8_S8_EEEEPS9_S9_NSD_9__find_if7functorIS9_EEEE10hipError_tPvRmT1_T2_T3_mT4_P12ihipStream_tbEUlT_E0_NS1_11comp_targetILNS1_3genE10ELNS1_11target_archE1201ELNS1_3gpuE5ELNS1_3repE0EEENS1_30default_config_static_selectorELNS0_4arch9wavefront6targetE1EEEvS14_,"axG",@progbits,_ZN7rocprim17ROCPRIM_400000_NS6detail17trampoline_kernelINS0_14default_configENS1_22reduce_config_selectorIN6thrust23THRUST_200600_302600_NS5tupleIblNS6_9null_typeES8_S8_S8_S8_S8_S8_S8_EEEEZNS1_11reduce_implILb1ES3_NS6_12zip_iteratorINS7_INS6_11hip_rocprim26transform_input_iterator_tIbNSD_35transform_pair_of_input_iterators_tIbNS6_6detail15normal_iteratorINS6_10device_ptrIKsEEEESL_NS6_8equal_toIsEEEENSG_9not_fun_tINSD_8identityEEEEENSD_19counting_iterator_tIlEES8_S8_S8_S8_S8_S8_S8_S8_EEEEPS9_S9_NSD_9__find_if7functorIS9_EEEE10hipError_tPvRmT1_T2_T3_mT4_P12ihipStream_tbEUlT_E0_NS1_11comp_targetILNS1_3genE10ELNS1_11target_archE1201ELNS1_3gpuE5ELNS1_3repE0EEENS1_30default_config_static_selectorELNS0_4arch9wavefront6targetE1EEEvS14_,comdat
	.protected	_ZN7rocprim17ROCPRIM_400000_NS6detail17trampoline_kernelINS0_14default_configENS1_22reduce_config_selectorIN6thrust23THRUST_200600_302600_NS5tupleIblNS6_9null_typeES8_S8_S8_S8_S8_S8_S8_EEEEZNS1_11reduce_implILb1ES3_NS6_12zip_iteratorINS7_INS6_11hip_rocprim26transform_input_iterator_tIbNSD_35transform_pair_of_input_iterators_tIbNS6_6detail15normal_iteratorINS6_10device_ptrIKsEEEESL_NS6_8equal_toIsEEEENSG_9not_fun_tINSD_8identityEEEEENSD_19counting_iterator_tIlEES8_S8_S8_S8_S8_S8_S8_S8_EEEEPS9_S9_NSD_9__find_if7functorIS9_EEEE10hipError_tPvRmT1_T2_T3_mT4_P12ihipStream_tbEUlT_E0_NS1_11comp_targetILNS1_3genE10ELNS1_11target_archE1201ELNS1_3gpuE5ELNS1_3repE0EEENS1_30default_config_static_selectorELNS0_4arch9wavefront6targetE1EEEvS14_ ; -- Begin function _ZN7rocprim17ROCPRIM_400000_NS6detail17trampoline_kernelINS0_14default_configENS1_22reduce_config_selectorIN6thrust23THRUST_200600_302600_NS5tupleIblNS6_9null_typeES8_S8_S8_S8_S8_S8_S8_EEEEZNS1_11reduce_implILb1ES3_NS6_12zip_iteratorINS7_INS6_11hip_rocprim26transform_input_iterator_tIbNSD_35transform_pair_of_input_iterators_tIbNS6_6detail15normal_iteratorINS6_10device_ptrIKsEEEESL_NS6_8equal_toIsEEEENSG_9not_fun_tINSD_8identityEEEEENSD_19counting_iterator_tIlEES8_S8_S8_S8_S8_S8_S8_S8_EEEEPS9_S9_NSD_9__find_if7functorIS9_EEEE10hipError_tPvRmT1_T2_T3_mT4_P12ihipStream_tbEUlT_E0_NS1_11comp_targetILNS1_3genE10ELNS1_11target_archE1201ELNS1_3gpuE5ELNS1_3repE0EEENS1_30default_config_static_selectorELNS0_4arch9wavefront6targetE1EEEvS14_
	.globl	_ZN7rocprim17ROCPRIM_400000_NS6detail17trampoline_kernelINS0_14default_configENS1_22reduce_config_selectorIN6thrust23THRUST_200600_302600_NS5tupleIblNS6_9null_typeES8_S8_S8_S8_S8_S8_S8_EEEEZNS1_11reduce_implILb1ES3_NS6_12zip_iteratorINS7_INS6_11hip_rocprim26transform_input_iterator_tIbNSD_35transform_pair_of_input_iterators_tIbNS6_6detail15normal_iteratorINS6_10device_ptrIKsEEEESL_NS6_8equal_toIsEEEENSG_9not_fun_tINSD_8identityEEEEENSD_19counting_iterator_tIlEES8_S8_S8_S8_S8_S8_S8_S8_EEEEPS9_S9_NSD_9__find_if7functorIS9_EEEE10hipError_tPvRmT1_T2_T3_mT4_P12ihipStream_tbEUlT_E0_NS1_11comp_targetILNS1_3genE10ELNS1_11target_archE1201ELNS1_3gpuE5ELNS1_3repE0EEENS1_30default_config_static_selectorELNS0_4arch9wavefront6targetE1EEEvS14_
	.p2align	8
	.type	_ZN7rocprim17ROCPRIM_400000_NS6detail17trampoline_kernelINS0_14default_configENS1_22reduce_config_selectorIN6thrust23THRUST_200600_302600_NS5tupleIblNS6_9null_typeES8_S8_S8_S8_S8_S8_S8_EEEEZNS1_11reduce_implILb1ES3_NS6_12zip_iteratorINS7_INS6_11hip_rocprim26transform_input_iterator_tIbNSD_35transform_pair_of_input_iterators_tIbNS6_6detail15normal_iteratorINS6_10device_ptrIKsEEEESL_NS6_8equal_toIsEEEENSG_9not_fun_tINSD_8identityEEEEENSD_19counting_iterator_tIlEES8_S8_S8_S8_S8_S8_S8_S8_EEEEPS9_S9_NSD_9__find_if7functorIS9_EEEE10hipError_tPvRmT1_T2_T3_mT4_P12ihipStream_tbEUlT_E0_NS1_11comp_targetILNS1_3genE10ELNS1_11target_archE1201ELNS1_3gpuE5ELNS1_3repE0EEENS1_30default_config_static_selectorELNS0_4arch9wavefront6targetE1EEEvS14_,@function
_ZN7rocprim17ROCPRIM_400000_NS6detail17trampoline_kernelINS0_14default_configENS1_22reduce_config_selectorIN6thrust23THRUST_200600_302600_NS5tupleIblNS6_9null_typeES8_S8_S8_S8_S8_S8_S8_EEEEZNS1_11reduce_implILb1ES3_NS6_12zip_iteratorINS7_INS6_11hip_rocprim26transform_input_iterator_tIbNSD_35transform_pair_of_input_iterators_tIbNS6_6detail15normal_iteratorINS6_10device_ptrIKsEEEESL_NS6_8equal_toIsEEEENSG_9not_fun_tINSD_8identityEEEEENSD_19counting_iterator_tIlEES8_S8_S8_S8_S8_S8_S8_S8_EEEEPS9_S9_NSD_9__find_if7functorIS9_EEEE10hipError_tPvRmT1_T2_T3_mT4_P12ihipStream_tbEUlT_E0_NS1_11comp_targetILNS1_3genE10ELNS1_11target_archE1201ELNS1_3gpuE5ELNS1_3repE0EEENS1_30default_config_static_selectorELNS0_4arch9wavefront6targetE1EEEvS14_: ; @_ZN7rocprim17ROCPRIM_400000_NS6detail17trampoline_kernelINS0_14default_configENS1_22reduce_config_selectorIN6thrust23THRUST_200600_302600_NS5tupleIblNS6_9null_typeES8_S8_S8_S8_S8_S8_S8_EEEEZNS1_11reduce_implILb1ES3_NS6_12zip_iteratorINS7_INS6_11hip_rocprim26transform_input_iterator_tIbNSD_35transform_pair_of_input_iterators_tIbNS6_6detail15normal_iteratorINS6_10device_ptrIKsEEEESL_NS6_8equal_toIsEEEENSG_9not_fun_tINSD_8identityEEEEENSD_19counting_iterator_tIlEES8_S8_S8_S8_S8_S8_S8_S8_EEEEPS9_S9_NSD_9__find_if7functorIS9_EEEE10hipError_tPvRmT1_T2_T3_mT4_P12ihipStream_tbEUlT_E0_NS1_11comp_targetILNS1_3genE10ELNS1_11target_archE1201ELNS1_3gpuE5ELNS1_3repE0EEENS1_30default_config_static_selectorELNS0_4arch9wavefront6targetE1EEEvS14_
; %bb.0:
	.section	.rodata,"a",@progbits
	.p2align	6, 0x0
	.amdhsa_kernel _ZN7rocprim17ROCPRIM_400000_NS6detail17trampoline_kernelINS0_14default_configENS1_22reduce_config_selectorIN6thrust23THRUST_200600_302600_NS5tupleIblNS6_9null_typeES8_S8_S8_S8_S8_S8_S8_EEEEZNS1_11reduce_implILb1ES3_NS6_12zip_iteratorINS7_INS6_11hip_rocprim26transform_input_iterator_tIbNSD_35transform_pair_of_input_iterators_tIbNS6_6detail15normal_iteratorINS6_10device_ptrIKsEEEESL_NS6_8equal_toIsEEEENSG_9not_fun_tINSD_8identityEEEEENSD_19counting_iterator_tIlEES8_S8_S8_S8_S8_S8_S8_S8_EEEEPS9_S9_NSD_9__find_if7functorIS9_EEEE10hipError_tPvRmT1_T2_T3_mT4_P12ihipStream_tbEUlT_E0_NS1_11comp_targetILNS1_3genE10ELNS1_11target_archE1201ELNS1_3gpuE5ELNS1_3repE0EEENS1_30default_config_static_selectorELNS0_4arch9wavefront6targetE1EEEvS14_
		.amdhsa_group_segment_fixed_size 0
		.amdhsa_private_segment_fixed_size 0
		.amdhsa_kernarg_size 104
		.amdhsa_user_sgpr_count 6
		.amdhsa_user_sgpr_private_segment_buffer 1
		.amdhsa_user_sgpr_dispatch_ptr 0
		.amdhsa_user_sgpr_queue_ptr 0
		.amdhsa_user_sgpr_kernarg_segment_ptr 1
		.amdhsa_user_sgpr_dispatch_id 0
		.amdhsa_user_sgpr_flat_scratch_init 0
		.amdhsa_user_sgpr_kernarg_preload_length 0
		.amdhsa_user_sgpr_kernarg_preload_offset 0
		.amdhsa_user_sgpr_private_segment_size 0
		.amdhsa_uses_dynamic_stack 0
		.amdhsa_system_sgpr_private_segment_wavefront_offset 0
		.amdhsa_system_sgpr_workgroup_id_x 1
		.amdhsa_system_sgpr_workgroup_id_y 0
		.amdhsa_system_sgpr_workgroup_id_z 0
		.amdhsa_system_sgpr_workgroup_info 0
		.amdhsa_system_vgpr_workitem_id 0
		.amdhsa_next_free_vgpr 1
		.amdhsa_next_free_sgpr 0
		.amdhsa_accum_offset 4
		.amdhsa_reserve_vcc 0
		.amdhsa_reserve_flat_scratch 0
		.amdhsa_float_round_mode_32 0
		.amdhsa_float_round_mode_16_64 0
		.amdhsa_float_denorm_mode_32 3
		.amdhsa_float_denorm_mode_16_64 3
		.amdhsa_dx10_clamp 1
		.amdhsa_ieee_mode 1
		.amdhsa_fp16_overflow 0
		.amdhsa_tg_split 0
		.amdhsa_exception_fp_ieee_invalid_op 0
		.amdhsa_exception_fp_denorm_src 0
		.amdhsa_exception_fp_ieee_div_zero 0
		.amdhsa_exception_fp_ieee_overflow 0
		.amdhsa_exception_fp_ieee_underflow 0
		.amdhsa_exception_fp_ieee_inexact 0
		.amdhsa_exception_int_div_zero 0
	.end_amdhsa_kernel
	.section	.text._ZN7rocprim17ROCPRIM_400000_NS6detail17trampoline_kernelINS0_14default_configENS1_22reduce_config_selectorIN6thrust23THRUST_200600_302600_NS5tupleIblNS6_9null_typeES8_S8_S8_S8_S8_S8_S8_EEEEZNS1_11reduce_implILb1ES3_NS6_12zip_iteratorINS7_INS6_11hip_rocprim26transform_input_iterator_tIbNSD_35transform_pair_of_input_iterators_tIbNS6_6detail15normal_iteratorINS6_10device_ptrIKsEEEESL_NS6_8equal_toIsEEEENSG_9not_fun_tINSD_8identityEEEEENSD_19counting_iterator_tIlEES8_S8_S8_S8_S8_S8_S8_S8_EEEEPS9_S9_NSD_9__find_if7functorIS9_EEEE10hipError_tPvRmT1_T2_T3_mT4_P12ihipStream_tbEUlT_E0_NS1_11comp_targetILNS1_3genE10ELNS1_11target_archE1201ELNS1_3gpuE5ELNS1_3repE0EEENS1_30default_config_static_selectorELNS0_4arch9wavefront6targetE1EEEvS14_,"axG",@progbits,_ZN7rocprim17ROCPRIM_400000_NS6detail17trampoline_kernelINS0_14default_configENS1_22reduce_config_selectorIN6thrust23THRUST_200600_302600_NS5tupleIblNS6_9null_typeES8_S8_S8_S8_S8_S8_S8_EEEEZNS1_11reduce_implILb1ES3_NS6_12zip_iteratorINS7_INS6_11hip_rocprim26transform_input_iterator_tIbNSD_35transform_pair_of_input_iterators_tIbNS6_6detail15normal_iteratorINS6_10device_ptrIKsEEEESL_NS6_8equal_toIsEEEENSG_9not_fun_tINSD_8identityEEEEENSD_19counting_iterator_tIlEES8_S8_S8_S8_S8_S8_S8_S8_EEEEPS9_S9_NSD_9__find_if7functorIS9_EEEE10hipError_tPvRmT1_T2_T3_mT4_P12ihipStream_tbEUlT_E0_NS1_11comp_targetILNS1_3genE10ELNS1_11target_archE1201ELNS1_3gpuE5ELNS1_3repE0EEENS1_30default_config_static_selectorELNS0_4arch9wavefront6targetE1EEEvS14_,comdat
.Lfunc_end303:
	.size	_ZN7rocprim17ROCPRIM_400000_NS6detail17trampoline_kernelINS0_14default_configENS1_22reduce_config_selectorIN6thrust23THRUST_200600_302600_NS5tupleIblNS6_9null_typeES8_S8_S8_S8_S8_S8_S8_EEEEZNS1_11reduce_implILb1ES3_NS6_12zip_iteratorINS7_INS6_11hip_rocprim26transform_input_iterator_tIbNSD_35transform_pair_of_input_iterators_tIbNS6_6detail15normal_iteratorINS6_10device_ptrIKsEEEESL_NS6_8equal_toIsEEEENSG_9not_fun_tINSD_8identityEEEEENSD_19counting_iterator_tIlEES8_S8_S8_S8_S8_S8_S8_S8_EEEEPS9_S9_NSD_9__find_if7functorIS9_EEEE10hipError_tPvRmT1_T2_T3_mT4_P12ihipStream_tbEUlT_E0_NS1_11comp_targetILNS1_3genE10ELNS1_11target_archE1201ELNS1_3gpuE5ELNS1_3repE0EEENS1_30default_config_static_selectorELNS0_4arch9wavefront6targetE1EEEvS14_, .Lfunc_end303-_ZN7rocprim17ROCPRIM_400000_NS6detail17trampoline_kernelINS0_14default_configENS1_22reduce_config_selectorIN6thrust23THRUST_200600_302600_NS5tupleIblNS6_9null_typeES8_S8_S8_S8_S8_S8_S8_EEEEZNS1_11reduce_implILb1ES3_NS6_12zip_iteratorINS7_INS6_11hip_rocprim26transform_input_iterator_tIbNSD_35transform_pair_of_input_iterators_tIbNS6_6detail15normal_iteratorINS6_10device_ptrIKsEEEESL_NS6_8equal_toIsEEEENSG_9not_fun_tINSD_8identityEEEEENSD_19counting_iterator_tIlEES8_S8_S8_S8_S8_S8_S8_S8_EEEEPS9_S9_NSD_9__find_if7functorIS9_EEEE10hipError_tPvRmT1_T2_T3_mT4_P12ihipStream_tbEUlT_E0_NS1_11comp_targetILNS1_3genE10ELNS1_11target_archE1201ELNS1_3gpuE5ELNS1_3repE0EEENS1_30default_config_static_selectorELNS0_4arch9wavefront6targetE1EEEvS14_
                                        ; -- End function
	.section	.AMDGPU.csdata,"",@progbits
; Kernel info:
; codeLenInByte = 0
; NumSgprs: 4
; NumVgprs: 0
; NumAgprs: 0
; TotalNumVgprs: 0
; ScratchSize: 0
; MemoryBound: 0
; FloatMode: 240
; IeeeMode: 1
; LDSByteSize: 0 bytes/workgroup (compile time only)
; SGPRBlocks: 0
; VGPRBlocks: 0
; NumSGPRsForWavesPerEU: 4
; NumVGPRsForWavesPerEU: 1
; AccumOffset: 4
; Occupancy: 8
; WaveLimiterHint : 0
; COMPUTE_PGM_RSRC2:SCRATCH_EN: 0
; COMPUTE_PGM_RSRC2:USER_SGPR: 6
; COMPUTE_PGM_RSRC2:TRAP_HANDLER: 0
; COMPUTE_PGM_RSRC2:TGID_X_EN: 1
; COMPUTE_PGM_RSRC2:TGID_Y_EN: 0
; COMPUTE_PGM_RSRC2:TGID_Z_EN: 0
; COMPUTE_PGM_RSRC2:TIDIG_COMP_CNT: 0
; COMPUTE_PGM_RSRC3_GFX90A:ACCUM_OFFSET: 0
; COMPUTE_PGM_RSRC3_GFX90A:TG_SPLIT: 0
	.section	.text._ZN7rocprim17ROCPRIM_400000_NS6detail17trampoline_kernelINS0_14default_configENS1_22reduce_config_selectorIN6thrust23THRUST_200600_302600_NS5tupleIblNS6_9null_typeES8_S8_S8_S8_S8_S8_S8_EEEEZNS1_11reduce_implILb1ES3_NS6_12zip_iteratorINS7_INS6_11hip_rocprim26transform_input_iterator_tIbNSD_35transform_pair_of_input_iterators_tIbNS6_6detail15normal_iteratorINS6_10device_ptrIKsEEEESL_NS6_8equal_toIsEEEENSG_9not_fun_tINSD_8identityEEEEENSD_19counting_iterator_tIlEES8_S8_S8_S8_S8_S8_S8_S8_EEEEPS9_S9_NSD_9__find_if7functorIS9_EEEE10hipError_tPvRmT1_T2_T3_mT4_P12ihipStream_tbEUlT_E0_NS1_11comp_targetILNS1_3genE10ELNS1_11target_archE1200ELNS1_3gpuE4ELNS1_3repE0EEENS1_30default_config_static_selectorELNS0_4arch9wavefront6targetE1EEEvS14_,"axG",@progbits,_ZN7rocprim17ROCPRIM_400000_NS6detail17trampoline_kernelINS0_14default_configENS1_22reduce_config_selectorIN6thrust23THRUST_200600_302600_NS5tupleIblNS6_9null_typeES8_S8_S8_S8_S8_S8_S8_EEEEZNS1_11reduce_implILb1ES3_NS6_12zip_iteratorINS7_INS6_11hip_rocprim26transform_input_iterator_tIbNSD_35transform_pair_of_input_iterators_tIbNS6_6detail15normal_iteratorINS6_10device_ptrIKsEEEESL_NS6_8equal_toIsEEEENSG_9not_fun_tINSD_8identityEEEEENSD_19counting_iterator_tIlEES8_S8_S8_S8_S8_S8_S8_S8_EEEEPS9_S9_NSD_9__find_if7functorIS9_EEEE10hipError_tPvRmT1_T2_T3_mT4_P12ihipStream_tbEUlT_E0_NS1_11comp_targetILNS1_3genE10ELNS1_11target_archE1200ELNS1_3gpuE4ELNS1_3repE0EEENS1_30default_config_static_selectorELNS0_4arch9wavefront6targetE1EEEvS14_,comdat
	.protected	_ZN7rocprim17ROCPRIM_400000_NS6detail17trampoline_kernelINS0_14default_configENS1_22reduce_config_selectorIN6thrust23THRUST_200600_302600_NS5tupleIblNS6_9null_typeES8_S8_S8_S8_S8_S8_S8_EEEEZNS1_11reduce_implILb1ES3_NS6_12zip_iteratorINS7_INS6_11hip_rocprim26transform_input_iterator_tIbNSD_35transform_pair_of_input_iterators_tIbNS6_6detail15normal_iteratorINS6_10device_ptrIKsEEEESL_NS6_8equal_toIsEEEENSG_9not_fun_tINSD_8identityEEEEENSD_19counting_iterator_tIlEES8_S8_S8_S8_S8_S8_S8_S8_EEEEPS9_S9_NSD_9__find_if7functorIS9_EEEE10hipError_tPvRmT1_T2_T3_mT4_P12ihipStream_tbEUlT_E0_NS1_11comp_targetILNS1_3genE10ELNS1_11target_archE1200ELNS1_3gpuE4ELNS1_3repE0EEENS1_30default_config_static_selectorELNS0_4arch9wavefront6targetE1EEEvS14_ ; -- Begin function _ZN7rocprim17ROCPRIM_400000_NS6detail17trampoline_kernelINS0_14default_configENS1_22reduce_config_selectorIN6thrust23THRUST_200600_302600_NS5tupleIblNS6_9null_typeES8_S8_S8_S8_S8_S8_S8_EEEEZNS1_11reduce_implILb1ES3_NS6_12zip_iteratorINS7_INS6_11hip_rocprim26transform_input_iterator_tIbNSD_35transform_pair_of_input_iterators_tIbNS6_6detail15normal_iteratorINS6_10device_ptrIKsEEEESL_NS6_8equal_toIsEEEENSG_9not_fun_tINSD_8identityEEEEENSD_19counting_iterator_tIlEES8_S8_S8_S8_S8_S8_S8_S8_EEEEPS9_S9_NSD_9__find_if7functorIS9_EEEE10hipError_tPvRmT1_T2_T3_mT4_P12ihipStream_tbEUlT_E0_NS1_11comp_targetILNS1_3genE10ELNS1_11target_archE1200ELNS1_3gpuE4ELNS1_3repE0EEENS1_30default_config_static_selectorELNS0_4arch9wavefront6targetE1EEEvS14_
	.globl	_ZN7rocprim17ROCPRIM_400000_NS6detail17trampoline_kernelINS0_14default_configENS1_22reduce_config_selectorIN6thrust23THRUST_200600_302600_NS5tupleIblNS6_9null_typeES8_S8_S8_S8_S8_S8_S8_EEEEZNS1_11reduce_implILb1ES3_NS6_12zip_iteratorINS7_INS6_11hip_rocprim26transform_input_iterator_tIbNSD_35transform_pair_of_input_iterators_tIbNS6_6detail15normal_iteratorINS6_10device_ptrIKsEEEESL_NS6_8equal_toIsEEEENSG_9not_fun_tINSD_8identityEEEEENSD_19counting_iterator_tIlEES8_S8_S8_S8_S8_S8_S8_S8_EEEEPS9_S9_NSD_9__find_if7functorIS9_EEEE10hipError_tPvRmT1_T2_T3_mT4_P12ihipStream_tbEUlT_E0_NS1_11comp_targetILNS1_3genE10ELNS1_11target_archE1200ELNS1_3gpuE4ELNS1_3repE0EEENS1_30default_config_static_selectorELNS0_4arch9wavefront6targetE1EEEvS14_
	.p2align	8
	.type	_ZN7rocprim17ROCPRIM_400000_NS6detail17trampoline_kernelINS0_14default_configENS1_22reduce_config_selectorIN6thrust23THRUST_200600_302600_NS5tupleIblNS6_9null_typeES8_S8_S8_S8_S8_S8_S8_EEEEZNS1_11reduce_implILb1ES3_NS6_12zip_iteratorINS7_INS6_11hip_rocprim26transform_input_iterator_tIbNSD_35transform_pair_of_input_iterators_tIbNS6_6detail15normal_iteratorINS6_10device_ptrIKsEEEESL_NS6_8equal_toIsEEEENSG_9not_fun_tINSD_8identityEEEEENSD_19counting_iterator_tIlEES8_S8_S8_S8_S8_S8_S8_S8_EEEEPS9_S9_NSD_9__find_if7functorIS9_EEEE10hipError_tPvRmT1_T2_T3_mT4_P12ihipStream_tbEUlT_E0_NS1_11comp_targetILNS1_3genE10ELNS1_11target_archE1200ELNS1_3gpuE4ELNS1_3repE0EEENS1_30default_config_static_selectorELNS0_4arch9wavefront6targetE1EEEvS14_,@function
_ZN7rocprim17ROCPRIM_400000_NS6detail17trampoline_kernelINS0_14default_configENS1_22reduce_config_selectorIN6thrust23THRUST_200600_302600_NS5tupleIblNS6_9null_typeES8_S8_S8_S8_S8_S8_S8_EEEEZNS1_11reduce_implILb1ES3_NS6_12zip_iteratorINS7_INS6_11hip_rocprim26transform_input_iterator_tIbNSD_35transform_pair_of_input_iterators_tIbNS6_6detail15normal_iteratorINS6_10device_ptrIKsEEEESL_NS6_8equal_toIsEEEENSG_9not_fun_tINSD_8identityEEEEENSD_19counting_iterator_tIlEES8_S8_S8_S8_S8_S8_S8_S8_EEEEPS9_S9_NSD_9__find_if7functorIS9_EEEE10hipError_tPvRmT1_T2_T3_mT4_P12ihipStream_tbEUlT_E0_NS1_11comp_targetILNS1_3genE10ELNS1_11target_archE1200ELNS1_3gpuE4ELNS1_3repE0EEENS1_30default_config_static_selectorELNS0_4arch9wavefront6targetE1EEEvS14_: ; @_ZN7rocprim17ROCPRIM_400000_NS6detail17trampoline_kernelINS0_14default_configENS1_22reduce_config_selectorIN6thrust23THRUST_200600_302600_NS5tupleIblNS6_9null_typeES8_S8_S8_S8_S8_S8_S8_EEEEZNS1_11reduce_implILb1ES3_NS6_12zip_iteratorINS7_INS6_11hip_rocprim26transform_input_iterator_tIbNSD_35transform_pair_of_input_iterators_tIbNS6_6detail15normal_iteratorINS6_10device_ptrIKsEEEESL_NS6_8equal_toIsEEEENSG_9not_fun_tINSD_8identityEEEEENSD_19counting_iterator_tIlEES8_S8_S8_S8_S8_S8_S8_S8_EEEEPS9_S9_NSD_9__find_if7functorIS9_EEEE10hipError_tPvRmT1_T2_T3_mT4_P12ihipStream_tbEUlT_E0_NS1_11comp_targetILNS1_3genE10ELNS1_11target_archE1200ELNS1_3gpuE4ELNS1_3repE0EEENS1_30default_config_static_selectorELNS0_4arch9wavefront6targetE1EEEvS14_
; %bb.0:
	.section	.rodata,"a",@progbits
	.p2align	6, 0x0
	.amdhsa_kernel _ZN7rocprim17ROCPRIM_400000_NS6detail17trampoline_kernelINS0_14default_configENS1_22reduce_config_selectorIN6thrust23THRUST_200600_302600_NS5tupleIblNS6_9null_typeES8_S8_S8_S8_S8_S8_S8_EEEEZNS1_11reduce_implILb1ES3_NS6_12zip_iteratorINS7_INS6_11hip_rocprim26transform_input_iterator_tIbNSD_35transform_pair_of_input_iterators_tIbNS6_6detail15normal_iteratorINS6_10device_ptrIKsEEEESL_NS6_8equal_toIsEEEENSG_9not_fun_tINSD_8identityEEEEENSD_19counting_iterator_tIlEES8_S8_S8_S8_S8_S8_S8_S8_EEEEPS9_S9_NSD_9__find_if7functorIS9_EEEE10hipError_tPvRmT1_T2_T3_mT4_P12ihipStream_tbEUlT_E0_NS1_11comp_targetILNS1_3genE10ELNS1_11target_archE1200ELNS1_3gpuE4ELNS1_3repE0EEENS1_30default_config_static_selectorELNS0_4arch9wavefront6targetE1EEEvS14_
		.amdhsa_group_segment_fixed_size 0
		.amdhsa_private_segment_fixed_size 0
		.amdhsa_kernarg_size 104
		.amdhsa_user_sgpr_count 6
		.amdhsa_user_sgpr_private_segment_buffer 1
		.amdhsa_user_sgpr_dispatch_ptr 0
		.amdhsa_user_sgpr_queue_ptr 0
		.amdhsa_user_sgpr_kernarg_segment_ptr 1
		.amdhsa_user_sgpr_dispatch_id 0
		.amdhsa_user_sgpr_flat_scratch_init 0
		.amdhsa_user_sgpr_kernarg_preload_length 0
		.amdhsa_user_sgpr_kernarg_preload_offset 0
		.amdhsa_user_sgpr_private_segment_size 0
		.amdhsa_uses_dynamic_stack 0
		.amdhsa_system_sgpr_private_segment_wavefront_offset 0
		.amdhsa_system_sgpr_workgroup_id_x 1
		.amdhsa_system_sgpr_workgroup_id_y 0
		.amdhsa_system_sgpr_workgroup_id_z 0
		.amdhsa_system_sgpr_workgroup_info 0
		.amdhsa_system_vgpr_workitem_id 0
		.amdhsa_next_free_vgpr 1
		.amdhsa_next_free_sgpr 0
		.amdhsa_accum_offset 4
		.amdhsa_reserve_vcc 0
		.amdhsa_reserve_flat_scratch 0
		.amdhsa_float_round_mode_32 0
		.amdhsa_float_round_mode_16_64 0
		.amdhsa_float_denorm_mode_32 3
		.amdhsa_float_denorm_mode_16_64 3
		.amdhsa_dx10_clamp 1
		.amdhsa_ieee_mode 1
		.amdhsa_fp16_overflow 0
		.amdhsa_tg_split 0
		.amdhsa_exception_fp_ieee_invalid_op 0
		.amdhsa_exception_fp_denorm_src 0
		.amdhsa_exception_fp_ieee_div_zero 0
		.amdhsa_exception_fp_ieee_overflow 0
		.amdhsa_exception_fp_ieee_underflow 0
		.amdhsa_exception_fp_ieee_inexact 0
		.amdhsa_exception_int_div_zero 0
	.end_amdhsa_kernel
	.section	.text._ZN7rocprim17ROCPRIM_400000_NS6detail17trampoline_kernelINS0_14default_configENS1_22reduce_config_selectorIN6thrust23THRUST_200600_302600_NS5tupleIblNS6_9null_typeES8_S8_S8_S8_S8_S8_S8_EEEEZNS1_11reduce_implILb1ES3_NS6_12zip_iteratorINS7_INS6_11hip_rocprim26transform_input_iterator_tIbNSD_35transform_pair_of_input_iterators_tIbNS6_6detail15normal_iteratorINS6_10device_ptrIKsEEEESL_NS6_8equal_toIsEEEENSG_9not_fun_tINSD_8identityEEEEENSD_19counting_iterator_tIlEES8_S8_S8_S8_S8_S8_S8_S8_EEEEPS9_S9_NSD_9__find_if7functorIS9_EEEE10hipError_tPvRmT1_T2_T3_mT4_P12ihipStream_tbEUlT_E0_NS1_11comp_targetILNS1_3genE10ELNS1_11target_archE1200ELNS1_3gpuE4ELNS1_3repE0EEENS1_30default_config_static_selectorELNS0_4arch9wavefront6targetE1EEEvS14_,"axG",@progbits,_ZN7rocprim17ROCPRIM_400000_NS6detail17trampoline_kernelINS0_14default_configENS1_22reduce_config_selectorIN6thrust23THRUST_200600_302600_NS5tupleIblNS6_9null_typeES8_S8_S8_S8_S8_S8_S8_EEEEZNS1_11reduce_implILb1ES3_NS6_12zip_iteratorINS7_INS6_11hip_rocprim26transform_input_iterator_tIbNSD_35transform_pair_of_input_iterators_tIbNS6_6detail15normal_iteratorINS6_10device_ptrIKsEEEESL_NS6_8equal_toIsEEEENSG_9not_fun_tINSD_8identityEEEEENSD_19counting_iterator_tIlEES8_S8_S8_S8_S8_S8_S8_S8_EEEEPS9_S9_NSD_9__find_if7functorIS9_EEEE10hipError_tPvRmT1_T2_T3_mT4_P12ihipStream_tbEUlT_E0_NS1_11comp_targetILNS1_3genE10ELNS1_11target_archE1200ELNS1_3gpuE4ELNS1_3repE0EEENS1_30default_config_static_selectorELNS0_4arch9wavefront6targetE1EEEvS14_,comdat
.Lfunc_end304:
	.size	_ZN7rocprim17ROCPRIM_400000_NS6detail17trampoline_kernelINS0_14default_configENS1_22reduce_config_selectorIN6thrust23THRUST_200600_302600_NS5tupleIblNS6_9null_typeES8_S8_S8_S8_S8_S8_S8_EEEEZNS1_11reduce_implILb1ES3_NS6_12zip_iteratorINS7_INS6_11hip_rocprim26transform_input_iterator_tIbNSD_35transform_pair_of_input_iterators_tIbNS6_6detail15normal_iteratorINS6_10device_ptrIKsEEEESL_NS6_8equal_toIsEEEENSG_9not_fun_tINSD_8identityEEEEENSD_19counting_iterator_tIlEES8_S8_S8_S8_S8_S8_S8_S8_EEEEPS9_S9_NSD_9__find_if7functorIS9_EEEE10hipError_tPvRmT1_T2_T3_mT4_P12ihipStream_tbEUlT_E0_NS1_11comp_targetILNS1_3genE10ELNS1_11target_archE1200ELNS1_3gpuE4ELNS1_3repE0EEENS1_30default_config_static_selectorELNS0_4arch9wavefront6targetE1EEEvS14_, .Lfunc_end304-_ZN7rocprim17ROCPRIM_400000_NS6detail17trampoline_kernelINS0_14default_configENS1_22reduce_config_selectorIN6thrust23THRUST_200600_302600_NS5tupleIblNS6_9null_typeES8_S8_S8_S8_S8_S8_S8_EEEEZNS1_11reduce_implILb1ES3_NS6_12zip_iteratorINS7_INS6_11hip_rocprim26transform_input_iterator_tIbNSD_35transform_pair_of_input_iterators_tIbNS6_6detail15normal_iteratorINS6_10device_ptrIKsEEEESL_NS6_8equal_toIsEEEENSG_9not_fun_tINSD_8identityEEEEENSD_19counting_iterator_tIlEES8_S8_S8_S8_S8_S8_S8_S8_EEEEPS9_S9_NSD_9__find_if7functorIS9_EEEE10hipError_tPvRmT1_T2_T3_mT4_P12ihipStream_tbEUlT_E0_NS1_11comp_targetILNS1_3genE10ELNS1_11target_archE1200ELNS1_3gpuE4ELNS1_3repE0EEENS1_30default_config_static_selectorELNS0_4arch9wavefront6targetE1EEEvS14_
                                        ; -- End function
	.section	.AMDGPU.csdata,"",@progbits
; Kernel info:
; codeLenInByte = 0
; NumSgprs: 4
; NumVgprs: 0
; NumAgprs: 0
; TotalNumVgprs: 0
; ScratchSize: 0
; MemoryBound: 0
; FloatMode: 240
; IeeeMode: 1
; LDSByteSize: 0 bytes/workgroup (compile time only)
; SGPRBlocks: 0
; VGPRBlocks: 0
; NumSGPRsForWavesPerEU: 4
; NumVGPRsForWavesPerEU: 1
; AccumOffset: 4
; Occupancy: 8
; WaveLimiterHint : 0
; COMPUTE_PGM_RSRC2:SCRATCH_EN: 0
; COMPUTE_PGM_RSRC2:USER_SGPR: 6
; COMPUTE_PGM_RSRC2:TRAP_HANDLER: 0
; COMPUTE_PGM_RSRC2:TGID_X_EN: 1
; COMPUTE_PGM_RSRC2:TGID_Y_EN: 0
; COMPUTE_PGM_RSRC2:TGID_Z_EN: 0
; COMPUTE_PGM_RSRC2:TIDIG_COMP_CNT: 0
; COMPUTE_PGM_RSRC3_GFX90A:ACCUM_OFFSET: 0
; COMPUTE_PGM_RSRC3_GFX90A:TG_SPLIT: 0
	.section	.text._ZN7rocprim17ROCPRIM_400000_NS6detail17trampoline_kernelINS0_14default_configENS1_22reduce_config_selectorIN6thrust23THRUST_200600_302600_NS5tupleIblNS6_9null_typeES8_S8_S8_S8_S8_S8_S8_EEEEZNS1_11reduce_implILb1ES3_NS6_12zip_iteratorINS7_INS6_11hip_rocprim26transform_input_iterator_tIbNSD_35transform_pair_of_input_iterators_tIbNS6_6detail15normal_iteratorINS6_10device_ptrIKsEEEESL_NS6_8equal_toIsEEEENSG_9not_fun_tINSD_8identityEEEEENSD_19counting_iterator_tIlEES8_S8_S8_S8_S8_S8_S8_S8_EEEEPS9_S9_NSD_9__find_if7functorIS9_EEEE10hipError_tPvRmT1_T2_T3_mT4_P12ihipStream_tbEUlT_E0_NS1_11comp_targetILNS1_3genE9ELNS1_11target_archE1100ELNS1_3gpuE3ELNS1_3repE0EEENS1_30default_config_static_selectorELNS0_4arch9wavefront6targetE1EEEvS14_,"axG",@progbits,_ZN7rocprim17ROCPRIM_400000_NS6detail17trampoline_kernelINS0_14default_configENS1_22reduce_config_selectorIN6thrust23THRUST_200600_302600_NS5tupleIblNS6_9null_typeES8_S8_S8_S8_S8_S8_S8_EEEEZNS1_11reduce_implILb1ES3_NS6_12zip_iteratorINS7_INS6_11hip_rocprim26transform_input_iterator_tIbNSD_35transform_pair_of_input_iterators_tIbNS6_6detail15normal_iteratorINS6_10device_ptrIKsEEEESL_NS6_8equal_toIsEEEENSG_9not_fun_tINSD_8identityEEEEENSD_19counting_iterator_tIlEES8_S8_S8_S8_S8_S8_S8_S8_EEEEPS9_S9_NSD_9__find_if7functorIS9_EEEE10hipError_tPvRmT1_T2_T3_mT4_P12ihipStream_tbEUlT_E0_NS1_11comp_targetILNS1_3genE9ELNS1_11target_archE1100ELNS1_3gpuE3ELNS1_3repE0EEENS1_30default_config_static_selectorELNS0_4arch9wavefront6targetE1EEEvS14_,comdat
	.protected	_ZN7rocprim17ROCPRIM_400000_NS6detail17trampoline_kernelINS0_14default_configENS1_22reduce_config_selectorIN6thrust23THRUST_200600_302600_NS5tupleIblNS6_9null_typeES8_S8_S8_S8_S8_S8_S8_EEEEZNS1_11reduce_implILb1ES3_NS6_12zip_iteratorINS7_INS6_11hip_rocprim26transform_input_iterator_tIbNSD_35transform_pair_of_input_iterators_tIbNS6_6detail15normal_iteratorINS6_10device_ptrIKsEEEESL_NS6_8equal_toIsEEEENSG_9not_fun_tINSD_8identityEEEEENSD_19counting_iterator_tIlEES8_S8_S8_S8_S8_S8_S8_S8_EEEEPS9_S9_NSD_9__find_if7functorIS9_EEEE10hipError_tPvRmT1_T2_T3_mT4_P12ihipStream_tbEUlT_E0_NS1_11comp_targetILNS1_3genE9ELNS1_11target_archE1100ELNS1_3gpuE3ELNS1_3repE0EEENS1_30default_config_static_selectorELNS0_4arch9wavefront6targetE1EEEvS14_ ; -- Begin function _ZN7rocprim17ROCPRIM_400000_NS6detail17trampoline_kernelINS0_14default_configENS1_22reduce_config_selectorIN6thrust23THRUST_200600_302600_NS5tupleIblNS6_9null_typeES8_S8_S8_S8_S8_S8_S8_EEEEZNS1_11reduce_implILb1ES3_NS6_12zip_iteratorINS7_INS6_11hip_rocprim26transform_input_iterator_tIbNSD_35transform_pair_of_input_iterators_tIbNS6_6detail15normal_iteratorINS6_10device_ptrIKsEEEESL_NS6_8equal_toIsEEEENSG_9not_fun_tINSD_8identityEEEEENSD_19counting_iterator_tIlEES8_S8_S8_S8_S8_S8_S8_S8_EEEEPS9_S9_NSD_9__find_if7functorIS9_EEEE10hipError_tPvRmT1_T2_T3_mT4_P12ihipStream_tbEUlT_E0_NS1_11comp_targetILNS1_3genE9ELNS1_11target_archE1100ELNS1_3gpuE3ELNS1_3repE0EEENS1_30default_config_static_selectorELNS0_4arch9wavefront6targetE1EEEvS14_
	.globl	_ZN7rocprim17ROCPRIM_400000_NS6detail17trampoline_kernelINS0_14default_configENS1_22reduce_config_selectorIN6thrust23THRUST_200600_302600_NS5tupleIblNS6_9null_typeES8_S8_S8_S8_S8_S8_S8_EEEEZNS1_11reduce_implILb1ES3_NS6_12zip_iteratorINS7_INS6_11hip_rocprim26transform_input_iterator_tIbNSD_35transform_pair_of_input_iterators_tIbNS6_6detail15normal_iteratorINS6_10device_ptrIKsEEEESL_NS6_8equal_toIsEEEENSG_9not_fun_tINSD_8identityEEEEENSD_19counting_iterator_tIlEES8_S8_S8_S8_S8_S8_S8_S8_EEEEPS9_S9_NSD_9__find_if7functorIS9_EEEE10hipError_tPvRmT1_T2_T3_mT4_P12ihipStream_tbEUlT_E0_NS1_11comp_targetILNS1_3genE9ELNS1_11target_archE1100ELNS1_3gpuE3ELNS1_3repE0EEENS1_30default_config_static_selectorELNS0_4arch9wavefront6targetE1EEEvS14_
	.p2align	8
	.type	_ZN7rocprim17ROCPRIM_400000_NS6detail17trampoline_kernelINS0_14default_configENS1_22reduce_config_selectorIN6thrust23THRUST_200600_302600_NS5tupleIblNS6_9null_typeES8_S8_S8_S8_S8_S8_S8_EEEEZNS1_11reduce_implILb1ES3_NS6_12zip_iteratorINS7_INS6_11hip_rocprim26transform_input_iterator_tIbNSD_35transform_pair_of_input_iterators_tIbNS6_6detail15normal_iteratorINS6_10device_ptrIKsEEEESL_NS6_8equal_toIsEEEENSG_9not_fun_tINSD_8identityEEEEENSD_19counting_iterator_tIlEES8_S8_S8_S8_S8_S8_S8_S8_EEEEPS9_S9_NSD_9__find_if7functorIS9_EEEE10hipError_tPvRmT1_T2_T3_mT4_P12ihipStream_tbEUlT_E0_NS1_11comp_targetILNS1_3genE9ELNS1_11target_archE1100ELNS1_3gpuE3ELNS1_3repE0EEENS1_30default_config_static_selectorELNS0_4arch9wavefront6targetE1EEEvS14_,@function
_ZN7rocprim17ROCPRIM_400000_NS6detail17trampoline_kernelINS0_14default_configENS1_22reduce_config_selectorIN6thrust23THRUST_200600_302600_NS5tupleIblNS6_9null_typeES8_S8_S8_S8_S8_S8_S8_EEEEZNS1_11reduce_implILb1ES3_NS6_12zip_iteratorINS7_INS6_11hip_rocprim26transform_input_iterator_tIbNSD_35transform_pair_of_input_iterators_tIbNS6_6detail15normal_iteratorINS6_10device_ptrIKsEEEESL_NS6_8equal_toIsEEEENSG_9not_fun_tINSD_8identityEEEEENSD_19counting_iterator_tIlEES8_S8_S8_S8_S8_S8_S8_S8_EEEEPS9_S9_NSD_9__find_if7functorIS9_EEEE10hipError_tPvRmT1_T2_T3_mT4_P12ihipStream_tbEUlT_E0_NS1_11comp_targetILNS1_3genE9ELNS1_11target_archE1100ELNS1_3gpuE3ELNS1_3repE0EEENS1_30default_config_static_selectorELNS0_4arch9wavefront6targetE1EEEvS14_: ; @_ZN7rocprim17ROCPRIM_400000_NS6detail17trampoline_kernelINS0_14default_configENS1_22reduce_config_selectorIN6thrust23THRUST_200600_302600_NS5tupleIblNS6_9null_typeES8_S8_S8_S8_S8_S8_S8_EEEEZNS1_11reduce_implILb1ES3_NS6_12zip_iteratorINS7_INS6_11hip_rocprim26transform_input_iterator_tIbNSD_35transform_pair_of_input_iterators_tIbNS6_6detail15normal_iteratorINS6_10device_ptrIKsEEEESL_NS6_8equal_toIsEEEENSG_9not_fun_tINSD_8identityEEEEENSD_19counting_iterator_tIlEES8_S8_S8_S8_S8_S8_S8_S8_EEEEPS9_S9_NSD_9__find_if7functorIS9_EEEE10hipError_tPvRmT1_T2_T3_mT4_P12ihipStream_tbEUlT_E0_NS1_11comp_targetILNS1_3genE9ELNS1_11target_archE1100ELNS1_3gpuE3ELNS1_3repE0EEENS1_30default_config_static_selectorELNS0_4arch9wavefront6targetE1EEEvS14_
; %bb.0:
	.section	.rodata,"a",@progbits
	.p2align	6, 0x0
	.amdhsa_kernel _ZN7rocprim17ROCPRIM_400000_NS6detail17trampoline_kernelINS0_14default_configENS1_22reduce_config_selectorIN6thrust23THRUST_200600_302600_NS5tupleIblNS6_9null_typeES8_S8_S8_S8_S8_S8_S8_EEEEZNS1_11reduce_implILb1ES3_NS6_12zip_iteratorINS7_INS6_11hip_rocprim26transform_input_iterator_tIbNSD_35transform_pair_of_input_iterators_tIbNS6_6detail15normal_iteratorINS6_10device_ptrIKsEEEESL_NS6_8equal_toIsEEEENSG_9not_fun_tINSD_8identityEEEEENSD_19counting_iterator_tIlEES8_S8_S8_S8_S8_S8_S8_S8_EEEEPS9_S9_NSD_9__find_if7functorIS9_EEEE10hipError_tPvRmT1_T2_T3_mT4_P12ihipStream_tbEUlT_E0_NS1_11comp_targetILNS1_3genE9ELNS1_11target_archE1100ELNS1_3gpuE3ELNS1_3repE0EEENS1_30default_config_static_selectorELNS0_4arch9wavefront6targetE1EEEvS14_
		.amdhsa_group_segment_fixed_size 0
		.amdhsa_private_segment_fixed_size 0
		.amdhsa_kernarg_size 104
		.amdhsa_user_sgpr_count 6
		.amdhsa_user_sgpr_private_segment_buffer 1
		.amdhsa_user_sgpr_dispatch_ptr 0
		.amdhsa_user_sgpr_queue_ptr 0
		.amdhsa_user_sgpr_kernarg_segment_ptr 1
		.amdhsa_user_sgpr_dispatch_id 0
		.amdhsa_user_sgpr_flat_scratch_init 0
		.amdhsa_user_sgpr_kernarg_preload_length 0
		.amdhsa_user_sgpr_kernarg_preload_offset 0
		.amdhsa_user_sgpr_private_segment_size 0
		.amdhsa_uses_dynamic_stack 0
		.amdhsa_system_sgpr_private_segment_wavefront_offset 0
		.amdhsa_system_sgpr_workgroup_id_x 1
		.amdhsa_system_sgpr_workgroup_id_y 0
		.amdhsa_system_sgpr_workgroup_id_z 0
		.amdhsa_system_sgpr_workgroup_info 0
		.amdhsa_system_vgpr_workitem_id 0
		.amdhsa_next_free_vgpr 1
		.amdhsa_next_free_sgpr 0
		.amdhsa_accum_offset 4
		.amdhsa_reserve_vcc 0
		.amdhsa_reserve_flat_scratch 0
		.amdhsa_float_round_mode_32 0
		.amdhsa_float_round_mode_16_64 0
		.amdhsa_float_denorm_mode_32 3
		.amdhsa_float_denorm_mode_16_64 3
		.amdhsa_dx10_clamp 1
		.amdhsa_ieee_mode 1
		.amdhsa_fp16_overflow 0
		.amdhsa_tg_split 0
		.amdhsa_exception_fp_ieee_invalid_op 0
		.amdhsa_exception_fp_denorm_src 0
		.amdhsa_exception_fp_ieee_div_zero 0
		.amdhsa_exception_fp_ieee_overflow 0
		.amdhsa_exception_fp_ieee_underflow 0
		.amdhsa_exception_fp_ieee_inexact 0
		.amdhsa_exception_int_div_zero 0
	.end_amdhsa_kernel
	.section	.text._ZN7rocprim17ROCPRIM_400000_NS6detail17trampoline_kernelINS0_14default_configENS1_22reduce_config_selectorIN6thrust23THRUST_200600_302600_NS5tupleIblNS6_9null_typeES8_S8_S8_S8_S8_S8_S8_EEEEZNS1_11reduce_implILb1ES3_NS6_12zip_iteratorINS7_INS6_11hip_rocprim26transform_input_iterator_tIbNSD_35transform_pair_of_input_iterators_tIbNS6_6detail15normal_iteratorINS6_10device_ptrIKsEEEESL_NS6_8equal_toIsEEEENSG_9not_fun_tINSD_8identityEEEEENSD_19counting_iterator_tIlEES8_S8_S8_S8_S8_S8_S8_S8_EEEEPS9_S9_NSD_9__find_if7functorIS9_EEEE10hipError_tPvRmT1_T2_T3_mT4_P12ihipStream_tbEUlT_E0_NS1_11comp_targetILNS1_3genE9ELNS1_11target_archE1100ELNS1_3gpuE3ELNS1_3repE0EEENS1_30default_config_static_selectorELNS0_4arch9wavefront6targetE1EEEvS14_,"axG",@progbits,_ZN7rocprim17ROCPRIM_400000_NS6detail17trampoline_kernelINS0_14default_configENS1_22reduce_config_selectorIN6thrust23THRUST_200600_302600_NS5tupleIblNS6_9null_typeES8_S8_S8_S8_S8_S8_S8_EEEEZNS1_11reduce_implILb1ES3_NS6_12zip_iteratorINS7_INS6_11hip_rocprim26transform_input_iterator_tIbNSD_35transform_pair_of_input_iterators_tIbNS6_6detail15normal_iteratorINS6_10device_ptrIKsEEEESL_NS6_8equal_toIsEEEENSG_9not_fun_tINSD_8identityEEEEENSD_19counting_iterator_tIlEES8_S8_S8_S8_S8_S8_S8_S8_EEEEPS9_S9_NSD_9__find_if7functorIS9_EEEE10hipError_tPvRmT1_T2_T3_mT4_P12ihipStream_tbEUlT_E0_NS1_11comp_targetILNS1_3genE9ELNS1_11target_archE1100ELNS1_3gpuE3ELNS1_3repE0EEENS1_30default_config_static_selectorELNS0_4arch9wavefront6targetE1EEEvS14_,comdat
.Lfunc_end305:
	.size	_ZN7rocprim17ROCPRIM_400000_NS6detail17trampoline_kernelINS0_14default_configENS1_22reduce_config_selectorIN6thrust23THRUST_200600_302600_NS5tupleIblNS6_9null_typeES8_S8_S8_S8_S8_S8_S8_EEEEZNS1_11reduce_implILb1ES3_NS6_12zip_iteratorINS7_INS6_11hip_rocprim26transform_input_iterator_tIbNSD_35transform_pair_of_input_iterators_tIbNS6_6detail15normal_iteratorINS6_10device_ptrIKsEEEESL_NS6_8equal_toIsEEEENSG_9not_fun_tINSD_8identityEEEEENSD_19counting_iterator_tIlEES8_S8_S8_S8_S8_S8_S8_S8_EEEEPS9_S9_NSD_9__find_if7functorIS9_EEEE10hipError_tPvRmT1_T2_T3_mT4_P12ihipStream_tbEUlT_E0_NS1_11comp_targetILNS1_3genE9ELNS1_11target_archE1100ELNS1_3gpuE3ELNS1_3repE0EEENS1_30default_config_static_selectorELNS0_4arch9wavefront6targetE1EEEvS14_, .Lfunc_end305-_ZN7rocprim17ROCPRIM_400000_NS6detail17trampoline_kernelINS0_14default_configENS1_22reduce_config_selectorIN6thrust23THRUST_200600_302600_NS5tupleIblNS6_9null_typeES8_S8_S8_S8_S8_S8_S8_EEEEZNS1_11reduce_implILb1ES3_NS6_12zip_iteratorINS7_INS6_11hip_rocprim26transform_input_iterator_tIbNSD_35transform_pair_of_input_iterators_tIbNS6_6detail15normal_iteratorINS6_10device_ptrIKsEEEESL_NS6_8equal_toIsEEEENSG_9not_fun_tINSD_8identityEEEEENSD_19counting_iterator_tIlEES8_S8_S8_S8_S8_S8_S8_S8_EEEEPS9_S9_NSD_9__find_if7functorIS9_EEEE10hipError_tPvRmT1_T2_T3_mT4_P12ihipStream_tbEUlT_E0_NS1_11comp_targetILNS1_3genE9ELNS1_11target_archE1100ELNS1_3gpuE3ELNS1_3repE0EEENS1_30default_config_static_selectorELNS0_4arch9wavefront6targetE1EEEvS14_
                                        ; -- End function
	.section	.AMDGPU.csdata,"",@progbits
; Kernel info:
; codeLenInByte = 0
; NumSgprs: 4
; NumVgprs: 0
; NumAgprs: 0
; TotalNumVgprs: 0
; ScratchSize: 0
; MemoryBound: 0
; FloatMode: 240
; IeeeMode: 1
; LDSByteSize: 0 bytes/workgroup (compile time only)
; SGPRBlocks: 0
; VGPRBlocks: 0
; NumSGPRsForWavesPerEU: 4
; NumVGPRsForWavesPerEU: 1
; AccumOffset: 4
; Occupancy: 8
; WaveLimiterHint : 0
; COMPUTE_PGM_RSRC2:SCRATCH_EN: 0
; COMPUTE_PGM_RSRC2:USER_SGPR: 6
; COMPUTE_PGM_RSRC2:TRAP_HANDLER: 0
; COMPUTE_PGM_RSRC2:TGID_X_EN: 1
; COMPUTE_PGM_RSRC2:TGID_Y_EN: 0
; COMPUTE_PGM_RSRC2:TGID_Z_EN: 0
; COMPUTE_PGM_RSRC2:TIDIG_COMP_CNT: 0
; COMPUTE_PGM_RSRC3_GFX90A:ACCUM_OFFSET: 0
; COMPUTE_PGM_RSRC3_GFX90A:TG_SPLIT: 0
	.section	.text._ZN7rocprim17ROCPRIM_400000_NS6detail17trampoline_kernelINS0_14default_configENS1_22reduce_config_selectorIN6thrust23THRUST_200600_302600_NS5tupleIblNS6_9null_typeES8_S8_S8_S8_S8_S8_S8_EEEEZNS1_11reduce_implILb1ES3_NS6_12zip_iteratorINS7_INS6_11hip_rocprim26transform_input_iterator_tIbNSD_35transform_pair_of_input_iterators_tIbNS6_6detail15normal_iteratorINS6_10device_ptrIKsEEEESL_NS6_8equal_toIsEEEENSG_9not_fun_tINSD_8identityEEEEENSD_19counting_iterator_tIlEES8_S8_S8_S8_S8_S8_S8_S8_EEEEPS9_S9_NSD_9__find_if7functorIS9_EEEE10hipError_tPvRmT1_T2_T3_mT4_P12ihipStream_tbEUlT_E0_NS1_11comp_targetILNS1_3genE8ELNS1_11target_archE1030ELNS1_3gpuE2ELNS1_3repE0EEENS1_30default_config_static_selectorELNS0_4arch9wavefront6targetE1EEEvS14_,"axG",@progbits,_ZN7rocprim17ROCPRIM_400000_NS6detail17trampoline_kernelINS0_14default_configENS1_22reduce_config_selectorIN6thrust23THRUST_200600_302600_NS5tupleIblNS6_9null_typeES8_S8_S8_S8_S8_S8_S8_EEEEZNS1_11reduce_implILb1ES3_NS6_12zip_iteratorINS7_INS6_11hip_rocprim26transform_input_iterator_tIbNSD_35transform_pair_of_input_iterators_tIbNS6_6detail15normal_iteratorINS6_10device_ptrIKsEEEESL_NS6_8equal_toIsEEEENSG_9not_fun_tINSD_8identityEEEEENSD_19counting_iterator_tIlEES8_S8_S8_S8_S8_S8_S8_S8_EEEEPS9_S9_NSD_9__find_if7functorIS9_EEEE10hipError_tPvRmT1_T2_T3_mT4_P12ihipStream_tbEUlT_E0_NS1_11comp_targetILNS1_3genE8ELNS1_11target_archE1030ELNS1_3gpuE2ELNS1_3repE0EEENS1_30default_config_static_selectorELNS0_4arch9wavefront6targetE1EEEvS14_,comdat
	.protected	_ZN7rocprim17ROCPRIM_400000_NS6detail17trampoline_kernelINS0_14default_configENS1_22reduce_config_selectorIN6thrust23THRUST_200600_302600_NS5tupleIblNS6_9null_typeES8_S8_S8_S8_S8_S8_S8_EEEEZNS1_11reduce_implILb1ES3_NS6_12zip_iteratorINS7_INS6_11hip_rocprim26transform_input_iterator_tIbNSD_35transform_pair_of_input_iterators_tIbNS6_6detail15normal_iteratorINS6_10device_ptrIKsEEEESL_NS6_8equal_toIsEEEENSG_9not_fun_tINSD_8identityEEEEENSD_19counting_iterator_tIlEES8_S8_S8_S8_S8_S8_S8_S8_EEEEPS9_S9_NSD_9__find_if7functorIS9_EEEE10hipError_tPvRmT1_T2_T3_mT4_P12ihipStream_tbEUlT_E0_NS1_11comp_targetILNS1_3genE8ELNS1_11target_archE1030ELNS1_3gpuE2ELNS1_3repE0EEENS1_30default_config_static_selectorELNS0_4arch9wavefront6targetE1EEEvS14_ ; -- Begin function _ZN7rocprim17ROCPRIM_400000_NS6detail17trampoline_kernelINS0_14default_configENS1_22reduce_config_selectorIN6thrust23THRUST_200600_302600_NS5tupleIblNS6_9null_typeES8_S8_S8_S8_S8_S8_S8_EEEEZNS1_11reduce_implILb1ES3_NS6_12zip_iteratorINS7_INS6_11hip_rocprim26transform_input_iterator_tIbNSD_35transform_pair_of_input_iterators_tIbNS6_6detail15normal_iteratorINS6_10device_ptrIKsEEEESL_NS6_8equal_toIsEEEENSG_9not_fun_tINSD_8identityEEEEENSD_19counting_iterator_tIlEES8_S8_S8_S8_S8_S8_S8_S8_EEEEPS9_S9_NSD_9__find_if7functorIS9_EEEE10hipError_tPvRmT1_T2_T3_mT4_P12ihipStream_tbEUlT_E0_NS1_11comp_targetILNS1_3genE8ELNS1_11target_archE1030ELNS1_3gpuE2ELNS1_3repE0EEENS1_30default_config_static_selectorELNS0_4arch9wavefront6targetE1EEEvS14_
	.globl	_ZN7rocprim17ROCPRIM_400000_NS6detail17trampoline_kernelINS0_14default_configENS1_22reduce_config_selectorIN6thrust23THRUST_200600_302600_NS5tupleIblNS6_9null_typeES8_S8_S8_S8_S8_S8_S8_EEEEZNS1_11reduce_implILb1ES3_NS6_12zip_iteratorINS7_INS6_11hip_rocprim26transform_input_iterator_tIbNSD_35transform_pair_of_input_iterators_tIbNS6_6detail15normal_iteratorINS6_10device_ptrIKsEEEESL_NS6_8equal_toIsEEEENSG_9not_fun_tINSD_8identityEEEEENSD_19counting_iterator_tIlEES8_S8_S8_S8_S8_S8_S8_S8_EEEEPS9_S9_NSD_9__find_if7functorIS9_EEEE10hipError_tPvRmT1_T2_T3_mT4_P12ihipStream_tbEUlT_E0_NS1_11comp_targetILNS1_3genE8ELNS1_11target_archE1030ELNS1_3gpuE2ELNS1_3repE0EEENS1_30default_config_static_selectorELNS0_4arch9wavefront6targetE1EEEvS14_
	.p2align	8
	.type	_ZN7rocprim17ROCPRIM_400000_NS6detail17trampoline_kernelINS0_14default_configENS1_22reduce_config_selectorIN6thrust23THRUST_200600_302600_NS5tupleIblNS6_9null_typeES8_S8_S8_S8_S8_S8_S8_EEEEZNS1_11reduce_implILb1ES3_NS6_12zip_iteratorINS7_INS6_11hip_rocprim26transform_input_iterator_tIbNSD_35transform_pair_of_input_iterators_tIbNS6_6detail15normal_iteratorINS6_10device_ptrIKsEEEESL_NS6_8equal_toIsEEEENSG_9not_fun_tINSD_8identityEEEEENSD_19counting_iterator_tIlEES8_S8_S8_S8_S8_S8_S8_S8_EEEEPS9_S9_NSD_9__find_if7functorIS9_EEEE10hipError_tPvRmT1_T2_T3_mT4_P12ihipStream_tbEUlT_E0_NS1_11comp_targetILNS1_3genE8ELNS1_11target_archE1030ELNS1_3gpuE2ELNS1_3repE0EEENS1_30default_config_static_selectorELNS0_4arch9wavefront6targetE1EEEvS14_,@function
_ZN7rocprim17ROCPRIM_400000_NS6detail17trampoline_kernelINS0_14default_configENS1_22reduce_config_selectorIN6thrust23THRUST_200600_302600_NS5tupleIblNS6_9null_typeES8_S8_S8_S8_S8_S8_S8_EEEEZNS1_11reduce_implILb1ES3_NS6_12zip_iteratorINS7_INS6_11hip_rocprim26transform_input_iterator_tIbNSD_35transform_pair_of_input_iterators_tIbNS6_6detail15normal_iteratorINS6_10device_ptrIKsEEEESL_NS6_8equal_toIsEEEENSG_9not_fun_tINSD_8identityEEEEENSD_19counting_iterator_tIlEES8_S8_S8_S8_S8_S8_S8_S8_EEEEPS9_S9_NSD_9__find_if7functorIS9_EEEE10hipError_tPvRmT1_T2_T3_mT4_P12ihipStream_tbEUlT_E0_NS1_11comp_targetILNS1_3genE8ELNS1_11target_archE1030ELNS1_3gpuE2ELNS1_3repE0EEENS1_30default_config_static_selectorELNS0_4arch9wavefront6targetE1EEEvS14_: ; @_ZN7rocprim17ROCPRIM_400000_NS6detail17trampoline_kernelINS0_14default_configENS1_22reduce_config_selectorIN6thrust23THRUST_200600_302600_NS5tupleIblNS6_9null_typeES8_S8_S8_S8_S8_S8_S8_EEEEZNS1_11reduce_implILb1ES3_NS6_12zip_iteratorINS7_INS6_11hip_rocprim26transform_input_iterator_tIbNSD_35transform_pair_of_input_iterators_tIbNS6_6detail15normal_iteratorINS6_10device_ptrIKsEEEESL_NS6_8equal_toIsEEEENSG_9not_fun_tINSD_8identityEEEEENSD_19counting_iterator_tIlEES8_S8_S8_S8_S8_S8_S8_S8_EEEEPS9_S9_NSD_9__find_if7functorIS9_EEEE10hipError_tPvRmT1_T2_T3_mT4_P12ihipStream_tbEUlT_E0_NS1_11comp_targetILNS1_3genE8ELNS1_11target_archE1030ELNS1_3gpuE2ELNS1_3repE0EEENS1_30default_config_static_selectorELNS0_4arch9wavefront6targetE1EEEvS14_
; %bb.0:
	.section	.rodata,"a",@progbits
	.p2align	6, 0x0
	.amdhsa_kernel _ZN7rocprim17ROCPRIM_400000_NS6detail17trampoline_kernelINS0_14default_configENS1_22reduce_config_selectorIN6thrust23THRUST_200600_302600_NS5tupleIblNS6_9null_typeES8_S8_S8_S8_S8_S8_S8_EEEEZNS1_11reduce_implILb1ES3_NS6_12zip_iteratorINS7_INS6_11hip_rocprim26transform_input_iterator_tIbNSD_35transform_pair_of_input_iterators_tIbNS6_6detail15normal_iteratorINS6_10device_ptrIKsEEEESL_NS6_8equal_toIsEEEENSG_9not_fun_tINSD_8identityEEEEENSD_19counting_iterator_tIlEES8_S8_S8_S8_S8_S8_S8_S8_EEEEPS9_S9_NSD_9__find_if7functorIS9_EEEE10hipError_tPvRmT1_T2_T3_mT4_P12ihipStream_tbEUlT_E0_NS1_11comp_targetILNS1_3genE8ELNS1_11target_archE1030ELNS1_3gpuE2ELNS1_3repE0EEENS1_30default_config_static_selectorELNS0_4arch9wavefront6targetE1EEEvS14_
		.amdhsa_group_segment_fixed_size 0
		.amdhsa_private_segment_fixed_size 0
		.amdhsa_kernarg_size 104
		.amdhsa_user_sgpr_count 6
		.amdhsa_user_sgpr_private_segment_buffer 1
		.amdhsa_user_sgpr_dispatch_ptr 0
		.amdhsa_user_sgpr_queue_ptr 0
		.amdhsa_user_sgpr_kernarg_segment_ptr 1
		.amdhsa_user_sgpr_dispatch_id 0
		.amdhsa_user_sgpr_flat_scratch_init 0
		.amdhsa_user_sgpr_kernarg_preload_length 0
		.amdhsa_user_sgpr_kernarg_preload_offset 0
		.amdhsa_user_sgpr_private_segment_size 0
		.amdhsa_uses_dynamic_stack 0
		.amdhsa_system_sgpr_private_segment_wavefront_offset 0
		.amdhsa_system_sgpr_workgroup_id_x 1
		.amdhsa_system_sgpr_workgroup_id_y 0
		.amdhsa_system_sgpr_workgroup_id_z 0
		.amdhsa_system_sgpr_workgroup_info 0
		.amdhsa_system_vgpr_workitem_id 0
		.amdhsa_next_free_vgpr 1
		.amdhsa_next_free_sgpr 0
		.amdhsa_accum_offset 4
		.amdhsa_reserve_vcc 0
		.amdhsa_reserve_flat_scratch 0
		.amdhsa_float_round_mode_32 0
		.amdhsa_float_round_mode_16_64 0
		.amdhsa_float_denorm_mode_32 3
		.amdhsa_float_denorm_mode_16_64 3
		.amdhsa_dx10_clamp 1
		.amdhsa_ieee_mode 1
		.amdhsa_fp16_overflow 0
		.amdhsa_tg_split 0
		.amdhsa_exception_fp_ieee_invalid_op 0
		.amdhsa_exception_fp_denorm_src 0
		.amdhsa_exception_fp_ieee_div_zero 0
		.amdhsa_exception_fp_ieee_overflow 0
		.amdhsa_exception_fp_ieee_underflow 0
		.amdhsa_exception_fp_ieee_inexact 0
		.amdhsa_exception_int_div_zero 0
	.end_amdhsa_kernel
	.section	.text._ZN7rocprim17ROCPRIM_400000_NS6detail17trampoline_kernelINS0_14default_configENS1_22reduce_config_selectorIN6thrust23THRUST_200600_302600_NS5tupleIblNS6_9null_typeES8_S8_S8_S8_S8_S8_S8_EEEEZNS1_11reduce_implILb1ES3_NS6_12zip_iteratorINS7_INS6_11hip_rocprim26transform_input_iterator_tIbNSD_35transform_pair_of_input_iterators_tIbNS6_6detail15normal_iteratorINS6_10device_ptrIKsEEEESL_NS6_8equal_toIsEEEENSG_9not_fun_tINSD_8identityEEEEENSD_19counting_iterator_tIlEES8_S8_S8_S8_S8_S8_S8_S8_EEEEPS9_S9_NSD_9__find_if7functorIS9_EEEE10hipError_tPvRmT1_T2_T3_mT4_P12ihipStream_tbEUlT_E0_NS1_11comp_targetILNS1_3genE8ELNS1_11target_archE1030ELNS1_3gpuE2ELNS1_3repE0EEENS1_30default_config_static_selectorELNS0_4arch9wavefront6targetE1EEEvS14_,"axG",@progbits,_ZN7rocprim17ROCPRIM_400000_NS6detail17trampoline_kernelINS0_14default_configENS1_22reduce_config_selectorIN6thrust23THRUST_200600_302600_NS5tupleIblNS6_9null_typeES8_S8_S8_S8_S8_S8_S8_EEEEZNS1_11reduce_implILb1ES3_NS6_12zip_iteratorINS7_INS6_11hip_rocprim26transform_input_iterator_tIbNSD_35transform_pair_of_input_iterators_tIbNS6_6detail15normal_iteratorINS6_10device_ptrIKsEEEESL_NS6_8equal_toIsEEEENSG_9not_fun_tINSD_8identityEEEEENSD_19counting_iterator_tIlEES8_S8_S8_S8_S8_S8_S8_S8_EEEEPS9_S9_NSD_9__find_if7functorIS9_EEEE10hipError_tPvRmT1_T2_T3_mT4_P12ihipStream_tbEUlT_E0_NS1_11comp_targetILNS1_3genE8ELNS1_11target_archE1030ELNS1_3gpuE2ELNS1_3repE0EEENS1_30default_config_static_selectorELNS0_4arch9wavefront6targetE1EEEvS14_,comdat
.Lfunc_end306:
	.size	_ZN7rocprim17ROCPRIM_400000_NS6detail17trampoline_kernelINS0_14default_configENS1_22reduce_config_selectorIN6thrust23THRUST_200600_302600_NS5tupleIblNS6_9null_typeES8_S8_S8_S8_S8_S8_S8_EEEEZNS1_11reduce_implILb1ES3_NS6_12zip_iteratorINS7_INS6_11hip_rocprim26transform_input_iterator_tIbNSD_35transform_pair_of_input_iterators_tIbNS6_6detail15normal_iteratorINS6_10device_ptrIKsEEEESL_NS6_8equal_toIsEEEENSG_9not_fun_tINSD_8identityEEEEENSD_19counting_iterator_tIlEES8_S8_S8_S8_S8_S8_S8_S8_EEEEPS9_S9_NSD_9__find_if7functorIS9_EEEE10hipError_tPvRmT1_T2_T3_mT4_P12ihipStream_tbEUlT_E0_NS1_11comp_targetILNS1_3genE8ELNS1_11target_archE1030ELNS1_3gpuE2ELNS1_3repE0EEENS1_30default_config_static_selectorELNS0_4arch9wavefront6targetE1EEEvS14_, .Lfunc_end306-_ZN7rocprim17ROCPRIM_400000_NS6detail17trampoline_kernelINS0_14default_configENS1_22reduce_config_selectorIN6thrust23THRUST_200600_302600_NS5tupleIblNS6_9null_typeES8_S8_S8_S8_S8_S8_S8_EEEEZNS1_11reduce_implILb1ES3_NS6_12zip_iteratorINS7_INS6_11hip_rocprim26transform_input_iterator_tIbNSD_35transform_pair_of_input_iterators_tIbNS6_6detail15normal_iteratorINS6_10device_ptrIKsEEEESL_NS6_8equal_toIsEEEENSG_9not_fun_tINSD_8identityEEEEENSD_19counting_iterator_tIlEES8_S8_S8_S8_S8_S8_S8_S8_EEEEPS9_S9_NSD_9__find_if7functorIS9_EEEE10hipError_tPvRmT1_T2_T3_mT4_P12ihipStream_tbEUlT_E0_NS1_11comp_targetILNS1_3genE8ELNS1_11target_archE1030ELNS1_3gpuE2ELNS1_3repE0EEENS1_30default_config_static_selectorELNS0_4arch9wavefront6targetE1EEEvS14_
                                        ; -- End function
	.section	.AMDGPU.csdata,"",@progbits
; Kernel info:
; codeLenInByte = 0
; NumSgprs: 4
; NumVgprs: 0
; NumAgprs: 0
; TotalNumVgprs: 0
; ScratchSize: 0
; MemoryBound: 0
; FloatMode: 240
; IeeeMode: 1
; LDSByteSize: 0 bytes/workgroup (compile time only)
; SGPRBlocks: 0
; VGPRBlocks: 0
; NumSGPRsForWavesPerEU: 4
; NumVGPRsForWavesPerEU: 1
; AccumOffset: 4
; Occupancy: 8
; WaveLimiterHint : 0
; COMPUTE_PGM_RSRC2:SCRATCH_EN: 0
; COMPUTE_PGM_RSRC2:USER_SGPR: 6
; COMPUTE_PGM_RSRC2:TRAP_HANDLER: 0
; COMPUTE_PGM_RSRC2:TGID_X_EN: 1
; COMPUTE_PGM_RSRC2:TGID_Y_EN: 0
; COMPUTE_PGM_RSRC2:TGID_Z_EN: 0
; COMPUTE_PGM_RSRC2:TIDIG_COMP_CNT: 0
; COMPUTE_PGM_RSRC3_GFX90A:ACCUM_OFFSET: 0
; COMPUTE_PGM_RSRC3_GFX90A:TG_SPLIT: 0
	.section	.text._ZN7rocprim17ROCPRIM_400000_NS6detail17trampoline_kernelINS0_14default_configENS1_22reduce_config_selectorIN6thrust23THRUST_200600_302600_NS5tupleIblNS6_9null_typeES8_S8_S8_S8_S8_S8_S8_EEEEZNS1_11reduce_implILb1ES3_NS6_12zip_iteratorINS7_INS6_11hip_rocprim26transform_input_iterator_tIbNSD_35transform_pair_of_input_iterators_tIbNS6_6detail15normal_iteratorINS6_10device_ptrIKsEEEESL_NS6_8equal_toIsEEEENSG_9not_fun_tINSD_8identityEEEEENSD_19counting_iterator_tIlEES8_S8_S8_S8_S8_S8_S8_S8_EEEEPS9_S9_NSD_9__find_if7functorIS9_EEEE10hipError_tPvRmT1_T2_T3_mT4_P12ihipStream_tbEUlT_E1_NS1_11comp_targetILNS1_3genE0ELNS1_11target_archE4294967295ELNS1_3gpuE0ELNS1_3repE0EEENS1_30default_config_static_selectorELNS0_4arch9wavefront6targetE1EEEvS14_,"axG",@progbits,_ZN7rocprim17ROCPRIM_400000_NS6detail17trampoline_kernelINS0_14default_configENS1_22reduce_config_selectorIN6thrust23THRUST_200600_302600_NS5tupleIblNS6_9null_typeES8_S8_S8_S8_S8_S8_S8_EEEEZNS1_11reduce_implILb1ES3_NS6_12zip_iteratorINS7_INS6_11hip_rocprim26transform_input_iterator_tIbNSD_35transform_pair_of_input_iterators_tIbNS6_6detail15normal_iteratorINS6_10device_ptrIKsEEEESL_NS6_8equal_toIsEEEENSG_9not_fun_tINSD_8identityEEEEENSD_19counting_iterator_tIlEES8_S8_S8_S8_S8_S8_S8_S8_EEEEPS9_S9_NSD_9__find_if7functorIS9_EEEE10hipError_tPvRmT1_T2_T3_mT4_P12ihipStream_tbEUlT_E1_NS1_11comp_targetILNS1_3genE0ELNS1_11target_archE4294967295ELNS1_3gpuE0ELNS1_3repE0EEENS1_30default_config_static_selectorELNS0_4arch9wavefront6targetE1EEEvS14_,comdat
	.protected	_ZN7rocprim17ROCPRIM_400000_NS6detail17trampoline_kernelINS0_14default_configENS1_22reduce_config_selectorIN6thrust23THRUST_200600_302600_NS5tupleIblNS6_9null_typeES8_S8_S8_S8_S8_S8_S8_EEEEZNS1_11reduce_implILb1ES3_NS6_12zip_iteratorINS7_INS6_11hip_rocprim26transform_input_iterator_tIbNSD_35transform_pair_of_input_iterators_tIbNS6_6detail15normal_iteratorINS6_10device_ptrIKsEEEESL_NS6_8equal_toIsEEEENSG_9not_fun_tINSD_8identityEEEEENSD_19counting_iterator_tIlEES8_S8_S8_S8_S8_S8_S8_S8_EEEEPS9_S9_NSD_9__find_if7functorIS9_EEEE10hipError_tPvRmT1_T2_T3_mT4_P12ihipStream_tbEUlT_E1_NS1_11comp_targetILNS1_3genE0ELNS1_11target_archE4294967295ELNS1_3gpuE0ELNS1_3repE0EEENS1_30default_config_static_selectorELNS0_4arch9wavefront6targetE1EEEvS14_ ; -- Begin function _ZN7rocprim17ROCPRIM_400000_NS6detail17trampoline_kernelINS0_14default_configENS1_22reduce_config_selectorIN6thrust23THRUST_200600_302600_NS5tupleIblNS6_9null_typeES8_S8_S8_S8_S8_S8_S8_EEEEZNS1_11reduce_implILb1ES3_NS6_12zip_iteratorINS7_INS6_11hip_rocprim26transform_input_iterator_tIbNSD_35transform_pair_of_input_iterators_tIbNS6_6detail15normal_iteratorINS6_10device_ptrIKsEEEESL_NS6_8equal_toIsEEEENSG_9not_fun_tINSD_8identityEEEEENSD_19counting_iterator_tIlEES8_S8_S8_S8_S8_S8_S8_S8_EEEEPS9_S9_NSD_9__find_if7functorIS9_EEEE10hipError_tPvRmT1_T2_T3_mT4_P12ihipStream_tbEUlT_E1_NS1_11comp_targetILNS1_3genE0ELNS1_11target_archE4294967295ELNS1_3gpuE0ELNS1_3repE0EEENS1_30default_config_static_selectorELNS0_4arch9wavefront6targetE1EEEvS14_
	.globl	_ZN7rocprim17ROCPRIM_400000_NS6detail17trampoline_kernelINS0_14default_configENS1_22reduce_config_selectorIN6thrust23THRUST_200600_302600_NS5tupleIblNS6_9null_typeES8_S8_S8_S8_S8_S8_S8_EEEEZNS1_11reduce_implILb1ES3_NS6_12zip_iteratorINS7_INS6_11hip_rocprim26transform_input_iterator_tIbNSD_35transform_pair_of_input_iterators_tIbNS6_6detail15normal_iteratorINS6_10device_ptrIKsEEEESL_NS6_8equal_toIsEEEENSG_9not_fun_tINSD_8identityEEEEENSD_19counting_iterator_tIlEES8_S8_S8_S8_S8_S8_S8_S8_EEEEPS9_S9_NSD_9__find_if7functorIS9_EEEE10hipError_tPvRmT1_T2_T3_mT4_P12ihipStream_tbEUlT_E1_NS1_11comp_targetILNS1_3genE0ELNS1_11target_archE4294967295ELNS1_3gpuE0ELNS1_3repE0EEENS1_30default_config_static_selectorELNS0_4arch9wavefront6targetE1EEEvS14_
	.p2align	8
	.type	_ZN7rocprim17ROCPRIM_400000_NS6detail17trampoline_kernelINS0_14default_configENS1_22reduce_config_selectorIN6thrust23THRUST_200600_302600_NS5tupleIblNS6_9null_typeES8_S8_S8_S8_S8_S8_S8_EEEEZNS1_11reduce_implILb1ES3_NS6_12zip_iteratorINS7_INS6_11hip_rocprim26transform_input_iterator_tIbNSD_35transform_pair_of_input_iterators_tIbNS6_6detail15normal_iteratorINS6_10device_ptrIKsEEEESL_NS6_8equal_toIsEEEENSG_9not_fun_tINSD_8identityEEEEENSD_19counting_iterator_tIlEES8_S8_S8_S8_S8_S8_S8_S8_EEEEPS9_S9_NSD_9__find_if7functorIS9_EEEE10hipError_tPvRmT1_T2_T3_mT4_P12ihipStream_tbEUlT_E1_NS1_11comp_targetILNS1_3genE0ELNS1_11target_archE4294967295ELNS1_3gpuE0ELNS1_3repE0EEENS1_30default_config_static_selectorELNS0_4arch9wavefront6targetE1EEEvS14_,@function
_ZN7rocprim17ROCPRIM_400000_NS6detail17trampoline_kernelINS0_14default_configENS1_22reduce_config_selectorIN6thrust23THRUST_200600_302600_NS5tupleIblNS6_9null_typeES8_S8_S8_S8_S8_S8_S8_EEEEZNS1_11reduce_implILb1ES3_NS6_12zip_iteratorINS7_INS6_11hip_rocprim26transform_input_iterator_tIbNSD_35transform_pair_of_input_iterators_tIbNS6_6detail15normal_iteratorINS6_10device_ptrIKsEEEESL_NS6_8equal_toIsEEEENSG_9not_fun_tINSD_8identityEEEEENSD_19counting_iterator_tIlEES8_S8_S8_S8_S8_S8_S8_S8_EEEEPS9_S9_NSD_9__find_if7functorIS9_EEEE10hipError_tPvRmT1_T2_T3_mT4_P12ihipStream_tbEUlT_E1_NS1_11comp_targetILNS1_3genE0ELNS1_11target_archE4294967295ELNS1_3gpuE0ELNS1_3repE0EEENS1_30default_config_static_selectorELNS0_4arch9wavefront6targetE1EEEvS14_: ; @_ZN7rocprim17ROCPRIM_400000_NS6detail17trampoline_kernelINS0_14default_configENS1_22reduce_config_selectorIN6thrust23THRUST_200600_302600_NS5tupleIblNS6_9null_typeES8_S8_S8_S8_S8_S8_S8_EEEEZNS1_11reduce_implILb1ES3_NS6_12zip_iteratorINS7_INS6_11hip_rocprim26transform_input_iterator_tIbNSD_35transform_pair_of_input_iterators_tIbNS6_6detail15normal_iteratorINS6_10device_ptrIKsEEEESL_NS6_8equal_toIsEEEENSG_9not_fun_tINSD_8identityEEEEENSD_19counting_iterator_tIlEES8_S8_S8_S8_S8_S8_S8_S8_EEEEPS9_S9_NSD_9__find_if7functorIS9_EEEE10hipError_tPvRmT1_T2_T3_mT4_P12ihipStream_tbEUlT_E1_NS1_11comp_targetILNS1_3genE0ELNS1_11target_archE4294967295ELNS1_3gpuE0ELNS1_3repE0EEENS1_30default_config_static_selectorELNS0_4arch9wavefront6targetE1EEEvS14_
; %bb.0:
	.section	.rodata,"a",@progbits
	.p2align	6, 0x0
	.amdhsa_kernel _ZN7rocprim17ROCPRIM_400000_NS6detail17trampoline_kernelINS0_14default_configENS1_22reduce_config_selectorIN6thrust23THRUST_200600_302600_NS5tupleIblNS6_9null_typeES8_S8_S8_S8_S8_S8_S8_EEEEZNS1_11reduce_implILb1ES3_NS6_12zip_iteratorINS7_INS6_11hip_rocprim26transform_input_iterator_tIbNSD_35transform_pair_of_input_iterators_tIbNS6_6detail15normal_iteratorINS6_10device_ptrIKsEEEESL_NS6_8equal_toIsEEEENSG_9not_fun_tINSD_8identityEEEEENSD_19counting_iterator_tIlEES8_S8_S8_S8_S8_S8_S8_S8_EEEEPS9_S9_NSD_9__find_if7functorIS9_EEEE10hipError_tPvRmT1_T2_T3_mT4_P12ihipStream_tbEUlT_E1_NS1_11comp_targetILNS1_3genE0ELNS1_11target_archE4294967295ELNS1_3gpuE0ELNS1_3repE0EEENS1_30default_config_static_selectorELNS0_4arch9wavefront6targetE1EEEvS14_
		.amdhsa_group_segment_fixed_size 0
		.amdhsa_private_segment_fixed_size 0
		.amdhsa_kernarg_size 88
		.amdhsa_user_sgpr_count 6
		.amdhsa_user_sgpr_private_segment_buffer 1
		.amdhsa_user_sgpr_dispatch_ptr 0
		.amdhsa_user_sgpr_queue_ptr 0
		.amdhsa_user_sgpr_kernarg_segment_ptr 1
		.amdhsa_user_sgpr_dispatch_id 0
		.amdhsa_user_sgpr_flat_scratch_init 0
		.amdhsa_user_sgpr_kernarg_preload_length 0
		.amdhsa_user_sgpr_kernarg_preload_offset 0
		.amdhsa_user_sgpr_private_segment_size 0
		.amdhsa_uses_dynamic_stack 0
		.amdhsa_system_sgpr_private_segment_wavefront_offset 0
		.amdhsa_system_sgpr_workgroup_id_x 1
		.amdhsa_system_sgpr_workgroup_id_y 0
		.amdhsa_system_sgpr_workgroup_id_z 0
		.amdhsa_system_sgpr_workgroup_info 0
		.amdhsa_system_vgpr_workitem_id 0
		.amdhsa_next_free_vgpr 1
		.amdhsa_next_free_sgpr 0
		.amdhsa_accum_offset 4
		.amdhsa_reserve_vcc 0
		.amdhsa_reserve_flat_scratch 0
		.amdhsa_float_round_mode_32 0
		.amdhsa_float_round_mode_16_64 0
		.amdhsa_float_denorm_mode_32 3
		.amdhsa_float_denorm_mode_16_64 3
		.amdhsa_dx10_clamp 1
		.amdhsa_ieee_mode 1
		.amdhsa_fp16_overflow 0
		.amdhsa_tg_split 0
		.amdhsa_exception_fp_ieee_invalid_op 0
		.amdhsa_exception_fp_denorm_src 0
		.amdhsa_exception_fp_ieee_div_zero 0
		.amdhsa_exception_fp_ieee_overflow 0
		.amdhsa_exception_fp_ieee_underflow 0
		.amdhsa_exception_fp_ieee_inexact 0
		.amdhsa_exception_int_div_zero 0
	.end_amdhsa_kernel
	.section	.text._ZN7rocprim17ROCPRIM_400000_NS6detail17trampoline_kernelINS0_14default_configENS1_22reduce_config_selectorIN6thrust23THRUST_200600_302600_NS5tupleIblNS6_9null_typeES8_S8_S8_S8_S8_S8_S8_EEEEZNS1_11reduce_implILb1ES3_NS6_12zip_iteratorINS7_INS6_11hip_rocprim26transform_input_iterator_tIbNSD_35transform_pair_of_input_iterators_tIbNS6_6detail15normal_iteratorINS6_10device_ptrIKsEEEESL_NS6_8equal_toIsEEEENSG_9not_fun_tINSD_8identityEEEEENSD_19counting_iterator_tIlEES8_S8_S8_S8_S8_S8_S8_S8_EEEEPS9_S9_NSD_9__find_if7functorIS9_EEEE10hipError_tPvRmT1_T2_T3_mT4_P12ihipStream_tbEUlT_E1_NS1_11comp_targetILNS1_3genE0ELNS1_11target_archE4294967295ELNS1_3gpuE0ELNS1_3repE0EEENS1_30default_config_static_selectorELNS0_4arch9wavefront6targetE1EEEvS14_,"axG",@progbits,_ZN7rocprim17ROCPRIM_400000_NS6detail17trampoline_kernelINS0_14default_configENS1_22reduce_config_selectorIN6thrust23THRUST_200600_302600_NS5tupleIblNS6_9null_typeES8_S8_S8_S8_S8_S8_S8_EEEEZNS1_11reduce_implILb1ES3_NS6_12zip_iteratorINS7_INS6_11hip_rocprim26transform_input_iterator_tIbNSD_35transform_pair_of_input_iterators_tIbNS6_6detail15normal_iteratorINS6_10device_ptrIKsEEEESL_NS6_8equal_toIsEEEENSG_9not_fun_tINSD_8identityEEEEENSD_19counting_iterator_tIlEES8_S8_S8_S8_S8_S8_S8_S8_EEEEPS9_S9_NSD_9__find_if7functorIS9_EEEE10hipError_tPvRmT1_T2_T3_mT4_P12ihipStream_tbEUlT_E1_NS1_11comp_targetILNS1_3genE0ELNS1_11target_archE4294967295ELNS1_3gpuE0ELNS1_3repE0EEENS1_30default_config_static_selectorELNS0_4arch9wavefront6targetE1EEEvS14_,comdat
.Lfunc_end307:
	.size	_ZN7rocprim17ROCPRIM_400000_NS6detail17trampoline_kernelINS0_14default_configENS1_22reduce_config_selectorIN6thrust23THRUST_200600_302600_NS5tupleIblNS6_9null_typeES8_S8_S8_S8_S8_S8_S8_EEEEZNS1_11reduce_implILb1ES3_NS6_12zip_iteratorINS7_INS6_11hip_rocprim26transform_input_iterator_tIbNSD_35transform_pair_of_input_iterators_tIbNS6_6detail15normal_iteratorINS6_10device_ptrIKsEEEESL_NS6_8equal_toIsEEEENSG_9not_fun_tINSD_8identityEEEEENSD_19counting_iterator_tIlEES8_S8_S8_S8_S8_S8_S8_S8_EEEEPS9_S9_NSD_9__find_if7functorIS9_EEEE10hipError_tPvRmT1_T2_T3_mT4_P12ihipStream_tbEUlT_E1_NS1_11comp_targetILNS1_3genE0ELNS1_11target_archE4294967295ELNS1_3gpuE0ELNS1_3repE0EEENS1_30default_config_static_selectorELNS0_4arch9wavefront6targetE1EEEvS14_, .Lfunc_end307-_ZN7rocprim17ROCPRIM_400000_NS6detail17trampoline_kernelINS0_14default_configENS1_22reduce_config_selectorIN6thrust23THRUST_200600_302600_NS5tupleIblNS6_9null_typeES8_S8_S8_S8_S8_S8_S8_EEEEZNS1_11reduce_implILb1ES3_NS6_12zip_iteratorINS7_INS6_11hip_rocprim26transform_input_iterator_tIbNSD_35transform_pair_of_input_iterators_tIbNS6_6detail15normal_iteratorINS6_10device_ptrIKsEEEESL_NS6_8equal_toIsEEEENSG_9not_fun_tINSD_8identityEEEEENSD_19counting_iterator_tIlEES8_S8_S8_S8_S8_S8_S8_S8_EEEEPS9_S9_NSD_9__find_if7functorIS9_EEEE10hipError_tPvRmT1_T2_T3_mT4_P12ihipStream_tbEUlT_E1_NS1_11comp_targetILNS1_3genE0ELNS1_11target_archE4294967295ELNS1_3gpuE0ELNS1_3repE0EEENS1_30default_config_static_selectorELNS0_4arch9wavefront6targetE1EEEvS14_
                                        ; -- End function
	.section	.AMDGPU.csdata,"",@progbits
; Kernel info:
; codeLenInByte = 0
; NumSgprs: 4
; NumVgprs: 0
; NumAgprs: 0
; TotalNumVgprs: 0
; ScratchSize: 0
; MemoryBound: 0
; FloatMode: 240
; IeeeMode: 1
; LDSByteSize: 0 bytes/workgroup (compile time only)
; SGPRBlocks: 0
; VGPRBlocks: 0
; NumSGPRsForWavesPerEU: 4
; NumVGPRsForWavesPerEU: 1
; AccumOffset: 4
; Occupancy: 8
; WaveLimiterHint : 0
; COMPUTE_PGM_RSRC2:SCRATCH_EN: 0
; COMPUTE_PGM_RSRC2:USER_SGPR: 6
; COMPUTE_PGM_RSRC2:TRAP_HANDLER: 0
; COMPUTE_PGM_RSRC2:TGID_X_EN: 1
; COMPUTE_PGM_RSRC2:TGID_Y_EN: 0
; COMPUTE_PGM_RSRC2:TGID_Z_EN: 0
; COMPUTE_PGM_RSRC2:TIDIG_COMP_CNT: 0
; COMPUTE_PGM_RSRC3_GFX90A:ACCUM_OFFSET: 0
; COMPUTE_PGM_RSRC3_GFX90A:TG_SPLIT: 0
	.section	.text._ZN7rocprim17ROCPRIM_400000_NS6detail17trampoline_kernelINS0_14default_configENS1_22reduce_config_selectorIN6thrust23THRUST_200600_302600_NS5tupleIblNS6_9null_typeES8_S8_S8_S8_S8_S8_S8_EEEEZNS1_11reduce_implILb1ES3_NS6_12zip_iteratorINS7_INS6_11hip_rocprim26transform_input_iterator_tIbNSD_35transform_pair_of_input_iterators_tIbNS6_6detail15normal_iteratorINS6_10device_ptrIKsEEEESL_NS6_8equal_toIsEEEENSG_9not_fun_tINSD_8identityEEEEENSD_19counting_iterator_tIlEES8_S8_S8_S8_S8_S8_S8_S8_EEEEPS9_S9_NSD_9__find_if7functorIS9_EEEE10hipError_tPvRmT1_T2_T3_mT4_P12ihipStream_tbEUlT_E1_NS1_11comp_targetILNS1_3genE5ELNS1_11target_archE942ELNS1_3gpuE9ELNS1_3repE0EEENS1_30default_config_static_selectorELNS0_4arch9wavefront6targetE1EEEvS14_,"axG",@progbits,_ZN7rocprim17ROCPRIM_400000_NS6detail17trampoline_kernelINS0_14default_configENS1_22reduce_config_selectorIN6thrust23THRUST_200600_302600_NS5tupleIblNS6_9null_typeES8_S8_S8_S8_S8_S8_S8_EEEEZNS1_11reduce_implILb1ES3_NS6_12zip_iteratorINS7_INS6_11hip_rocprim26transform_input_iterator_tIbNSD_35transform_pair_of_input_iterators_tIbNS6_6detail15normal_iteratorINS6_10device_ptrIKsEEEESL_NS6_8equal_toIsEEEENSG_9not_fun_tINSD_8identityEEEEENSD_19counting_iterator_tIlEES8_S8_S8_S8_S8_S8_S8_S8_EEEEPS9_S9_NSD_9__find_if7functorIS9_EEEE10hipError_tPvRmT1_T2_T3_mT4_P12ihipStream_tbEUlT_E1_NS1_11comp_targetILNS1_3genE5ELNS1_11target_archE942ELNS1_3gpuE9ELNS1_3repE0EEENS1_30default_config_static_selectorELNS0_4arch9wavefront6targetE1EEEvS14_,comdat
	.protected	_ZN7rocprim17ROCPRIM_400000_NS6detail17trampoline_kernelINS0_14default_configENS1_22reduce_config_selectorIN6thrust23THRUST_200600_302600_NS5tupleIblNS6_9null_typeES8_S8_S8_S8_S8_S8_S8_EEEEZNS1_11reduce_implILb1ES3_NS6_12zip_iteratorINS7_INS6_11hip_rocprim26transform_input_iterator_tIbNSD_35transform_pair_of_input_iterators_tIbNS6_6detail15normal_iteratorINS6_10device_ptrIKsEEEESL_NS6_8equal_toIsEEEENSG_9not_fun_tINSD_8identityEEEEENSD_19counting_iterator_tIlEES8_S8_S8_S8_S8_S8_S8_S8_EEEEPS9_S9_NSD_9__find_if7functorIS9_EEEE10hipError_tPvRmT1_T2_T3_mT4_P12ihipStream_tbEUlT_E1_NS1_11comp_targetILNS1_3genE5ELNS1_11target_archE942ELNS1_3gpuE9ELNS1_3repE0EEENS1_30default_config_static_selectorELNS0_4arch9wavefront6targetE1EEEvS14_ ; -- Begin function _ZN7rocprim17ROCPRIM_400000_NS6detail17trampoline_kernelINS0_14default_configENS1_22reduce_config_selectorIN6thrust23THRUST_200600_302600_NS5tupleIblNS6_9null_typeES8_S8_S8_S8_S8_S8_S8_EEEEZNS1_11reduce_implILb1ES3_NS6_12zip_iteratorINS7_INS6_11hip_rocprim26transform_input_iterator_tIbNSD_35transform_pair_of_input_iterators_tIbNS6_6detail15normal_iteratorINS6_10device_ptrIKsEEEESL_NS6_8equal_toIsEEEENSG_9not_fun_tINSD_8identityEEEEENSD_19counting_iterator_tIlEES8_S8_S8_S8_S8_S8_S8_S8_EEEEPS9_S9_NSD_9__find_if7functorIS9_EEEE10hipError_tPvRmT1_T2_T3_mT4_P12ihipStream_tbEUlT_E1_NS1_11comp_targetILNS1_3genE5ELNS1_11target_archE942ELNS1_3gpuE9ELNS1_3repE0EEENS1_30default_config_static_selectorELNS0_4arch9wavefront6targetE1EEEvS14_
	.globl	_ZN7rocprim17ROCPRIM_400000_NS6detail17trampoline_kernelINS0_14default_configENS1_22reduce_config_selectorIN6thrust23THRUST_200600_302600_NS5tupleIblNS6_9null_typeES8_S8_S8_S8_S8_S8_S8_EEEEZNS1_11reduce_implILb1ES3_NS6_12zip_iteratorINS7_INS6_11hip_rocprim26transform_input_iterator_tIbNSD_35transform_pair_of_input_iterators_tIbNS6_6detail15normal_iteratorINS6_10device_ptrIKsEEEESL_NS6_8equal_toIsEEEENSG_9not_fun_tINSD_8identityEEEEENSD_19counting_iterator_tIlEES8_S8_S8_S8_S8_S8_S8_S8_EEEEPS9_S9_NSD_9__find_if7functorIS9_EEEE10hipError_tPvRmT1_T2_T3_mT4_P12ihipStream_tbEUlT_E1_NS1_11comp_targetILNS1_3genE5ELNS1_11target_archE942ELNS1_3gpuE9ELNS1_3repE0EEENS1_30default_config_static_selectorELNS0_4arch9wavefront6targetE1EEEvS14_
	.p2align	8
	.type	_ZN7rocprim17ROCPRIM_400000_NS6detail17trampoline_kernelINS0_14default_configENS1_22reduce_config_selectorIN6thrust23THRUST_200600_302600_NS5tupleIblNS6_9null_typeES8_S8_S8_S8_S8_S8_S8_EEEEZNS1_11reduce_implILb1ES3_NS6_12zip_iteratorINS7_INS6_11hip_rocprim26transform_input_iterator_tIbNSD_35transform_pair_of_input_iterators_tIbNS6_6detail15normal_iteratorINS6_10device_ptrIKsEEEESL_NS6_8equal_toIsEEEENSG_9not_fun_tINSD_8identityEEEEENSD_19counting_iterator_tIlEES8_S8_S8_S8_S8_S8_S8_S8_EEEEPS9_S9_NSD_9__find_if7functorIS9_EEEE10hipError_tPvRmT1_T2_T3_mT4_P12ihipStream_tbEUlT_E1_NS1_11comp_targetILNS1_3genE5ELNS1_11target_archE942ELNS1_3gpuE9ELNS1_3repE0EEENS1_30default_config_static_selectorELNS0_4arch9wavefront6targetE1EEEvS14_,@function
_ZN7rocprim17ROCPRIM_400000_NS6detail17trampoline_kernelINS0_14default_configENS1_22reduce_config_selectorIN6thrust23THRUST_200600_302600_NS5tupleIblNS6_9null_typeES8_S8_S8_S8_S8_S8_S8_EEEEZNS1_11reduce_implILb1ES3_NS6_12zip_iteratorINS7_INS6_11hip_rocprim26transform_input_iterator_tIbNSD_35transform_pair_of_input_iterators_tIbNS6_6detail15normal_iteratorINS6_10device_ptrIKsEEEESL_NS6_8equal_toIsEEEENSG_9not_fun_tINSD_8identityEEEEENSD_19counting_iterator_tIlEES8_S8_S8_S8_S8_S8_S8_S8_EEEEPS9_S9_NSD_9__find_if7functorIS9_EEEE10hipError_tPvRmT1_T2_T3_mT4_P12ihipStream_tbEUlT_E1_NS1_11comp_targetILNS1_3genE5ELNS1_11target_archE942ELNS1_3gpuE9ELNS1_3repE0EEENS1_30default_config_static_selectorELNS0_4arch9wavefront6targetE1EEEvS14_: ; @_ZN7rocprim17ROCPRIM_400000_NS6detail17trampoline_kernelINS0_14default_configENS1_22reduce_config_selectorIN6thrust23THRUST_200600_302600_NS5tupleIblNS6_9null_typeES8_S8_S8_S8_S8_S8_S8_EEEEZNS1_11reduce_implILb1ES3_NS6_12zip_iteratorINS7_INS6_11hip_rocprim26transform_input_iterator_tIbNSD_35transform_pair_of_input_iterators_tIbNS6_6detail15normal_iteratorINS6_10device_ptrIKsEEEESL_NS6_8equal_toIsEEEENSG_9not_fun_tINSD_8identityEEEEENSD_19counting_iterator_tIlEES8_S8_S8_S8_S8_S8_S8_S8_EEEEPS9_S9_NSD_9__find_if7functorIS9_EEEE10hipError_tPvRmT1_T2_T3_mT4_P12ihipStream_tbEUlT_E1_NS1_11comp_targetILNS1_3genE5ELNS1_11target_archE942ELNS1_3gpuE9ELNS1_3repE0EEENS1_30default_config_static_selectorELNS0_4arch9wavefront6targetE1EEEvS14_
; %bb.0:
	.section	.rodata,"a",@progbits
	.p2align	6, 0x0
	.amdhsa_kernel _ZN7rocprim17ROCPRIM_400000_NS6detail17trampoline_kernelINS0_14default_configENS1_22reduce_config_selectorIN6thrust23THRUST_200600_302600_NS5tupleIblNS6_9null_typeES8_S8_S8_S8_S8_S8_S8_EEEEZNS1_11reduce_implILb1ES3_NS6_12zip_iteratorINS7_INS6_11hip_rocprim26transform_input_iterator_tIbNSD_35transform_pair_of_input_iterators_tIbNS6_6detail15normal_iteratorINS6_10device_ptrIKsEEEESL_NS6_8equal_toIsEEEENSG_9not_fun_tINSD_8identityEEEEENSD_19counting_iterator_tIlEES8_S8_S8_S8_S8_S8_S8_S8_EEEEPS9_S9_NSD_9__find_if7functorIS9_EEEE10hipError_tPvRmT1_T2_T3_mT4_P12ihipStream_tbEUlT_E1_NS1_11comp_targetILNS1_3genE5ELNS1_11target_archE942ELNS1_3gpuE9ELNS1_3repE0EEENS1_30default_config_static_selectorELNS0_4arch9wavefront6targetE1EEEvS14_
		.amdhsa_group_segment_fixed_size 0
		.amdhsa_private_segment_fixed_size 0
		.amdhsa_kernarg_size 88
		.amdhsa_user_sgpr_count 6
		.amdhsa_user_sgpr_private_segment_buffer 1
		.amdhsa_user_sgpr_dispatch_ptr 0
		.amdhsa_user_sgpr_queue_ptr 0
		.amdhsa_user_sgpr_kernarg_segment_ptr 1
		.amdhsa_user_sgpr_dispatch_id 0
		.amdhsa_user_sgpr_flat_scratch_init 0
		.amdhsa_user_sgpr_kernarg_preload_length 0
		.amdhsa_user_sgpr_kernarg_preload_offset 0
		.amdhsa_user_sgpr_private_segment_size 0
		.amdhsa_uses_dynamic_stack 0
		.amdhsa_system_sgpr_private_segment_wavefront_offset 0
		.amdhsa_system_sgpr_workgroup_id_x 1
		.amdhsa_system_sgpr_workgroup_id_y 0
		.amdhsa_system_sgpr_workgroup_id_z 0
		.amdhsa_system_sgpr_workgroup_info 0
		.amdhsa_system_vgpr_workitem_id 0
		.amdhsa_next_free_vgpr 1
		.amdhsa_next_free_sgpr 0
		.amdhsa_accum_offset 4
		.amdhsa_reserve_vcc 0
		.amdhsa_reserve_flat_scratch 0
		.amdhsa_float_round_mode_32 0
		.amdhsa_float_round_mode_16_64 0
		.amdhsa_float_denorm_mode_32 3
		.amdhsa_float_denorm_mode_16_64 3
		.amdhsa_dx10_clamp 1
		.amdhsa_ieee_mode 1
		.amdhsa_fp16_overflow 0
		.amdhsa_tg_split 0
		.amdhsa_exception_fp_ieee_invalid_op 0
		.amdhsa_exception_fp_denorm_src 0
		.amdhsa_exception_fp_ieee_div_zero 0
		.amdhsa_exception_fp_ieee_overflow 0
		.amdhsa_exception_fp_ieee_underflow 0
		.amdhsa_exception_fp_ieee_inexact 0
		.amdhsa_exception_int_div_zero 0
	.end_amdhsa_kernel
	.section	.text._ZN7rocprim17ROCPRIM_400000_NS6detail17trampoline_kernelINS0_14default_configENS1_22reduce_config_selectorIN6thrust23THRUST_200600_302600_NS5tupleIblNS6_9null_typeES8_S8_S8_S8_S8_S8_S8_EEEEZNS1_11reduce_implILb1ES3_NS6_12zip_iteratorINS7_INS6_11hip_rocprim26transform_input_iterator_tIbNSD_35transform_pair_of_input_iterators_tIbNS6_6detail15normal_iteratorINS6_10device_ptrIKsEEEESL_NS6_8equal_toIsEEEENSG_9not_fun_tINSD_8identityEEEEENSD_19counting_iterator_tIlEES8_S8_S8_S8_S8_S8_S8_S8_EEEEPS9_S9_NSD_9__find_if7functorIS9_EEEE10hipError_tPvRmT1_T2_T3_mT4_P12ihipStream_tbEUlT_E1_NS1_11comp_targetILNS1_3genE5ELNS1_11target_archE942ELNS1_3gpuE9ELNS1_3repE0EEENS1_30default_config_static_selectorELNS0_4arch9wavefront6targetE1EEEvS14_,"axG",@progbits,_ZN7rocprim17ROCPRIM_400000_NS6detail17trampoline_kernelINS0_14default_configENS1_22reduce_config_selectorIN6thrust23THRUST_200600_302600_NS5tupleIblNS6_9null_typeES8_S8_S8_S8_S8_S8_S8_EEEEZNS1_11reduce_implILb1ES3_NS6_12zip_iteratorINS7_INS6_11hip_rocprim26transform_input_iterator_tIbNSD_35transform_pair_of_input_iterators_tIbNS6_6detail15normal_iteratorINS6_10device_ptrIKsEEEESL_NS6_8equal_toIsEEEENSG_9not_fun_tINSD_8identityEEEEENSD_19counting_iterator_tIlEES8_S8_S8_S8_S8_S8_S8_S8_EEEEPS9_S9_NSD_9__find_if7functorIS9_EEEE10hipError_tPvRmT1_T2_T3_mT4_P12ihipStream_tbEUlT_E1_NS1_11comp_targetILNS1_3genE5ELNS1_11target_archE942ELNS1_3gpuE9ELNS1_3repE0EEENS1_30default_config_static_selectorELNS0_4arch9wavefront6targetE1EEEvS14_,comdat
.Lfunc_end308:
	.size	_ZN7rocprim17ROCPRIM_400000_NS6detail17trampoline_kernelINS0_14default_configENS1_22reduce_config_selectorIN6thrust23THRUST_200600_302600_NS5tupleIblNS6_9null_typeES8_S8_S8_S8_S8_S8_S8_EEEEZNS1_11reduce_implILb1ES3_NS6_12zip_iteratorINS7_INS6_11hip_rocprim26transform_input_iterator_tIbNSD_35transform_pair_of_input_iterators_tIbNS6_6detail15normal_iteratorINS6_10device_ptrIKsEEEESL_NS6_8equal_toIsEEEENSG_9not_fun_tINSD_8identityEEEEENSD_19counting_iterator_tIlEES8_S8_S8_S8_S8_S8_S8_S8_EEEEPS9_S9_NSD_9__find_if7functorIS9_EEEE10hipError_tPvRmT1_T2_T3_mT4_P12ihipStream_tbEUlT_E1_NS1_11comp_targetILNS1_3genE5ELNS1_11target_archE942ELNS1_3gpuE9ELNS1_3repE0EEENS1_30default_config_static_selectorELNS0_4arch9wavefront6targetE1EEEvS14_, .Lfunc_end308-_ZN7rocprim17ROCPRIM_400000_NS6detail17trampoline_kernelINS0_14default_configENS1_22reduce_config_selectorIN6thrust23THRUST_200600_302600_NS5tupleIblNS6_9null_typeES8_S8_S8_S8_S8_S8_S8_EEEEZNS1_11reduce_implILb1ES3_NS6_12zip_iteratorINS7_INS6_11hip_rocprim26transform_input_iterator_tIbNSD_35transform_pair_of_input_iterators_tIbNS6_6detail15normal_iteratorINS6_10device_ptrIKsEEEESL_NS6_8equal_toIsEEEENSG_9not_fun_tINSD_8identityEEEEENSD_19counting_iterator_tIlEES8_S8_S8_S8_S8_S8_S8_S8_EEEEPS9_S9_NSD_9__find_if7functorIS9_EEEE10hipError_tPvRmT1_T2_T3_mT4_P12ihipStream_tbEUlT_E1_NS1_11comp_targetILNS1_3genE5ELNS1_11target_archE942ELNS1_3gpuE9ELNS1_3repE0EEENS1_30default_config_static_selectorELNS0_4arch9wavefront6targetE1EEEvS14_
                                        ; -- End function
	.section	.AMDGPU.csdata,"",@progbits
; Kernel info:
; codeLenInByte = 0
; NumSgprs: 4
; NumVgprs: 0
; NumAgprs: 0
; TotalNumVgprs: 0
; ScratchSize: 0
; MemoryBound: 0
; FloatMode: 240
; IeeeMode: 1
; LDSByteSize: 0 bytes/workgroup (compile time only)
; SGPRBlocks: 0
; VGPRBlocks: 0
; NumSGPRsForWavesPerEU: 4
; NumVGPRsForWavesPerEU: 1
; AccumOffset: 4
; Occupancy: 8
; WaveLimiterHint : 0
; COMPUTE_PGM_RSRC2:SCRATCH_EN: 0
; COMPUTE_PGM_RSRC2:USER_SGPR: 6
; COMPUTE_PGM_RSRC2:TRAP_HANDLER: 0
; COMPUTE_PGM_RSRC2:TGID_X_EN: 1
; COMPUTE_PGM_RSRC2:TGID_Y_EN: 0
; COMPUTE_PGM_RSRC2:TGID_Z_EN: 0
; COMPUTE_PGM_RSRC2:TIDIG_COMP_CNT: 0
; COMPUTE_PGM_RSRC3_GFX90A:ACCUM_OFFSET: 0
; COMPUTE_PGM_RSRC3_GFX90A:TG_SPLIT: 0
	.section	.text._ZN7rocprim17ROCPRIM_400000_NS6detail17trampoline_kernelINS0_14default_configENS1_22reduce_config_selectorIN6thrust23THRUST_200600_302600_NS5tupleIblNS6_9null_typeES8_S8_S8_S8_S8_S8_S8_EEEEZNS1_11reduce_implILb1ES3_NS6_12zip_iteratorINS7_INS6_11hip_rocprim26transform_input_iterator_tIbNSD_35transform_pair_of_input_iterators_tIbNS6_6detail15normal_iteratorINS6_10device_ptrIKsEEEESL_NS6_8equal_toIsEEEENSG_9not_fun_tINSD_8identityEEEEENSD_19counting_iterator_tIlEES8_S8_S8_S8_S8_S8_S8_S8_EEEEPS9_S9_NSD_9__find_if7functorIS9_EEEE10hipError_tPvRmT1_T2_T3_mT4_P12ihipStream_tbEUlT_E1_NS1_11comp_targetILNS1_3genE4ELNS1_11target_archE910ELNS1_3gpuE8ELNS1_3repE0EEENS1_30default_config_static_selectorELNS0_4arch9wavefront6targetE1EEEvS14_,"axG",@progbits,_ZN7rocprim17ROCPRIM_400000_NS6detail17trampoline_kernelINS0_14default_configENS1_22reduce_config_selectorIN6thrust23THRUST_200600_302600_NS5tupleIblNS6_9null_typeES8_S8_S8_S8_S8_S8_S8_EEEEZNS1_11reduce_implILb1ES3_NS6_12zip_iteratorINS7_INS6_11hip_rocprim26transform_input_iterator_tIbNSD_35transform_pair_of_input_iterators_tIbNS6_6detail15normal_iteratorINS6_10device_ptrIKsEEEESL_NS6_8equal_toIsEEEENSG_9not_fun_tINSD_8identityEEEEENSD_19counting_iterator_tIlEES8_S8_S8_S8_S8_S8_S8_S8_EEEEPS9_S9_NSD_9__find_if7functorIS9_EEEE10hipError_tPvRmT1_T2_T3_mT4_P12ihipStream_tbEUlT_E1_NS1_11comp_targetILNS1_3genE4ELNS1_11target_archE910ELNS1_3gpuE8ELNS1_3repE0EEENS1_30default_config_static_selectorELNS0_4arch9wavefront6targetE1EEEvS14_,comdat
	.protected	_ZN7rocprim17ROCPRIM_400000_NS6detail17trampoline_kernelINS0_14default_configENS1_22reduce_config_selectorIN6thrust23THRUST_200600_302600_NS5tupleIblNS6_9null_typeES8_S8_S8_S8_S8_S8_S8_EEEEZNS1_11reduce_implILb1ES3_NS6_12zip_iteratorINS7_INS6_11hip_rocprim26transform_input_iterator_tIbNSD_35transform_pair_of_input_iterators_tIbNS6_6detail15normal_iteratorINS6_10device_ptrIKsEEEESL_NS6_8equal_toIsEEEENSG_9not_fun_tINSD_8identityEEEEENSD_19counting_iterator_tIlEES8_S8_S8_S8_S8_S8_S8_S8_EEEEPS9_S9_NSD_9__find_if7functorIS9_EEEE10hipError_tPvRmT1_T2_T3_mT4_P12ihipStream_tbEUlT_E1_NS1_11comp_targetILNS1_3genE4ELNS1_11target_archE910ELNS1_3gpuE8ELNS1_3repE0EEENS1_30default_config_static_selectorELNS0_4arch9wavefront6targetE1EEEvS14_ ; -- Begin function _ZN7rocprim17ROCPRIM_400000_NS6detail17trampoline_kernelINS0_14default_configENS1_22reduce_config_selectorIN6thrust23THRUST_200600_302600_NS5tupleIblNS6_9null_typeES8_S8_S8_S8_S8_S8_S8_EEEEZNS1_11reduce_implILb1ES3_NS6_12zip_iteratorINS7_INS6_11hip_rocprim26transform_input_iterator_tIbNSD_35transform_pair_of_input_iterators_tIbNS6_6detail15normal_iteratorINS6_10device_ptrIKsEEEESL_NS6_8equal_toIsEEEENSG_9not_fun_tINSD_8identityEEEEENSD_19counting_iterator_tIlEES8_S8_S8_S8_S8_S8_S8_S8_EEEEPS9_S9_NSD_9__find_if7functorIS9_EEEE10hipError_tPvRmT1_T2_T3_mT4_P12ihipStream_tbEUlT_E1_NS1_11comp_targetILNS1_3genE4ELNS1_11target_archE910ELNS1_3gpuE8ELNS1_3repE0EEENS1_30default_config_static_selectorELNS0_4arch9wavefront6targetE1EEEvS14_
	.globl	_ZN7rocprim17ROCPRIM_400000_NS6detail17trampoline_kernelINS0_14default_configENS1_22reduce_config_selectorIN6thrust23THRUST_200600_302600_NS5tupleIblNS6_9null_typeES8_S8_S8_S8_S8_S8_S8_EEEEZNS1_11reduce_implILb1ES3_NS6_12zip_iteratorINS7_INS6_11hip_rocprim26transform_input_iterator_tIbNSD_35transform_pair_of_input_iterators_tIbNS6_6detail15normal_iteratorINS6_10device_ptrIKsEEEESL_NS6_8equal_toIsEEEENSG_9not_fun_tINSD_8identityEEEEENSD_19counting_iterator_tIlEES8_S8_S8_S8_S8_S8_S8_S8_EEEEPS9_S9_NSD_9__find_if7functorIS9_EEEE10hipError_tPvRmT1_T2_T3_mT4_P12ihipStream_tbEUlT_E1_NS1_11comp_targetILNS1_3genE4ELNS1_11target_archE910ELNS1_3gpuE8ELNS1_3repE0EEENS1_30default_config_static_selectorELNS0_4arch9wavefront6targetE1EEEvS14_
	.p2align	8
	.type	_ZN7rocprim17ROCPRIM_400000_NS6detail17trampoline_kernelINS0_14default_configENS1_22reduce_config_selectorIN6thrust23THRUST_200600_302600_NS5tupleIblNS6_9null_typeES8_S8_S8_S8_S8_S8_S8_EEEEZNS1_11reduce_implILb1ES3_NS6_12zip_iteratorINS7_INS6_11hip_rocprim26transform_input_iterator_tIbNSD_35transform_pair_of_input_iterators_tIbNS6_6detail15normal_iteratorINS6_10device_ptrIKsEEEESL_NS6_8equal_toIsEEEENSG_9not_fun_tINSD_8identityEEEEENSD_19counting_iterator_tIlEES8_S8_S8_S8_S8_S8_S8_S8_EEEEPS9_S9_NSD_9__find_if7functorIS9_EEEE10hipError_tPvRmT1_T2_T3_mT4_P12ihipStream_tbEUlT_E1_NS1_11comp_targetILNS1_3genE4ELNS1_11target_archE910ELNS1_3gpuE8ELNS1_3repE0EEENS1_30default_config_static_selectorELNS0_4arch9wavefront6targetE1EEEvS14_,@function
_ZN7rocprim17ROCPRIM_400000_NS6detail17trampoline_kernelINS0_14default_configENS1_22reduce_config_selectorIN6thrust23THRUST_200600_302600_NS5tupleIblNS6_9null_typeES8_S8_S8_S8_S8_S8_S8_EEEEZNS1_11reduce_implILb1ES3_NS6_12zip_iteratorINS7_INS6_11hip_rocprim26transform_input_iterator_tIbNSD_35transform_pair_of_input_iterators_tIbNS6_6detail15normal_iteratorINS6_10device_ptrIKsEEEESL_NS6_8equal_toIsEEEENSG_9not_fun_tINSD_8identityEEEEENSD_19counting_iterator_tIlEES8_S8_S8_S8_S8_S8_S8_S8_EEEEPS9_S9_NSD_9__find_if7functorIS9_EEEE10hipError_tPvRmT1_T2_T3_mT4_P12ihipStream_tbEUlT_E1_NS1_11comp_targetILNS1_3genE4ELNS1_11target_archE910ELNS1_3gpuE8ELNS1_3repE0EEENS1_30default_config_static_selectorELNS0_4arch9wavefront6targetE1EEEvS14_: ; @_ZN7rocprim17ROCPRIM_400000_NS6detail17trampoline_kernelINS0_14default_configENS1_22reduce_config_selectorIN6thrust23THRUST_200600_302600_NS5tupleIblNS6_9null_typeES8_S8_S8_S8_S8_S8_S8_EEEEZNS1_11reduce_implILb1ES3_NS6_12zip_iteratorINS7_INS6_11hip_rocprim26transform_input_iterator_tIbNSD_35transform_pair_of_input_iterators_tIbNS6_6detail15normal_iteratorINS6_10device_ptrIKsEEEESL_NS6_8equal_toIsEEEENSG_9not_fun_tINSD_8identityEEEEENSD_19counting_iterator_tIlEES8_S8_S8_S8_S8_S8_S8_S8_EEEEPS9_S9_NSD_9__find_if7functorIS9_EEEE10hipError_tPvRmT1_T2_T3_mT4_P12ihipStream_tbEUlT_E1_NS1_11comp_targetILNS1_3genE4ELNS1_11target_archE910ELNS1_3gpuE8ELNS1_3repE0EEENS1_30default_config_static_selectorELNS0_4arch9wavefront6targetE1EEEvS14_
; %bb.0:
	s_load_dword s38, s[4:5], 0x4
	s_load_dwordx4 s[24:27], s[4:5], 0x8
	s_load_dwordx4 s[20:23], s[4:5], 0x28
	s_load_dword s33, s[4:5], 0x40
	s_load_dwordx2 s[18:19], s[4:5], 0x48
	s_waitcnt lgkmcnt(0)
	s_cmp_lt_i32 s38, 4
	s_cbranch_scc1 .LBB309_21
; %bb.1:
	s_cmp_gt_i32 s38, 7
	s_cbranch_scc0 .LBB309_22
; %bb.2:
	s_cmp_eq_u32 s38, 8
	s_mov_b64 s[28:29], 0
	s_cbranch_scc0 .LBB309_23
; %bb.3:
	s_mov_b32 s7, 0
	s_lshl_b32 s36, s6, 11
	s_mov_b32 s37, s7
	s_lshr_b64 s[0:1], s[22:23], 11
	s_lshl_b64 s[2:3], s[36:37], 1
	s_add_u32 s30, s24, s2
	s_addc_u32 s31, s25, s3
	s_add_u32 s34, s26, s2
	s_addc_u32 s35, s27, s3
	s_add_u32 s39, s20, s36
	s_addc_u32 s40, s21, 0
	s_cmp_lg_u64 s[0:1], s[6:7]
	s_cbranch_scc0 .LBB309_44
; %bb.4:
	v_lshlrev_b32_e32 v1, 1, v0
	global_load_ushort v2, v1, s[30:31] offset:512
	global_load_ushort v3, v1, s[30:31] offset:1024
	global_load_ushort v4, v1, s[34:35] offset:1024
	global_load_ushort v5, v1, s[30:31] offset:2048
	global_load_ushort v6, v1, s[34:35] offset:2048
	global_load_ushort v7, v1, s[30:31] offset:3072
	global_load_ushort v8, v1, s[30:31] offset:3584
	global_load_ushort v9, v1, s[34:35] offset:3072
	global_load_ushort v10, v1, s[34:35] offset:3584
	global_load_ushort v11, v1, s[34:35] offset:512
	global_load_ushort v12, v1, s[30:31] offset:1536
	global_load_ushort v13, v1, s[34:35] offset:1536
	global_load_ushort v14, v1, s[30:31] offset:2560
	global_load_ushort v15, v1, s[34:35] offset:2560
	global_load_ushort v16, v1, s[30:31]
	s_nop 0
	global_load_ushort v1, v1, s[34:35]
	v_mov_b32_e32 v17, s40
	v_add_co_u32_e32 v25, vcc, s39, v0
	v_mov_b32_e32 v18, 0x200
	v_mov_b32_e32 v19, 0x100
	v_addc_co_u32_e32 v17, vcc, 0, v17, vcc
	v_mov_b32_e32 v20, 0x400
	v_mov_b32_e32 v21, 0x300
	;; [unrolled: 1-line block ×5, first 2 shown]
	s_waitcnt vmcnt(13)
	v_cmp_ne_u16_e32 vcc, v3, v4
	s_waitcnt vmcnt(11)
	v_cmp_ne_u16_e64 s[0:1], v5, v6
	s_waitcnt vmcnt(8)
	v_cmp_ne_u16_e64 s[2:3], v7, v9
	s_waitcnt vmcnt(7)
	v_cmp_ne_u16_e64 s[8:9], v8, v10
	s_waitcnt vmcnt(6)
	v_cmp_ne_u16_e64 s[10:11], v2, v11
	v_cndmask_b32_e64 v2, v18, v19, s[10:11]
	s_waitcnt vmcnt(4)
	v_cmp_ne_u16_e64 s[12:13], v12, v13
	v_cndmask_b32_e64 v3, v20, v21, s[12:13]
	s_waitcnt vmcnt(2)
	v_cmp_ne_u16_e64 s[14:15], v14, v15
	v_cndmask_b32_e64 v4, v22, v23, s[14:15]
	s_waitcnt vmcnt(0)
	v_cmp_ne_u16_e64 s[16:17], v16, v1
	s_or_b64 s[10:11], s[16:17], s[10:11]
	s_or_b64 vcc, s[10:11], vcc
	v_cndmask_b32_e64 v1, v2, 0, s[16:17]
	s_or_b64 s[10:11], vcc, s[12:13]
	v_cndmask_b32_e32 v1, v3, v1, vcc
	s_or_b64 vcc, s[10:11], s[0:1]
	s_or_b64 s[0:1], vcc, s[14:15]
	v_cndmask_b32_e32 v1, v4, v1, vcc
	s_or_b64 vcc, s[0:1], s[2:3]
	v_cndmask_b32_e32 v1, v24, v1, vcc
	v_add_co_u32_e64 v2, s[0:1], v25, v1
	v_addc_co_u32_e64 v3, s[0:1], 0, v17, s[0:1]
	s_or_b64 s[0:1], vcc, s[8:9]
	v_cndmask_b32_e64 v1, 0, 1, s[0:1]
	v_mov_b32_dpp v4, v2 quad_perm:[1,0,3,2] row_mask:0xf bank_mask:0xf bound_ctrl:1
	v_mov_b32_dpp v5, v3 quad_perm:[1,0,3,2] row_mask:0xf bank_mask:0xf bound_ctrl:1
	;; [unrolled: 1-line block ×3, first 2 shown]
	v_and_b32_e32 v7, 1, v6
	v_cmp_eq_u32_e32 vcc, 1, v7
	s_and_saveexec_b64 s[2:3], vcc
; %bb.5:
	v_cmp_lt_i64_e32 vcc, v[2:3], v[4:5]
	v_cndmask_b32_e64 v6, v6, 1, s[0:1]
	s_and_b64 vcc, s[0:1], vcc
	v_cndmask_b32_e32 v2, v4, v2, vcc
	v_and_b32_e32 v4, 1, v6
	v_cndmask_b32_e32 v3, v5, v3, vcc
	v_cmp_eq_u32_e32 vcc, 1, v4
	s_andn2_b64 s[0:1], s[0:1], exec
	s_and_b64 s[8:9], vcc, exec
	v_and_b32_e32 v1, 0xff, v6
	s_or_b64 s[0:1], s[0:1], s[8:9]
; %bb.6:
	s_or_b64 exec, exec, s[2:3]
	v_mov_b32_dpp v6, v1 quad_perm:[2,3,0,1] row_mask:0xf bank_mask:0xf bound_ctrl:1
	v_and_b32_e32 v7, 1, v6
	v_mov_b32_dpp v4, v2 quad_perm:[2,3,0,1] row_mask:0xf bank_mask:0xf bound_ctrl:1
	v_mov_b32_dpp v5, v3 quad_perm:[2,3,0,1] row_mask:0xf bank_mask:0xf bound_ctrl:1
	v_cmp_eq_u32_e32 vcc, 1, v7
	s_and_saveexec_b64 s[2:3], vcc
; %bb.7:
	v_cmp_lt_i64_e32 vcc, v[2:3], v[4:5]
	v_cndmask_b32_e64 v6, v6, 1, s[0:1]
	s_and_b64 vcc, s[0:1], vcc
	v_cndmask_b32_e32 v2, v4, v2, vcc
	v_and_b32_e32 v4, 1, v6
	v_cndmask_b32_e32 v3, v5, v3, vcc
	v_cmp_eq_u32_e32 vcc, 1, v4
	s_andn2_b64 s[0:1], s[0:1], exec
	s_and_b64 s[8:9], vcc, exec
	v_and_b32_e32 v1, 0xff, v6
	s_or_b64 s[0:1], s[0:1], s[8:9]
; %bb.8:
	s_or_b64 exec, exec, s[2:3]
	v_mov_b32_dpp v6, v1 row_ror:4 row_mask:0xf bank_mask:0xf bound_ctrl:1
	v_and_b32_e32 v7, 1, v6
	v_mov_b32_dpp v4, v2 row_ror:4 row_mask:0xf bank_mask:0xf bound_ctrl:1
	v_mov_b32_dpp v5, v3 row_ror:4 row_mask:0xf bank_mask:0xf bound_ctrl:1
	v_cmp_eq_u32_e32 vcc, 1, v7
	s_and_saveexec_b64 s[2:3], vcc
; %bb.9:
	v_cmp_lt_i64_e32 vcc, v[2:3], v[4:5]
	v_cndmask_b32_e64 v6, v6, 1, s[0:1]
	s_and_b64 vcc, s[0:1], vcc
	v_cndmask_b32_e32 v2, v4, v2, vcc
	v_and_b32_e32 v4, 1, v6
	v_cndmask_b32_e32 v3, v5, v3, vcc
	v_cmp_eq_u32_e32 vcc, 1, v4
	s_andn2_b64 s[0:1], s[0:1], exec
	s_and_b64 s[8:9], vcc, exec
	v_and_b32_e32 v1, 0xff, v6
	s_or_b64 s[0:1], s[0:1], s[8:9]
; %bb.10:
	s_or_b64 exec, exec, s[2:3]
	v_mov_b32_dpp v6, v1 row_ror:8 row_mask:0xf bank_mask:0xf bound_ctrl:1
	v_and_b32_e32 v7, 1, v6
	v_mov_b32_dpp v4, v2 row_ror:8 row_mask:0xf bank_mask:0xf bound_ctrl:1
	v_mov_b32_dpp v5, v3 row_ror:8 row_mask:0xf bank_mask:0xf bound_ctrl:1
	v_cmp_eq_u32_e32 vcc, 1, v7
	s_and_saveexec_b64 s[2:3], vcc
; %bb.11:
	v_cmp_lt_i64_e32 vcc, v[2:3], v[4:5]
	v_cndmask_b32_e64 v6, v6, 1, s[0:1]
	s_and_b64 vcc, s[0:1], vcc
	v_cndmask_b32_e32 v2, v4, v2, vcc
	v_and_b32_e32 v4, 1, v6
	v_cndmask_b32_e32 v3, v5, v3, vcc
	v_cmp_eq_u32_e32 vcc, 1, v4
	s_andn2_b64 s[0:1], s[0:1], exec
	s_and_b64 s[8:9], vcc, exec
	v_and_b32_e32 v1, 0xff, v6
	s_or_b64 s[0:1], s[0:1], s[8:9]
; %bb.12:
	s_or_b64 exec, exec, s[2:3]
	v_mov_b32_dpp v6, v1 row_bcast:15 row_mask:0xf bank_mask:0xf bound_ctrl:1
	v_and_b32_e32 v7, 1, v6
	v_mov_b32_dpp v4, v2 row_bcast:15 row_mask:0xf bank_mask:0xf bound_ctrl:1
	v_mov_b32_dpp v5, v3 row_bcast:15 row_mask:0xf bank_mask:0xf bound_ctrl:1
	v_cmp_eq_u32_e32 vcc, 1, v7
	s_and_saveexec_b64 s[2:3], vcc
; %bb.13:
	v_cmp_lt_i64_e32 vcc, v[2:3], v[4:5]
	v_cndmask_b32_e64 v6, v6, 1, s[0:1]
	s_and_b64 vcc, s[0:1], vcc
	v_cndmask_b32_e32 v2, v4, v2, vcc
	v_and_b32_e32 v4, 1, v6
	v_cndmask_b32_e32 v3, v5, v3, vcc
	v_cmp_eq_u32_e32 vcc, 1, v4
	s_andn2_b64 s[0:1], s[0:1], exec
	s_and_b64 s[8:9], vcc, exec
	v_and_b32_e32 v1, 0xff, v6
	s_or_b64 s[0:1], s[0:1], s[8:9]
; %bb.14:
	s_or_b64 exec, exec, s[2:3]
	v_mov_b32_dpp v6, v1 row_bcast:31 row_mask:0xf bank_mask:0xf bound_ctrl:1
	v_and_b32_e32 v7, 1, v6
	v_mov_b32_dpp v4, v2 row_bcast:31 row_mask:0xf bank_mask:0xf bound_ctrl:1
	v_mov_b32_dpp v5, v3 row_bcast:31 row_mask:0xf bank_mask:0xf bound_ctrl:1
	v_cmp_eq_u32_e32 vcc, 1, v7
	s_and_saveexec_b64 s[2:3], vcc
; %bb.15:
	v_cmp_lt_i64_e32 vcc, v[2:3], v[4:5]
	v_and_b32_e32 v1, 0xff, v6
	s_and_b64 vcc, s[0:1], vcc
	v_cndmask_b32_e32 v2, v4, v2, vcc
	v_cndmask_b32_e32 v3, v5, v3, vcc
	v_cndmask_b32_e64 v1, v1, 1, s[0:1]
; %bb.16:
	s_or_b64 exec, exec, s[2:3]
	v_mbcnt_lo_u32_b32 v4, -1, 0
	v_mbcnt_hi_u32_b32 v4, -1, v4
	v_bfrev_b32_e32 v5, 0.5
	v_lshl_or_b32 v5, v4, 2, v5
	ds_bpermute_b32 v7, v5, v1
	ds_bpermute_b32 v2, v5, v2
	;; [unrolled: 1-line block ×3, first 2 shown]
	v_cmp_eq_u32_e32 vcc, 0, v4
	s_and_saveexec_b64 s[0:1], vcc
	s_cbranch_execz .LBB309_18
; %bb.17:
	v_lshrrev_b32_e32 v1, 2, v0
	v_and_b32_e32 v1, 48, v1
	s_waitcnt lgkmcnt(2)
	ds_write_b8 v1, v7 offset:192
	s_waitcnt lgkmcnt(1)
	ds_write_b64 v1, v[2:3] offset:200
.LBB309_18:
	s_or_b64 exec, exec, s[0:1]
	v_cmp_gt_u32_e32 vcc, 64, v0
	s_waitcnt lgkmcnt(0)
	s_barrier
	s_and_saveexec_b64 s[2:3], vcc
	s_cbranch_execz .LBB309_20
; %bb.19:
	v_and_b32_e32 v1, 3, v4
	v_lshlrev_b32_e32 v2, 4, v1
	ds_read_u8 v5, v2 offset:192
	ds_read_b64 v[2:3], v2 offset:200
	v_cmp_ne_u32_e32 vcc, 3, v1
	v_addc_co_u32_e32 v6, vcc, 0, v4, vcc
	s_waitcnt lgkmcnt(1)
	v_and_b32_e32 v7, 0xff, v5
	v_lshlrev_b32_e32 v8, 2, v6
	ds_bpermute_b32 v9, v8, v7
	s_waitcnt lgkmcnt(1)
	ds_bpermute_b32 v6, v8, v2
	ds_bpermute_b32 v7, v8, v3
	v_and_b32_e32 v8, 1, v5
	s_waitcnt lgkmcnt(2)
	v_and_b32_e32 v10, 1, v9
	v_cmp_eq_u32_e64 s[0:1], 1, v10
	s_waitcnt lgkmcnt(0)
	v_cmp_lt_i64_e32 vcc, v[6:7], v[2:3]
	s_and_b64 vcc, s[0:1], vcc
	v_cndmask_b32_e64 v5, v5, 1, s[0:1]
	v_cndmask_b32_e32 v2, v2, v6, vcc
	v_cndmask_b32_e32 v3, v3, v7, vcc
	v_cmp_eq_u32_e32 vcc, 1, v8
	v_cndmask_b32_e32 v8, v9, v5, vcc
	v_cndmask_b32_e32 v3, v7, v3, vcc
	;; [unrolled: 1-line block ×3, first 2 shown]
	v_cmp_gt_u32_e32 vcc, 2, v1
	v_cndmask_b32_e64 v1, 0, 1, vcc
	v_lshlrev_b32_e32 v1, 1, v1
	v_and_b32_e32 v5, 0xff, v8
	v_add_lshl_u32 v1, v1, v4, 2
	ds_bpermute_b32 v6, v1, v5
	ds_bpermute_b32 v4, v1, v2
	;; [unrolled: 1-line block ×3, first 2 shown]
	v_and_b32_e32 v1, 1, v8
	s_waitcnt lgkmcnt(2)
	v_and_b32_e32 v7, 1, v6
	v_cmp_eq_u32_e64 s[0:1], 1, v7
	s_waitcnt lgkmcnt(0)
	v_cmp_lt_i64_e32 vcc, v[4:5], v[2:3]
	s_and_b64 vcc, s[0:1], vcc
	v_cndmask_b32_e64 v7, v8, 1, s[0:1]
	v_cndmask_b32_e32 v2, v2, v4, vcc
	v_cndmask_b32_e32 v3, v3, v5, vcc
	v_cmp_eq_u32_e32 vcc, 1, v1
	v_cndmask_b32_e32 v1, v6, v7, vcc
	v_cndmask_b32_e32 v3, v5, v3, vcc
	;; [unrolled: 1-line block ×3, first 2 shown]
	v_and_b32_e32 v7, 0xff, v1
.LBB309_20:
	s_or_b64 exec, exec, s[2:3]
	s_branch .LBB309_89
.LBB309_21:
	s_mov_b64 s[10:11], 0
                                        ; implicit-def: $vgpr4_vgpr5
                                        ; implicit-def: $vgpr1
	s_cbranch_execnz .LBB309_133
	s_branch .LBB309_208
.LBB309_22:
	s_mov_b64 s[28:29], -1
.LBB309_23:
	s_mov_b64 s[10:11], 0
                                        ; implicit-def: $vgpr4_vgpr5
                                        ; implicit-def: $vgpr1
	s_and_b64 vcc, exec, s[28:29]
	s_cbranch_vccz .LBB309_94
.LBB309_24:
	s_cmp_eq_u32 s38, 4
	s_cbranch_scc0 .LBB309_43
; %bb.25:
	s_mov_b32 s7, 0
	s_lshl_b32 s16, s6, 10
	s_mov_b32 s17, s7
	s_lshr_b64 s[0:1], s[22:23], 10
	s_lshl_b64 s[2:3], s[16:17], 1
	s_add_u32 s12, s24, s2
	s_addc_u32 s13, s25, s3
	s_add_u32 s14, s26, s2
	s_addc_u32 s15, s27, s3
	;; [unrolled: 2-line block ×3, first 2 shown]
	s_cmp_lg_u64 s[0:1], s[6:7]
	s_cbranch_scc0 .LBB309_95
; %bb.26:
	v_lshlrev_b32_e32 v1, 1, v0
	global_load_ushort v2, v1, s[12:13] offset:1024
	global_load_ushort v3, v1, s[14:15] offset:512
	s_waitcnt lgkmcnt(1)
	global_load_ushort v4, v1, s[14:15] offset:1024
	s_waitcnt lgkmcnt(0)
	global_load_ushort v5, v1, s[14:15] offset:1536
	global_load_ushort v6, v1, s[12:13] offset:1536
	;; [unrolled: 1-line block ×3, first 2 shown]
	global_load_ushort v8, v1, s[14:15]
	global_load_ushort v9, v1, s[12:13]
	v_mov_b32_e32 v1, s29
	v_add_co_u32_e32 v13, vcc, s28, v0
	v_mov_b32_e32 v10, 0x200
	v_mov_b32_e32 v11, 0x100
	v_addc_co_u32_e32 v1, vcc, 0, v1, vcc
	v_mov_b32_e32 v12, 0x300
	s_waitcnt vmcnt(5)
	v_cmp_ne_u16_e32 vcc, v2, v4
	s_waitcnt vmcnt(3)
	v_cmp_ne_u16_e64 s[0:1], v6, v5
	s_waitcnt vmcnt(2)
	v_cmp_ne_u16_e64 s[2:3], v7, v3
	v_cndmask_b32_e64 v2, v10, v11, s[2:3]
	s_waitcnt vmcnt(0)
	v_cmp_ne_u16_e64 s[8:9], v9, v8
	s_or_b64 s[2:3], s[8:9], s[2:3]
	v_cndmask_b32_e64 v2, v2, 0, s[8:9]
	s_or_b64 vcc, s[2:3], vcc
	v_cndmask_b32_e32 v2, v12, v2, vcc
	v_add_co_u32_e64 v2, s[2:3], v13, v2
	s_or_b64 s[0:1], vcc, s[0:1]
	v_addc_co_u32_e64 v3, s[2:3], 0, v1, s[2:3]
	v_cndmask_b32_e64 v1, 0, 1, s[0:1]
	v_mov_b32_dpp v4, v2 quad_perm:[1,0,3,2] row_mask:0xf bank_mask:0xf bound_ctrl:1
	v_mov_b32_dpp v5, v3 quad_perm:[1,0,3,2] row_mask:0xf bank_mask:0xf bound_ctrl:1
	;; [unrolled: 1-line block ×3, first 2 shown]
	v_and_b32_e32 v7, 1, v6
	v_cmp_eq_u32_e32 vcc, 1, v7
	s_and_saveexec_b64 s[2:3], vcc
; %bb.27:
	v_cmp_lt_i64_e32 vcc, v[2:3], v[4:5]
	v_cndmask_b32_e64 v6, v6, 1, s[0:1]
	s_and_b64 vcc, s[0:1], vcc
	v_cndmask_b32_e32 v2, v4, v2, vcc
	v_and_b32_e32 v4, 1, v6
	v_cndmask_b32_e32 v3, v5, v3, vcc
	v_cmp_eq_u32_e32 vcc, 1, v4
	s_andn2_b64 s[0:1], s[0:1], exec
	s_and_b64 s[8:9], vcc, exec
	v_and_b32_e32 v1, 0xff, v6
	s_or_b64 s[0:1], s[0:1], s[8:9]
; %bb.28:
	s_or_b64 exec, exec, s[2:3]
	v_mov_b32_dpp v6, v1 quad_perm:[2,3,0,1] row_mask:0xf bank_mask:0xf bound_ctrl:1
	v_and_b32_e32 v7, 1, v6
	v_mov_b32_dpp v4, v2 quad_perm:[2,3,0,1] row_mask:0xf bank_mask:0xf bound_ctrl:1
	v_mov_b32_dpp v5, v3 quad_perm:[2,3,0,1] row_mask:0xf bank_mask:0xf bound_ctrl:1
	v_cmp_eq_u32_e32 vcc, 1, v7
	s_and_saveexec_b64 s[2:3], vcc
; %bb.29:
	v_cmp_lt_i64_e32 vcc, v[2:3], v[4:5]
	v_cndmask_b32_e64 v6, v6, 1, s[0:1]
	s_and_b64 vcc, s[0:1], vcc
	v_cndmask_b32_e32 v2, v4, v2, vcc
	v_and_b32_e32 v4, 1, v6
	v_cndmask_b32_e32 v3, v5, v3, vcc
	v_cmp_eq_u32_e32 vcc, 1, v4
	s_andn2_b64 s[0:1], s[0:1], exec
	s_and_b64 s[8:9], vcc, exec
	v_and_b32_e32 v1, 0xff, v6
	s_or_b64 s[0:1], s[0:1], s[8:9]
; %bb.30:
	s_or_b64 exec, exec, s[2:3]
	v_mov_b32_dpp v6, v1 row_ror:4 row_mask:0xf bank_mask:0xf bound_ctrl:1
	v_and_b32_e32 v7, 1, v6
	v_mov_b32_dpp v4, v2 row_ror:4 row_mask:0xf bank_mask:0xf bound_ctrl:1
	v_mov_b32_dpp v5, v3 row_ror:4 row_mask:0xf bank_mask:0xf bound_ctrl:1
	v_cmp_eq_u32_e32 vcc, 1, v7
	s_and_saveexec_b64 s[2:3], vcc
; %bb.31:
	v_cmp_lt_i64_e32 vcc, v[2:3], v[4:5]
	v_cndmask_b32_e64 v6, v6, 1, s[0:1]
	s_and_b64 vcc, s[0:1], vcc
	v_cndmask_b32_e32 v2, v4, v2, vcc
	v_and_b32_e32 v4, 1, v6
	v_cndmask_b32_e32 v3, v5, v3, vcc
	v_cmp_eq_u32_e32 vcc, 1, v4
	s_andn2_b64 s[0:1], s[0:1], exec
	s_and_b64 s[8:9], vcc, exec
	v_and_b32_e32 v1, 0xff, v6
	s_or_b64 s[0:1], s[0:1], s[8:9]
; %bb.32:
	s_or_b64 exec, exec, s[2:3]
	v_mov_b32_dpp v6, v1 row_ror:8 row_mask:0xf bank_mask:0xf bound_ctrl:1
	v_and_b32_e32 v7, 1, v6
	v_mov_b32_dpp v4, v2 row_ror:8 row_mask:0xf bank_mask:0xf bound_ctrl:1
	v_mov_b32_dpp v5, v3 row_ror:8 row_mask:0xf bank_mask:0xf bound_ctrl:1
	v_cmp_eq_u32_e32 vcc, 1, v7
	s_and_saveexec_b64 s[2:3], vcc
; %bb.33:
	v_cmp_lt_i64_e32 vcc, v[2:3], v[4:5]
	v_cndmask_b32_e64 v6, v6, 1, s[0:1]
	s_and_b64 vcc, s[0:1], vcc
	v_cndmask_b32_e32 v2, v4, v2, vcc
	v_and_b32_e32 v4, 1, v6
	v_cndmask_b32_e32 v3, v5, v3, vcc
	v_cmp_eq_u32_e32 vcc, 1, v4
	s_andn2_b64 s[0:1], s[0:1], exec
	s_and_b64 s[8:9], vcc, exec
	v_and_b32_e32 v1, 0xff, v6
	s_or_b64 s[0:1], s[0:1], s[8:9]
; %bb.34:
	s_or_b64 exec, exec, s[2:3]
	v_mov_b32_dpp v6, v1 row_bcast:15 row_mask:0xf bank_mask:0xf bound_ctrl:1
	v_and_b32_e32 v7, 1, v6
	v_mov_b32_dpp v4, v2 row_bcast:15 row_mask:0xf bank_mask:0xf bound_ctrl:1
	v_mov_b32_dpp v5, v3 row_bcast:15 row_mask:0xf bank_mask:0xf bound_ctrl:1
	v_cmp_eq_u32_e32 vcc, 1, v7
	s_and_saveexec_b64 s[2:3], vcc
; %bb.35:
	v_cmp_lt_i64_e32 vcc, v[2:3], v[4:5]
	v_cndmask_b32_e64 v6, v6, 1, s[0:1]
	s_and_b64 vcc, s[0:1], vcc
	v_cndmask_b32_e32 v2, v4, v2, vcc
	v_and_b32_e32 v4, 1, v6
	v_cndmask_b32_e32 v3, v5, v3, vcc
	v_cmp_eq_u32_e32 vcc, 1, v4
	s_andn2_b64 s[0:1], s[0:1], exec
	s_and_b64 s[8:9], vcc, exec
	v_and_b32_e32 v1, 0xff, v6
	s_or_b64 s[0:1], s[0:1], s[8:9]
; %bb.36:
	s_or_b64 exec, exec, s[2:3]
	v_mov_b32_dpp v6, v1 row_bcast:31 row_mask:0xf bank_mask:0xf bound_ctrl:1
	v_and_b32_e32 v7, 1, v6
	v_mov_b32_dpp v4, v2 row_bcast:31 row_mask:0xf bank_mask:0xf bound_ctrl:1
	v_mov_b32_dpp v5, v3 row_bcast:31 row_mask:0xf bank_mask:0xf bound_ctrl:1
	v_cmp_eq_u32_e32 vcc, 1, v7
	s_and_saveexec_b64 s[2:3], vcc
; %bb.37:
	v_cmp_lt_i64_e32 vcc, v[2:3], v[4:5]
	v_and_b32_e32 v1, 0xff, v6
	s_and_b64 vcc, s[0:1], vcc
	v_cndmask_b32_e32 v2, v4, v2, vcc
	v_cndmask_b32_e32 v3, v5, v3, vcc
	v_cndmask_b32_e64 v1, v1, 1, s[0:1]
; %bb.38:
	s_or_b64 exec, exec, s[2:3]
	v_mbcnt_lo_u32_b32 v4, -1, 0
	v_mbcnt_hi_u32_b32 v4, -1, v4
	v_bfrev_b32_e32 v5, 0.5
	v_lshl_or_b32 v5, v4, 2, v5
	ds_bpermute_b32 v6, v5, v1
	ds_bpermute_b32 v2, v5, v2
	;; [unrolled: 1-line block ×3, first 2 shown]
	v_cmp_eq_u32_e32 vcc, 0, v4
	s_and_saveexec_b64 s[0:1], vcc
	s_cbranch_execz .LBB309_40
; %bb.39:
	v_lshrrev_b32_e32 v1, 2, v0
	v_and_b32_e32 v1, 48, v1
	s_waitcnt lgkmcnt(2)
	ds_write_b8 v1, v6 offset:128
	s_waitcnt lgkmcnt(1)
	ds_write_b64 v1, v[2:3] offset:136
.LBB309_40:
	s_or_b64 exec, exec, s[0:1]
	v_cmp_gt_u32_e32 vcc, 64, v0
	s_waitcnt lgkmcnt(0)
	s_barrier
	s_and_saveexec_b64 s[2:3], vcc
	s_cbranch_execz .LBB309_42
; %bb.41:
	v_and_b32_e32 v1, 3, v4
	v_lshlrev_b32_e32 v2, 4, v1
	ds_read_u8 v5, v2 offset:128
	ds_read_b64 v[2:3], v2 offset:136
	v_cmp_ne_u32_e32 vcc, 3, v1
	v_addc_co_u32_e32 v6, vcc, 0, v4, vcc
	s_waitcnt lgkmcnt(1)
	v_and_b32_e32 v7, 0xff, v5
	v_lshlrev_b32_e32 v8, 2, v6
	ds_bpermute_b32 v9, v8, v7
	s_waitcnt lgkmcnt(1)
	ds_bpermute_b32 v6, v8, v2
	ds_bpermute_b32 v7, v8, v3
	v_and_b32_e32 v8, 1, v5
	s_waitcnt lgkmcnt(2)
	v_and_b32_e32 v10, 1, v9
	v_cmp_eq_u32_e64 s[0:1], 1, v10
	s_waitcnt lgkmcnt(0)
	v_cmp_lt_i64_e32 vcc, v[6:7], v[2:3]
	s_and_b64 vcc, s[0:1], vcc
	v_cndmask_b32_e64 v5, v5, 1, s[0:1]
	v_cndmask_b32_e32 v2, v2, v6, vcc
	v_cndmask_b32_e32 v3, v3, v7, vcc
	v_cmp_eq_u32_e32 vcc, 1, v8
	v_cndmask_b32_e32 v8, v9, v5, vcc
	v_cndmask_b32_e32 v3, v7, v3, vcc
	;; [unrolled: 1-line block ×3, first 2 shown]
	v_cmp_gt_u32_e32 vcc, 2, v1
	v_cndmask_b32_e64 v1, 0, 1, vcc
	v_lshlrev_b32_e32 v1, 1, v1
	v_and_b32_e32 v5, 0xff, v8
	v_add_lshl_u32 v1, v1, v4, 2
	ds_bpermute_b32 v6, v1, v5
	ds_bpermute_b32 v4, v1, v2
	;; [unrolled: 1-line block ×3, first 2 shown]
	v_and_b32_e32 v1, 1, v8
	s_waitcnt lgkmcnt(2)
	v_and_b32_e32 v7, 1, v6
	v_cmp_eq_u32_e64 s[0:1], 1, v7
	s_waitcnt lgkmcnt(0)
	v_cmp_lt_i64_e32 vcc, v[4:5], v[2:3]
	s_and_b64 vcc, s[0:1], vcc
	v_cndmask_b32_e64 v7, v8, 1, s[0:1]
	v_cndmask_b32_e32 v2, v2, v4, vcc
	v_cndmask_b32_e32 v3, v3, v5, vcc
	v_cmp_eq_u32_e32 vcc, 1, v1
	v_cndmask_b32_e32 v1, v6, v7, vcc
	v_cndmask_b32_e32 v3, v5, v3, vcc
	;; [unrolled: 1-line block ×3, first 2 shown]
	v_and_b32_e32 v6, 0xff, v1
.LBB309_42:
	s_or_b64 exec, exec, s[2:3]
	s_branch .LBB309_128
.LBB309_43:
                                        ; implicit-def: $vgpr4_vgpr5
                                        ; implicit-def: $vgpr1
	s_branch .LBB309_208
.LBB309_44:
                                        ; implicit-def: $vgpr2_vgpr3
                                        ; implicit-def: $vgpr7
	s_cbranch_execz .LBB309_89
; %bb.45:
	s_sub_i32 s41, s22, s36
	v_pk_mov_b32 v[4:5], 0, 0
	v_cmp_gt_u32_e32 vcc, s41, v0
	v_mov_b32_e32 v18, 0
	v_pk_mov_b32 v[2:3], v[4:5], v[4:5] op_sel:[0,1]
	v_mov_b32_e32 v1, 0
	s_and_saveexec_b64 s[0:1], vcc
	s_cbranch_execz .LBB309_47
; %bb.46:
	v_lshlrev_b32_e32 v1, 1, v0
	global_load_ushort v6, v1, s[30:31]
	global_load_ushort v7, v1, s[34:35]
	v_mov_b32_e32 v1, s40
	v_add_co_u32_e32 v2, vcc, s39, v0
	v_addc_co_u32_e32 v3, vcc, 0, v1, vcc
	s_waitcnt vmcnt(0)
	v_cmp_ne_u16_e32 vcc, v6, v7
	v_cndmask_b32_e64 v1, 0, 1, vcc
.LBB309_47:
	s_or_b64 exec, exec, s[0:1]
	v_or_b32_e32 v6, 0x100, v0
	v_cmp_gt_u32_e64 s[8:9], s41, v6
	s_and_saveexec_b64 s[0:1], s[8:9]
	s_cbranch_execz .LBB309_49
; %bb.48:
	v_lshlrev_b32_e32 v4, 1, v0
	global_load_ushort v7, v4, s[30:31] offset:512
	global_load_ushort v8, v4, s[34:35] offset:512
	v_mov_b32_e32 v5, s40
	v_add_co_u32_e32 v4, vcc, s39, v6
	v_addc_co_u32_e32 v5, vcc, 0, v5, vcc
	s_waitcnt vmcnt(0)
	v_cmp_ne_u16_e32 vcc, v7, v8
	v_cndmask_b32_e64 v18, 0, 1, vcc
.LBB309_49:
	s_or_b64 exec, exec, s[0:1]
	v_or_b32_e32 v8, 0x200, v0
	v_pk_mov_b32 v[6:7], 0, 0
	v_cmp_gt_u32_e32 vcc, s41, v8
	v_mov_b32_e32 v19, 0
	v_pk_mov_b32 v[12:13], v[6:7], v[6:7] op_sel:[0,1]
	v_mov_b32_e32 v23, 0
	s_and_saveexec_b64 s[2:3], vcc
	s_cbranch_execz .LBB309_51
; %bb.50:
	v_lshlrev_b32_e32 v9, 1, v0
	global_load_ushort v10, v9, s[30:31] offset:1024
	global_load_ushort v11, v9, s[34:35] offset:1024
	v_mov_b32_e32 v9, s40
	v_add_co_u32_e64 v12, s[0:1], s39, v8
	v_addc_co_u32_e64 v13, s[0:1], 0, v9, s[0:1]
	s_waitcnt vmcnt(0)
	v_cmp_ne_u16_e64 s[0:1], v10, v11
	v_cndmask_b32_e64 v23, 0, 1, s[0:1]
.LBB309_51:
	s_or_b64 exec, exec, s[2:3]
	v_or_b32_e32 v8, 0x300, v0
	v_cmp_gt_u32_e64 s[10:11], s41, v8
	s_and_saveexec_b64 s[2:3], s[10:11]
	s_cbranch_execz .LBB309_53
; %bb.52:
	v_lshlrev_b32_e32 v6, 1, v0
	global_load_ushort v9, v6, s[30:31] offset:1536
	global_load_ushort v10, v6, s[34:35] offset:1536
	v_mov_b32_e32 v7, s40
	v_add_co_u32_e64 v6, s[0:1], s39, v8
	v_addc_co_u32_e64 v7, s[0:1], 0, v7, s[0:1]
	s_waitcnt vmcnt(0)
	v_cmp_ne_u16_e64 s[0:1], v9, v10
	v_cndmask_b32_e64 v19, 0, 1, s[0:1]
.LBB309_53:
	s_or_b64 exec, exec, s[2:3]
	v_or_b32_e32 v10, 0x400, v0
	v_pk_mov_b32 v[8:9], 0, 0
	v_cmp_gt_u32_e64 s[0:1], s41, v10
	v_mov_b32_e32 v20, 0
	v_pk_mov_b32 v[14:15], v[8:9], v[8:9] op_sel:[0,1]
	v_mov_b32_e32 v24, 0
	s_and_saveexec_b64 s[12:13], s[0:1]
	s_cbranch_execz .LBB309_55
; %bb.54:
	v_lshlrev_b32_e32 v11, 1, v0
	global_load_ushort v16, v11, s[30:31] offset:2048
	global_load_ushort v17, v11, s[34:35] offset:2048
	v_mov_b32_e32 v11, s40
	v_add_co_u32_e64 v14, s[2:3], s39, v10
	v_addc_co_u32_e64 v15, s[2:3], 0, v11, s[2:3]
	s_waitcnt vmcnt(0)
	v_cmp_ne_u16_e64 s[2:3], v16, v17
	v_cndmask_b32_e64 v24, 0, 1, s[2:3]
.LBB309_55:
	s_or_b64 exec, exec, s[12:13]
	v_or_b32_e32 v10, 0x500, v0
	v_cmp_gt_u32_e64 s[12:13], s41, v10
	s_and_saveexec_b64 s[14:15], s[12:13]
	s_cbranch_execz .LBB309_57
; %bb.56:
	v_lshlrev_b32_e32 v8, 1, v0
	global_load_ushort v11, v8, s[30:31] offset:2560
	global_load_ushort v16, v8, s[34:35] offset:2560
	v_mov_b32_e32 v9, s40
	v_add_co_u32_e64 v8, s[2:3], s39, v10
	v_addc_co_u32_e64 v9, s[2:3], 0, v9, s[2:3]
	s_waitcnt vmcnt(0)
	v_cmp_ne_u16_e64 s[2:3], v11, v16
	v_cndmask_b32_e64 v20, 0, 1, s[2:3]
.LBB309_57:
	s_or_b64 exec, exec, s[14:15]
	v_or_b32_e32 v25, 0x600, v0
	v_pk_mov_b32 v[10:11], 0, 0
	v_cmp_gt_u32_e64 s[2:3], s41, v25
	v_mov_b32_e32 v21, 0
	v_mov_b32_e32 v22, 0
	v_pk_mov_b32 v[16:17], v[10:11], v[10:11] op_sel:[0,1]
	s_and_saveexec_b64 s[16:17], s[2:3]
	s_cbranch_execz .LBB309_59
; %bb.58:
	v_lshlrev_b32_e32 v16, 1, v0
	global_load_ushort v22, v16, s[30:31] offset:3072
	global_load_ushort v26, v16, s[34:35] offset:3072
	v_mov_b32_e32 v17, s40
	v_add_co_u32_e64 v16, s[14:15], s39, v25
	v_addc_co_u32_e64 v17, s[14:15], 0, v17, s[14:15]
	s_waitcnt vmcnt(0)
	v_cmp_ne_u16_e64 s[14:15], v22, v26
	v_cndmask_b32_e64 v22, 0, 1, s[14:15]
.LBB309_59:
	s_or_b64 exec, exec, s[16:17]
	v_or_b32_e32 v25, 0x700, v0
	v_cmp_gt_u32_e64 s[14:15], s41, v25
	s_and_saveexec_b64 s[36:37], s[14:15]
	s_cbranch_execnz .LBB309_240
; %bb.60:
	s_or_b64 exec, exec, s[36:37]
	s_and_saveexec_b64 s[30:31], s[8:9]
	s_cbranch_execnz .LBB309_241
.LBB309_61:
	s_or_b64 exec, exec, s[30:31]
	s_and_saveexec_b64 s[16:17], vcc
	s_cbranch_execnz .LBB309_242
.LBB309_62:
	s_or_b64 exec, exec, s[16:17]
	s_and_saveexec_b64 s[16:17], s[10:11]
	s_cbranch_execnz .LBB309_243
.LBB309_63:
	s_or_b64 exec, exec, s[16:17]
	s_and_saveexec_b64 s[8:9], s[0:1]
	s_cbranch_execnz .LBB309_244
.LBB309_64:
	s_or_b64 exec, exec, s[8:9]
	s_and_saveexec_b64 s[8:9], s[12:13]
	s_cbranch_execnz .LBB309_245
.LBB309_65:
	s_or_b64 exec, exec, s[8:9]
	s_and_saveexec_b64 s[8:9], s[2:3]
	s_cbranch_execnz .LBB309_246
.LBB309_66:
	s_or_b64 exec, exec, s[8:9]
	s_and_saveexec_b64 s[2:3], s[14:15]
	s_cbranch_execz .LBB309_68
.LBB309_67:
	v_and_b32_e32 v5, 1, v21
	v_cmp_lt_i64_e32 vcc, v[10:11], v[2:3]
	v_cmp_eq_u32_e64 s[0:1], 1, v5
	v_and_b32_e32 v4, 1, v1
	s_and_b64 vcc, s[0:1], vcc
	v_cndmask_b32_e64 v1, v1, 1, s[0:1]
	v_cndmask_b32_e32 v2, v2, v10, vcc
	v_cndmask_b32_e32 v3, v3, v11, vcc
	v_cmp_eq_u32_e32 vcc, 1, v4
	v_cndmask_b32_e32 v1, v21, v1, vcc
	v_cndmask_b32_e32 v3, v11, v3, vcc
	;; [unrolled: 1-line block ×3, first 2 shown]
.LBB309_68:
	s_or_b64 exec, exec, s[2:3]
	v_mbcnt_lo_u32_b32 v4, -1, 0
	v_mbcnt_hi_u32_b32 v6, -1, v4
	v_and_b32_e32 v8, 63, v6
	v_cmp_ne_u32_e32 vcc, 63, v8
	v_addc_co_u32_e32 v4, vcc, 0, v6, vcc
	v_and_b32_e32 v7, 0xffff, v1
	v_lshlrev_b32_e32 v5, 2, v4
	ds_bpermute_b32 v11, v5, v7
	ds_bpermute_b32 v4, v5, v2
	;; [unrolled: 1-line block ×3, first 2 shown]
	s_min_u32 s8, s41, 0x100
	v_and_b32_e32 v9, 0xc0, v0
	v_sub_u32_e64 v10, s8, v9 clamp
	v_add_u32_e32 v9, 1, v8
	v_cmp_lt_u32_e32 vcc, v9, v10
	v_mov_b32_e32 v9, v7
	s_and_saveexec_b64 s[0:1], vcc
	s_xor_b64 s[2:3], exec, s[0:1]
	s_cbranch_execz .LBB309_70
; %bb.69:
	s_waitcnt lgkmcnt(2)
	v_and_b32_e32 v9, 1, v11
	s_waitcnt lgkmcnt(0)
	v_cmp_lt_i64_e32 vcc, v[4:5], v[2:3]
	v_cmp_eq_u32_e64 s[0:1], 1, v9
	v_and_b32_e32 v1, 1, v1
	s_and_b64 vcc, s[0:1], vcc
	v_cndmask_b32_e64 v7, v7, 1, s[0:1]
	v_cndmask_b32_e32 v2, v2, v4, vcc
	v_cndmask_b32_e32 v3, v3, v5, vcc
	v_cmp_eq_u32_e32 vcc, 1, v1
	v_cndmask_b32_e32 v9, v11, v7, vcc
	v_cndmask_b32_e32 v3, v5, v3, vcc
	;; [unrolled: 1-line block ×3, first 2 shown]
	v_and_b32_e32 v7, 0xff, v9
.LBB309_70:
	s_or_b64 exec, exec, s[2:3]
	v_cmp_gt_u32_e32 vcc, 62, v8
	v_cndmask_b32_e64 v1, 0, 1, vcc
	v_lshlrev_b32_e32 v1, 1, v1
	s_waitcnt lgkmcnt(0)
	v_add_lshl_u32 v5, v1, v6, 2
	ds_bpermute_b32 v1, v5, v7
	ds_bpermute_b32 v4, v5, v2
	ds_bpermute_b32 v5, v5, v3
	v_add_u32_e32 v11, 2, v8
	v_cmp_lt_u32_e32 vcc, v11, v10
	s_and_saveexec_b64 s[2:3], vcc
	s_cbranch_execz .LBB309_72
; %bb.71:
	s_waitcnt lgkmcnt(2)
	v_and_b32_e32 v11, 1, v1
	s_waitcnt lgkmcnt(0)
	v_cmp_lt_i64_e32 vcc, v[4:5], v[2:3]
	v_cmp_eq_u32_e64 s[0:1], 1, v11
	v_and_b32_e32 v7, 1, v9
	s_and_b64 vcc, s[0:1], vcc
	v_cndmask_b32_e64 v9, v9, 1, s[0:1]
	v_cndmask_b32_e32 v2, v2, v4, vcc
	v_cndmask_b32_e32 v3, v3, v5, vcc
	v_cmp_eq_u32_e32 vcc, 1, v7
	v_cndmask_b32_e32 v9, v1, v9, vcc
	v_cndmask_b32_e32 v3, v5, v3, vcc
	v_cndmask_b32_e32 v2, v4, v2, vcc
	v_and_b32_e32 v7, 0xff, v9
.LBB309_72:
	s_or_b64 exec, exec, s[2:3]
	v_cmp_gt_u32_e32 vcc, 60, v8
	s_waitcnt lgkmcnt(2)
	v_cndmask_b32_e64 v1, 0, 1, vcc
	v_lshlrev_b32_e32 v1, 2, v1
	s_waitcnt lgkmcnt(0)
	v_add_lshl_u32 v5, v1, v6, 2
	ds_bpermute_b32 v1, v5, v7
	ds_bpermute_b32 v4, v5, v2
	ds_bpermute_b32 v5, v5, v3
	v_add_u32_e32 v11, 4, v8
	v_cmp_lt_u32_e32 vcc, v11, v10
	s_and_saveexec_b64 s[2:3], vcc
	s_cbranch_execz .LBB309_74
; %bb.73:
	s_waitcnt lgkmcnt(2)
	v_and_b32_e32 v11, 1, v1
	s_waitcnt lgkmcnt(0)
	v_cmp_lt_i64_e32 vcc, v[4:5], v[2:3]
	v_cmp_eq_u32_e64 s[0:1], 1, v11
	v_and_b32_e32 v7, 1, v9
	s_and_b64 vcc, s[0:1], vcc
	v_cndmask_b32_e64 v9, v9, 1, s[0:1]
	v_cndmask_b32_e32 v2, v2, v4, vcc
	v_cndmask_b32_e32 v3, v3, v5, vcc
	v_cmp_eq_u32_e32 vcc, 1, v7
	v_cndmask_b32_e32 v9, v1, v9, vcc
	v_cndmask_b32_e32 v3, v5, v3, vcc
	v_cndmask_b32_e32 v2, v4, v2, vcc
	v_and_b32_e32 v7, 0xff, v9
.LBB309_74:
	s_or_b64 exec, exec, s[2:3]
	v_cmp_gt_u32_e32 vcc, 56, v8
	s_waitcnt lgkmcnt(2)
	;; [unrolled: 31-line block ×4, first 2 shown]
	v_cndmask_b32_e64 v1, 0, 1, vcc
	v_lshlrev_b32_e32 v1, 5, v1
	s_waitcnt lgkmcnt(0)
	v_add_lshl_u32 v5, v1, v6, 2
	ds_bpermute_b32 v1, v5, v7
	ds_bpermute_b32 v4, v5, v2
	;; [unrolled: 1-line block ×3, first 2 shown]
	v_add_u32_e32 v8, 32, v8
	v_cmp_lt_u32_e32 vcc, v8, v10
	s_and_saveexec_b64 s[2:3], vcc
	s_cbranch_execz .LBB309_80
; %bb.79:
	s_waitcnt lgkmcnt(2)
	v_and_b32_e32 v8, 1, v1
	s_waitcnt lgkmcnt(0)
	v_cmp_lt_i64_e32 vcc, v[4:5], v[2:3]
	v_cmp_eq_u32_e64 s[0:1], 1, v8
	v_and_b32_e32 v7, 1, v9
	s_and_b64 vcc, s[0:1], vcc
	v_cndmask_b32_e64 v8, v9, 1, s[0:1]
	v_cndmask_b32_e32 v2, v2, v4, vcc
	v_cndmask_b32_e32 v3, v3, v5, vcc
	v_cmp_eq_u32_e32 vcc, 1, v7
	v_cndmask_b32_e32 v9, v1, v8, vcc
	v_cndmask_b32_e32 v3, v5, v3, vcc
	;; [unrolled: 1-line block ×3, first 2 shown]
	v_and_b32_e32 v7, 0xff, v9
.LBB309_80:
	s_or_b64 exec, exec, s[2:3]
	v_cmp_eq_u32_e32 vcc, 0, v6
	s_and_saveexec_b64 s[0:1], vcc
	s_cbranch_execz .LBB309_82
; %bb.81:
	s_waitcnt lgkmcnt(2)
	v_lshrrev_b32_e32 v1, 2, v0
	v_and_b32_e32 v1, 48, v1
	ds_write_b8 v1, v9 offset:256
	ds_write_b64 v1, v[2:3] offset:264
.LBB309_82:
	s_or_b64 exec, exec, s[0:1]
	v_cmp_gt_u32_e32 vcc, 4, v0
	s_waitcnt lgkmcnt(0)
	s_barrier
	s_and_saveexec_b64 s[2:3], vcc
	s_cbranch_execz .LBB309_88
; %bb.83:
	v_lshlrev_b32_e32 v2, 4, v6
	ds_read_u8 v1, v2 offset:256
	ds_read_b64 v[2:3], v2 offset:264
	v_and_b32_e32 v8, 3, v6
	v_cmp_ne_u32_e32 vcc, 3, v8
	v_addc_co_u32_e32 v4, vcc, 0, v6, vcc
	s_waitcnt lgkmcnt(1)
	v_and_b32_e32 v7, 0xff, v1
	v_lshlrev_b32_e32 v5, 2, v4
	ds_bpermute_b32 v9, v5, v7
	s_waitcnt lgkmcnt(1)
	ds_bpermute_b32 v4, v5, v2
	ds_bpermute_b32 v5, v5, v3
	s_add_i32 s8, s8, 63
	s_lshr_b32 s10, s8, 6
	v_add_u32_e32 v10, 1, v8
	v_cmp_gt_u32_e32 vcc, s10, v10
	s_and_saveexec_b64 s[8:9], vcc
	s_cbranch_execz .LBB309_85
; %bb.84:
	s_waitcnt lgkmcnt(2)
	v_and_b32_e32 v10, 1, v9
	s_waitcnt lgkmcnt(0)
	v_cmp_lt_i64_e32 vcc, v[4:5], v[2:3]
	v_cmp_eq_u32_e64 s[0:1], 1, v10
	v_and_b32_e32 v7, 1, v1
	s_and_b64 vcc, s[0:1], vcc
	v_cndmask_b32_e64 v1, v1, 1, s[0:1]
	v_cndmask_b32_e32 v2, v2, v4, vcc
	v_cndmask_b32_e32 v3, v3, v5, vcc
	v_cmp_eq_u32_e32 vcc, 1, v7
	v_cndmask_b32_e32 v1, v9, v1, vcc
	v_cndmask_b32_e32 v3, v5, v3, vcc
	;; [unrolled: 1-line block ×3, first 2 shown]
	v_and_b32_e32 v7, 0xff, v1
.LBB309_85:
	s_or_b64 exec, exec, s[8:9]
	v_cmp_gt_u32_e32 vcc, 2, v8
	s_waitcnt lgkmcnt(1)
	v_cndmask_b32_e64 v4, 0, 1, vcc
	v_lshlrev_b32_e32 v4, 1, v4
	s_waitcnt lgkmcnt(0)
	v_add_lshl_u32 v5, v4, v6, 2
	ds_bpermute_b32 v6, v5, v7
	ds_bpermute_b32 v4, v5, v2
	ds_bpermute_b32 v5, v5, v3
	v_add_u32_e32 v8, 2, v8
	v_cmp_gt_u32_e32 vcc, s10, v8
	s_and_saveexec_b64 s[8:9], vcc
	s_cbranch_execz .LBB309_87
; %bb.86:
	s_waitcnt lgkmcnt(2)
	v_and_b32_e32 v8, 1, v6
	s_waitcnt lgkmcnt(0)
	v_cmp_lt_i64_e32 vcc, v[4:5], v[2:3]
	v_cmp_eq_u32_e64 s[0:1], 1, v8
	v_and_b32_e32 v7, 1, v1
	s_and_b64 vcc, s[0:1], vcc
	v_cndmask_b32_e64 v1, v1, 1, s[0:1]
	v_cndmask_b32_e32 v2, v2, v4, vcc
	v_cndmask_b32_e32 v3, v3, v5, vcc
	v_cmp_eq_u32_e32 vcc, 1, v7
	v_cndmask_b32_e32 v1, v6, v1, vcc
	v_cndmask_b32_e32 v3, v5, v3, vcc
	;; [unrolled: 1-line block ×3, first 2 shown]
	v_and_b32_e32 v7, 0xff, v1
.LBB309_87:
	s_or_b64 exec, exec, s[8:9]
.LBB309_88:
	s_or_b64 exec, exec, s[2:3]
.LBB309_89:
	v_cmp_eq_u32_e32 vcc, 0, v0
	s_mov_b64 s[10:11], 0
                                        ; implicit-def: $vgpr4_vgpr5
                                        ; implicit-def: $vgpr1
	s_and_saveexec_b64 s[0:1], vcc
	s_xor_b64 s[8:9], exec, s[0:1]
	s_cbranch_execz .LBB309_93
; %bb.90:
	s_cmp_eq_u64 s[22:23], 0
	s_waitcnt lgkmcnt(0)
	v_pk_mov_b32 v[4:5], s[18:19], s[18:19] op_sel:[0,1]
	v_mov_b32_e32 v1, s33
	s_cbranch_scc1 .LBB309_92
; %bb.91:
	v_and_b32_e32 v1, 1, v7
	s_bitcmp1_b32 s33, 0
	v_mov_b32_e32 v4, s33
	v_cmp_eq_u32_e32 vcc, 1, v1
	v_cmp_gt_i64_e64 s[2:3], s[18:19], v[2:3]
	v_cndmask_b32_e64 v1, v4, 1, vcc
	s_cselect_b64 s[0:1], -1, 0
	v_mov_b32_e32 v4, s18
	s_and_b64 vcc, vcc, s[2:3]
	v_mov_b32_e32 v5, s19
	v_cndmask_b32_e32 v4, v4, v2, vcc
	v_cndmask_b32_e32 v5, v5, v3, vcc
	v_cndmask_b32_e64 v1, v7, v1, s[0:1]
	v_cndmask_b32_e64 v5, v3, v5, s[0:1]
	;; [unrolled: 1-line block ×3, first 2 shown]
.LBB309_92:
	s_mov_b64 s[10:11], exec
.LBB309_93:
	s_or_b64 exec, exec, s[8:9]
	s_and_b64 vcc, exec, s[28:29]
	s_cbranch_vccnz .LBB309_24
.LBB309_94:
	s_branch .LBB309_208
.LBB309_95:
                                        ; implicit-def: $vgpr2_vgpr3
                                        ; implicit-def: $vgpr6
	s_cbranch_execz .LBB309_128
; %bb.96:
	s_sub_i32 s30, s22, s16
	s_waitcnt lgkmcnt(0)
	v_pk_mov_b32 v[4:5], 0, 0
	v_cmp_gt_u32_e32 vcc, s30, v0
	v_mov_b32_e32 v1, 0
	v_pk_mov_b32 v[2:3], v[4:5], v[4:5] op_sel:[0,1]
	v_mov_b32_e32 v10, 0
	s_and_saveexec_b64 s[0:1], vcc
	s_cbranch_execz .LBB309_98
; %bb.97:
	v_lshlrev_b32_e32 v2, 1, v0
	global_load_ushort v6, v2, s[12:13]
	global_load_ushort v7, v2, s[14:15]
	v_mov_b32_e32 v3, s29
	v_add_co_u32_e32 v2, vcc, s28, v0
	v_addc_co_u32_e32 v3, vcc, 0, v3, vcc
	s_waitcnt vmcnt(0)
	v_cmp_ne_u16_e32 vcc, v6, v7
	v_cndmask_b32_e64 v10, 0, 1, vcc
.LBB309_98:
	s_or_b64 exec, exec, s[0:1]
	v_or_b32_e32 v6, 0x100, v0
	v_cmp_gt_u32_e64 s[0:1], s30, v6
	s_and_saveexec_b64 s[2:3], s[0:1]
	s_cbranch_execz .LBB309_100
; %bb.99:
	v_lshlrev_b32_e32 v1, 1, v0
	global_load_ushort v7, v1, s[12:13] offset:512
	global_load_ushort v8, v1, s[14:15] offset:512
	v_mov_b32_e32 v1, s29
	v_add_co_u32_e32 v4, vcc, s28, v6
	v_addc_co_u32_e32 v5, vcc, 0, v1, vcc
	s_waitcnt vmcnt(0)
	v_cmp_ne_u16_e32 vcc, v7, v8
	v_cndmask_b32_e64 v1, 0, 1, vcc
.LBB309_100:
	s_or_b64 exec, exec, s[2:3]
	v_or_b32_e32 v13, 0x200, v0
	v_pk_mov_b32 v[6:7], 0, 0
	v_cmp_gt_u32_e32 vcc, s30, v13
	v_mov_b32_e32 v11, 0
	v_pk_mov_b32 v[8:9], v[6:7], v[6:7] op_sel:[0,1]
	v_mov_b32_e32 v12, 0
	s_and_saveexec_b64 s[8:9], vcc
	s_cbranch_execz .LBB309_102
; %bb.101:
	v_lshlrev_b32_e32 v8, 1, v0
	global_load_ushort v12, v8, s[12:13] offset:1024
	global_load_ushort v14, v8, s[14:15] offset:1024
	v_mov_b32_e32 v9, s29
	v_add_co_u32_e64 v8, s[2:3], s28, v13
	v_addc_co_u32_e64 v9, s[2:3], 0, v9, s[2:3]
	s_waitcnt vmcnt(0)
	v_cmp_ne_u16_e64 s[2:3], v12, v14
	v_cndmask_b32_e64 v12, 0, 1, s[2:3]
.LBB309_102:
	s_or_b64 exec, exec, s[8:9]
	v_or_b32_e32 v13, 0x300, v0
	v_cmp_gt_u32_e64 s[2:3], s30, v13
	s_and_saveexec_b64 s[16:17], s[2:3]
	s_cbranch_execnz .LBB309_247
; %bb.103:
	s_or_b64 exec, exec, s[16:17]
	s_and_saveexec_b64 s[12:13], s[0:1]
	s_cbranch_execnz .LBB309_248
.LBB309_104:
	s_or_b64 exec, exec, s[12:13]
	s_and_saveexec_b64 s[8:9], vcc
	s_cbranch_execnz .LBB309_249
.LBB309_105:
	s_or_b64 exec, exec, s[8:9]
	s_and_saveexec_b64 s[8:9], s[2:3]
	s_cbranch_execz .LBB309_107
.LBB309_106:
	v_and_b32_e32 v4, 1, v11
	v_cmp_lt_i64_e32 vcc, v[6:7], v[2:3]
	v_cmp_eq_u32_e64 s[0:1], 1, v4
	v_and_b32_e32 v1, 1, v10
	s_and_b64 vcc, s[0:1], vcc
	v_cndmask_b32_e64 v4, v10, 1, s[0:1]
	v_cndmask_b32_e32 v2, v2, v6, vcc
	v_cndmask_b32_e32 v3, v3, v7, vcc
	v_cmp_eq_u32_e32 vcc, 1, v1
	v_cndmask_b32_e32 v10, v11, v4, vcc
	v_cndmask_b32_e32 v3, v7, v3, vcc
	;; [unrolled: 1-line block ×3, first 2 shown]
.LBB309_107:
	s_or_b64 exec, exec, s[8:9]
	v_mbcnt_lo_u32_b32 v1, -1, 0
	v_mbcnt_hi_u32_b32 v1, -1, v1
	v_and_b32_e32 v7, 63, v1
	v_cmp_ne_u32_e32 vcc, 63, v7
	v_addc_co_u32_e32 v4, vcc, 0, v1, vcc
	v_and_b32_e32 v6, 0xffff, v10
	v_lshlrev_b32_e32 v5, 2, v4
	ds_bpermute_b32 v11, v5, v6
	ds_bpermute_b32 v4, v5, v2
	;; [unrolled: 1-line block ×3, first 2 shown]
	s_min_u32 s8, s30, 0x100
	v_and_b32_e32 v8, 0xc0, v0
	v_sub_u32_e64 v9, s8, v8 clamp
	v_add_u32_e32 v8, 1, v7
	v_cmp_lt_u32_e32 vcc, v8, v9
	v_mov_b32_e32 v8, v6
	s_and_saveexec_b64 s[0:1], vcc
	s_xor_b64 s[2:3], exec, s[0:1]
	s_cbranch_execz .LBB309_109
; %bb.108:
	v_and_b32_e32 v8, 1, v10
	s_waitcnt lgkmcnt(2)
	v_and_b32_e32 v10, 1, v11
	s_waitcnt lgkmcnt(0)
	v_cmp_lt_i64_e32 vcc, v[4:5], v[2:3]
	v_cmp_eq_u32_e64 s[0:1], 1, v10
	s_and_b64 vcc, s[0:1], vcc
	v_cndmask_b32_e64 v6, v6, 1, s[0:1]
	v_cndmask_b32_e32 v2, v2, v4, vcc
	v_cndmask_b32_e32 v3, v3, v5, vcc
	v_cmp_eq_u32_e32 vcc, 1, v8
	v_cndmask_b32_e32 v8, v11, v6, vcc
	v_cndmask_b32_e32 v3, v5, v3, vcc
	;; [unrolled: 1-line block ×3, first 2 shown]
	v_and_b32_e32 v6, 0xff, v8
.LBB309_109:
	s_or_b64 exec, exec, s[2:3]
	v_cmp_gt_u32_e32 vcc, 62, v7
	s_waitcnt lgkmcnt(1)
	v_cndmask_b32_e64 v4, 0, 1, vcc
	v_lshlrev_b32_e32 v4, 1, v4
	s_waitcnt lgkmcnt(0)
	v_add_lshl_u32 v5, v4, v1, 2
	ds_bpermute_b32 v10, v5, v6
	ds_bpermute_b32 v4, v5, v2
	ds_bpermute_b32 v5, v5, v3
	v_add_u32_e32 v11, 2, v7
	v_cmp_lt_u32_e32 vcc, v11, v9
	s_and_saveexec_b64 s[2:3], vcc
	s_cbranch_execz .LBB309_111
; %bb.110:
	s_waitcnt lgkmcnt(2)
	v_and_b32_e32 v11, 1, v10
	s_waitcnt lgkmcnt(0)
	v_cmp_lt_i64_e32 vcc, v[4:5], v[2:3]
	v_cmp_eq_u32_e64 s[0:1], 1, v11
	v_and_b32_e32 v6, 1, v8
	s_and_b64 vcc, s[0:1], vcc
	v_cndmask_b32_e64 v8, v8, 1, s[0:1]
	v_cndmask_b32_e32 v2, v2, v4, vcc
	v_cndmask_b32_e32 v3, v3, v5, vcc
	v_cmp_eq_u32_e32 vcc, 1, v6
	v_cndmask_b32_e32 v8, v10, v8, vcc
	v_cndmask_b32_e32 v3, v5, v3, vcc
	v_cndmask_b32_e32 v2, v4, v2, vcc
	v_and_b32_e32 v6, 0xff, v8
.LBB309_111:
	s_or_b64 exec, exec, s[2:3]
	v_cmp_gt_u32_e32 vcc, 60, v7
	s_waitcnt lgkmcnt(1)
	v_cndmask_b32_e64 v4, 0, 1, vcc
	v_lshlrev_b32_e32 v4, 2, v4
	s_waitcnt lgkmcnt(0)
	v_add_lshl_u32 v5, v4, v1, 2
	ds_bpermute_b32 v10, v5, v6
	ds_bpermute_b32 v4, v5, v2
	ds_bpermute_b32 v5, v5, v3
	v_add_u32_e32 v11, 4, v7
	v_cmp_lt_u32_e32 vcc, v11, v9
	s_and_saveexec_b64 s[2:3], vcc
	s_cbranch_execz .LBB309_113
; %bb.112:
	s_waitcnt lgkmcnt(2)
	v_and_b32_e32 v11, 1, v10
	s_waitcnt lgkmcnt(0)
	v_cmp_lt_i64_e32 vcc, v[4:5], v[2:3]
	v_cmp_eq_u32_e64 s[0:1], 1, v11
	v_and_b32_e32 v6, 1, v8
	s_and_b64 vcc, s[0:1], vcc
	v_cndmask_b32_e64 v8, v8, 1, s[0:1]
	v_cndmask_b32_e32 v2, v2, v4, vcc
	v_cndmask_b32_e32 v3, v3, v5, vcc
	v_cmp_eq_u32_e32 vcc, 1, v6
	v_cndmask_b32_e32 v8, v10, v8, vcc
	v_cndmask_b32_e32 v3, v5, v3, vcc
	v_cndmask_b32_e32 v2, v4, v2, vcc
	v_and_b32_e32 v6, 0xff, v8
.LBB309_113:
	;; [unrolled: 31-line block ×5, first 2 shown]
	s_or_b64 exec, exec, s[2:3]
	v_cmp_eq_u32_e32 vcc, 0, v1
	s_and_saveexec_b64 s[0:1], vcc
	s_cbranch_execz .LBB309_121
; %bb.120:
	s_waitcnt lgkmcnt(1)
	v_lshrrev_b32_e32 v4, 2, v0
	v_and_b32_e32 v4, 48, v4
	ds_write_b8 v4, v8 offset:256
	ds_write_b64 v4, v[2:3] offset:264
.LBB309_121:
	s_or_b64 exec, exec, s[0:1]
	v_cmp_gt_u32_e32 vcc, 4, v0
	s_waitcnt lgkmcnt(0)
	s_barrier
	s_and_saveexec_b64 s[2:3], vcc
	s_cbranch_execz .LBB309_127
; %bb.122:
	v_lshlrev_b32_e32 v2, 4, v1
	ds_read_u8 v7, v2 offset:256
	ds_read_b64 v[2:3], v2 offset:264
	v_and_b32_e32 v8, 3, v1
	v_cmp_ne_u32_e32 vcc, 3, v8
	v_addc_co_u32_e32 v4, vcc, 0, v1, vcc
	s_waitcnt lgkmcnt(1)
	v_and_b32_e32 v6, 0xff, v7
	v_lshlrev_b32_e32 v5, 2, v4
	ds_bpermute_b32 v9, v5, v6
	s_waitcnt lgkmcnt(1)
	ds_bpermute_b32 v4, v5, v2
	ds_bpermute_b32 v5, v5, v3
	s_add_i32 s8, s8, 63
	s_lshr_b32 s12, s8, 6
	v_add_u32_e32 v10, 1, v8
	v_cmp_gt_u32_e32 vcc, s12, v10
	s_and_saveexec_b64 s[8:9], vcc
	s_cbranch_execz .LBB309_124
; %bb.123:
	s_waitcnt lgkmcnt(2)
	v_and_b32_e32 v10, 1, v9
	s_waitcnt lgkmcnt(0)
	v_cmp_lt_i64_e32 vcc, v[4:5], v[2:3]
	v_cmp_eq_u32_e64 s[0:1], 1, v10
	v_and_b32_e32 v6, 1, v7
	s_and_b64 vcc, s[0:1], vcc
	v_cndmask_b32_e64 v7, v7, 1, s[0:1]
	v_cndmask_b32_e32 v2, v2, v4, vcc
	v_cndmask_b32_e32 v3, v3, v5, vcc
	v_cmp_eq_u32_e32 vcc, 1, v6
	v_cndmask_b32_e32 v7, v9, v7, vcc
	v_cndmask_b32_e32 v3, v5, v3, vcc
	;; [unrolled: 1-line block ×3, first 2 shown]
	v_and_b32_e32 v6, 0xff, v7
.LBB309_124:
	s_or_b64 exec, exec, s[8:9]
	v_cmp_gt_u32_e32 vcc, 2, v8
	s_waitcnt lgkmcnt(1)
	v_cndmask_b32_e64 v4, 0, 1, vcc
	v_lshlrev_b32_e32 v4, 1, v4
	s_waitcnt lgkmcnt(0)
	v_add_lshl_u32 v5, v4, v1, 2
	ds_bpermute_b32 v1, v5, v6
	ds_bpermute_b32 v4, v5, v2
	;; [unrolled: 1-line block ×3, first 2 shown]
	v_add_u32_e32 v8, 2, v8
	v_cmp_gt_u32_e32 vcc, s12, v8
	s_and_saveexec_b64 s[8:9], vcc
	s_cbranch_execz .LBB309_126
; %bb.125:
	s_waitcnt lgkmcnt(2)
	v_and_b32_e32 v8, 1, v1
	s_waitcnt lgkmcnt(0)
	v_cmp_lt_i64_e32 vcc, v[4:5], v[2:3]
	v_cmp_eq_u32_e64 s[0:1], 1, v8
	v_and_b32_e32 v6, 1, v7
	s_and_b64 vcc, s[0:1], vcc
	v_cndmask_b32_e64 v7, v7, 1, s[0:1]
	v_cndmask_b32_e32 v2, v2, v4, vcc
	v_cndmask_b32_e32 v3, v3, v5, vcc
	v_cmp_eq_u32_e32 vcc, 1, v6
	v_cndmask_b32_e32 v1, v1, v7, vcc
	v_cndmask_b32_e32 v3, v5, v3, vcc
	;; [unrolled: 1-line block ×3, first 2 shown]
	v_and_b32_e32 v6, 0xff, v1
.LBB309_126:
	s_or_b64 exec, exec, s[8:9]
.LBB309_127:
	s_or_b64 exec, exec, s[2:3]
.LBB309_128:
	v_cmp_eq_u32_e32 vcc, 0, v0
                                        ; implicit-def: $vgpr4_vgpr5
                                        ; implicit-def: $vgpr1
	s_and_saveexec_b64 s[0:1], vcc
	s_xor_b64 s[8:9], exec, s[0:1]
	s_cbranch_execz .LBB309_132
; %bb.129:
	s_cmp_eq_u64 s[22:23], 0
	s_waitcnt lgkmcnt(0)
	v_pk_mov_b32 v[4:5], s[18:19], s[18:19] op_sel:[0,1]
	v_mov_b32_e32 v1, s33
	s_cbranch_scc1 .LBB309_131
; %bb.130:
	v_and_b32_e32 v1, 1, v6
	s_bitcmp1_b32 s33, 0
	v_mov_b32_e32 v4, s33
	v_cmp_eq_u32_e32 vcc, 1, v1
	v_cmp_gt_i64_e64 s[2:3], s[18:19], v[2:3]
	v_cndmask_b32_e64 v1, v4, 1, vcc
	s_cselect_b64 s[0:1], -1, 0
	v_mov_b32_e32 v4, s18
	s_and_b64 vcc, vcc, s[2:3]
	v_mov_b32_e32 v5, s19
	v_cndmask_b32_e32 v4, v4, v2, vcc
	v_cndmask_b32_e32 v5, v5, v3, vcc
	v_cndmask_b32_e64 v1, v6, v1, s[0:1]
	v_cndmask_b32_e64 v5, v3, v5, s[0:1]
	;; [unrolled: 1-line block ×3, first 2 shown]
.LBB309_131:
	s_or_b64 s[10:11], s[10:11], exec
.LBB309_132:
	s_or_b64 exec, exec, s[8:9]
	s_branch .LBB309_208
.LBB309_133:
	s_cmp_gt_i32 s38, 1
	s_cbranch_scc0 .LBB309_153
; %bb.134:
	s_cmp_eq_u32 s38, 2
	s_cbranch_scc0 .LBB309_154
; %bb.135:
	s_mov_b32 s7, 0
	s_lshl_b32 s12, s6, 9
	s_mov_b32 s13, s7
	s_lshr_b64 s[0:1], s[22:23], 9
	s_lshl_b64 s[8:9], s[12:13], 1
	s_add_u32 s2, s24, s8
	s_addc_u32 s3, s25, s9
	s_add_u32 s8, s26, s8
	s_addc_u32 s9, s27, s9
	;; [unrolled: 2-line block ×3, first 2 shown]
	s_cmp_lg_u64 s[0:1], s[6:7]
	s_cbranch_scc0 .LBB309_155
; %bb.136:
	s_waitcnt lgkmcnt(2)
	v_lshlrev_b32_e32 v1, 1, v0
	global_load_ushort v2, v1, s[8:9] offset:512
	global_load_ushort v3, v1, s[8:9]
	s_waitcnt lgkmcnt(1)
	global_load_ushort v4, v1, s[2:3] offset:512
	s_waitcnt lgkmcnt(0)
	global_load_ushort v5, v1, s[2:3]
	v_mov_b32_e32 v1, s17
	v_add_co_u32_e32 v6, vcc, s16, v0
	v_addc_co_u32_e32 v1, vcc, 0, v1, vcc
	v_add_co_u32_e32 v7, vcc, 0x100, v6
	v_addc_co_u32_e32 v8, vcc, 0, v1, vcc
	s_waitcnt vmcnt(1)
	v_cmp_ne_u16_e32 vcc, v4, v2
	s_waitcnt vmcnt(0)
	v_cmp_ne_u16_e64 s[0:1], v5, v3
	v_cndmask_b32_e64 v3, v8, v1, s[0:1]
	v_cndmask_b32_e64 v2, v7, v6, s[0:1]
	s_or_b64 s[0:1], s[0:1], vcc
	v_cndmask_b32_e64 v1, 0, 1, s[0:1]
	v_mov_b32_dpp v4, v2 quad_perm:[1,0,3,2] row_mask:0xf bank_mask:0xf bound_ctrl:1
	v_mov_b32_dpp v5, v3 quad_perm:[1,0,3,2] row_mask:0xf bank_mask:0xf bound_ctrl:1
	;; [unrolled: 1-line block ×3, first 2 shown]
	v_and_b32_e32 v7, 1, v6
	v_cmp_eq_u32_e32 vcc, 1, v7
	s_and_saveexec_b64 s[14:15], vcc
; %bb.137:
	v_cmp_lt_i64_e32 vcc, v[2:3], v[4:5]
	v_cndmask_b32_e64 v6, v6, 1, s[0:1]
	s_and_b64 vcc, s[0:1], vcc
	v_cndmask_b32_e32 v2, v4, v2, vcc
	v_and_b32_e32 v4, 1, v6
	v_cndmask_b32_e32 v3, v5, v3, vcc
	v_cmp_eq_u32_e32 vcc, 1, v4
	s_andn2_b64 s[0:1], s[0:1], exec
	s_and_b64 s[28:29], vcc, exec
	v_and_b32_e32 v1, 0xff, v6
	s_or_b64 s[0:1], s[0:1], s[28:29]
; %bb.138:
	s_or_b64 exec, exec, s[14:15]
	v_mov_b32_dpp v6, v1 quad_perm:[2,3,0,1] row_mask:0xf bank_mask:0xf bound_ctrl:1
	v_and_b32_e32 v7, 1, v6
	v_mov_b32_dpp v4, v2 quad_perm:[2,3,0,1] row_mask:0xf bank_mask:0xf bound_ctrl:1
	v_mov_b32_dpp v5, v3 quad_perm:[2,3,0,1] row_mask:0xf bank_mask:0xf bound_ctrl:1
	v_cmp_eq_u32_e32 vcc, 1, v7
	s_and_saveexec_b64 s[14:15], vcc
; %bb.139:
	v_cmp_lt_i64_e32 vcc, v[2:3], v[4:5]
	v_cndmask_b32_e64 v6, v6, 1, s[0:1]
	s_and_b64 vcc, s[0:1], vcc
	v_cndmask_b32_e32 v2, v4, v2, vcc
	v_and_b32_e32 v4, 1, v6
	v_cndmask_b32_e32 v3, v5, v3, vcc
	v_cmp_eq_u32_e32 vcc, 1, v4
	s_andn2_b64 s[0:1], s[0:1], exec
	s_and_b64 s[28:29], vcc, exec
	v_and_b32_e32 v1, 0xff, v6
	s_or_b64 s[0:1], s[0:1], s[28:29]
; %bb.140:
	s_or_b64 exec, exec, s[14:15]
	v_mov_b32_dpp v6, v1 row_ror:4 row_mask:0xf bank_mask:0xf bound_ctrl:1
	v_and_b32_e32 v7, 1, v6
	v_mov_b32_dpp v4, v2 row_ror:4 row_mask:0xf bank_mask:0xf bound_ctrl:1
	v_mov_b32_dpp v5, v3 row_ror:4 row_mask:0xf bank_mask:0xf bound_ctrl:1
	v_cmp_eq_u32_e32 vcc, 1, v7
	s_and_saveexec_b64 s[14:15], vcc
; %bb.141:
	v_cmp_lt_i64_e32 vcc, v[2:3], v[4:5]
	v_cndmask_b32_e64 v6, v6, 1, s[0:1]
	s_and_b64 vcc, s[0:1], vcc
	v_cndmask_b32_e32 v2, v4, v2, vcc
	v_and_b32_e32 v4, 1, v6
	v_cndmask_b32_e32 v3, v5, v3, vcc
	v_cmp_eq_u32_e32 vcc, 1, v4
	s_andn2_b64 s[0:1], s[0:1], exec
	s_and_b64 s[28:29], vcc, exec
	v_and_b32_e32 v1, 0xff, v6
	s_or_b64 s[0:1], s[0:1], s[28:29]
; %bb.142:
	s_or_b64 exec, exec, s[14:15]
	v_mov_b32_dpp v6, v1 row_ror:8 row_mask:0xf bank_mask:0xf bound_ctrl:1
	v_and_b32_e32 v7, 1, v6
	v_mov_b32_dpp v4, v2 row_ror:8 row_mask:0xf bank_mask:0xf bound_ctrl:1
	v_mov_b32_dpp v5, v3 row_ror:8 row_mask:0xf bank_mask:0xf bound_ctrl:1
	v_cmp_eq_u32_e32 vcc, 1, v7
	s_and_saveexec_b64 s[14:15], vcc
; %bb.143:
	v_cmp_lt_i64_e32 vcc, v[2:3], v[4:5]
	v_cndmask_b32_e64 v6, v6, 1, s[0:1]
	s_and_b64 vcc, s[0:1], vcc
	v_cndmask_b32_e32 v2, v4, v2, vcc
	v_and_b32_e32 v4, 1, v6
	v_cndmask_b32_e32 v3, v5, v3, vcc
	v_cmp_eq_u32_e32 vcc, 1, v4
	s_andn2_b64 s[0:1], s[0:1], exec
	s_and_b64 s[28:29], vcc, exec
	v_and_b32_e32 v1, 0xff, v6
	s_or_b64 s[0:1], s[0:1], s[28:29]
; %bb.144:
	s_or_b64 exec, exec, s[14:15]
	v_mov_b32_dpp v6, v1 row_bcast:15 row_mask:0xf bank_mask:0xf bound_ctrl:1
	v_and_b32_e32 v7, 1, v6
	v_mov_b32_dpp v4, v2 row_bcast:15 row_mask:0xf bank_mask:0xf bound_ctrl:1
	v_mov_b32_dpp v5, v3 row_bcast:15 row_mask:0xf bank_mask:0xf bound_ctrl:1
	v_cmp_eq_u32_e32 vcc, 1, v7
	s_and_saveexec_b64 s[14:15], vcc
; %bb.145:
	v_cmp_lt_i64_e32 vcc, v[2:3], v[4:5]
	v_cndmask_b32_e64 v6, v6, 1, s[0:1]
	s_and_b64 vcc, s[0:1], vcc
	v_cndmask_b32_e32 v2, v4, v2, vcc
	v_and_b32_e32 v4, 1, v6
	v_cndmask_b32_e32 v3, v5, v3, vcc
	v_cmp_eq_u32_e32 vcc, 1, v4
	s_andn2_b64 s[0:1], s[0:1], exec
	s_and_b64 s[28:29], vcc, exec
	v_and_b32_e32 v1, 0xff, v6
	s_or_b64 s[0:1], s[0:1], s[28:29]
; %bb.146:
	s_or_b64 exec, exec, s[14:15]
	v_mov_b32_dpp v6, v1 row_bcast:31 row_mask:0xf bank_mask:0xf bound_ctrl:1
	v_and_b32_e32 v7, 1, v6
	v_mov_b32_dpp v4, v2 row_bcast:31 row_mask:0xf bank_mask:0xf bound_ctrl:1
	v_mov_b32_dpp v5, v3 row_bcast:31 row_mask:0xf bank_mask:0xf bound_ctrl:1
	v_cmp_eq_u32_e32 vcc, 1, v7
	s_and_saveexec_b64 s[14:15], vcc
; %bb.147:
	v_cmp_lt_i64_e32 vcc, v[2:3], v[4:5]
	v_and_b32_e32 v1, 0xff, v6
	s_and_b64 vcc, s[0:1], vcc
	v_cndmask_b32_e32 v2, v4, v2, vcc
	v_cndmask_b32_e32 v3, v5, v3, vcc
	v_cndmask_b32_e64 v1, v1, 1, s[0:1]
; %bb.148:
	s_or_b64 exec, exec, s[14:15]
	v_mbcnt_lo_u32_b32 v4, -1, 0
	v_mbcnt_hi_u32_b32 v4, -1, v4
	v_bfrev_b32_e32 v5, 0.5
	v_lshl_or_b32 v5, v4, 2, v5
	ds_bpermute_b32 v6, v5, v1
	ds_bpermute_b32 v2, v5, v2
	;; [unrolled: 1-line block ×3, first 2 shown]
	v_cmp_eq_u32_e32 vcc, 0, v4
	s_and_saveexec_b64 s[0:1], vcc
	s_cbranch_execz .LBB309_150
; %bb.149:
	v_lshrrev_b32_e32 v1, 2, v0
	v_and_b32_e32 v1, 48, v1
	s_waitcnt lgkmcnt(2)
	ds_write_b8 v1, v6 offset:64
	s_waitcnt lgkmcnt(1)
	ds_write_b64 v1, v[2:3] offset:72
.LBB309_150:
	s_or_b64 exec, exec, s[0:1]
	v_cmp_gt_u32_e32 vcc, 64, v0
	s_waitcnt lgkmcnt(0)
	s_barrier
	s_and_saveexec_b64 s[14:15], vcc
	s_cbranch_execz .LBB309_152
; %bb.151:
	v_and_b32_e32 v1, 3, v4
	v_lshlrev_b32_e32 v2, 4, v1
	ds_read_u8 v5, v2 offset:64
	ds_read_b64 v[2:3], v2 offset:72
	v_cmp_ne_u32_e32 vcc, 3, v1
	v_addc_co_u32_e32 v6, vcc, 0, v4, vcc
	s_waitcnt lgkmcnt(1)
	v_and_b32_e32 v7, 0xff, v5
	v_lshlrev_b32_e32 v8, 2, v6
	ds_bpermute_b32 v9, v8, v7
	s_waitcnt lgkmcnt(1)
	ds_bpermute_b32 v6, v8, v2
	ds_bpermute_b32 v7, v8, v3
	v_and_b32_e32 v8, 1, v5
	s_waitcnt lgkmcnt(2)
	v_and_b32_e32 v10, 1, v9
	v_cmp_eq_u32_e64 s[0:1], 1, v10
	s_waitcnt lgkmcnt(0)
	v_cmp_lt_i64_e32 vcc, v[6:7], v[2:3]
	s_and_b64 vcc, s[0:1], vcc
	v_cndmask_b32_e64 v5, v5, 1, s[0:1]
	v_cndmask_b32_e32 v2, v2, v6, vcc
	v_cndmask_b32_e32 v3, v3, v7, vcc
	v_cmp_eq_u32_e32 vcc, 1, v8
	v_cndmask_b32_e32 v8, v9, v5, vcc
	v_cndmask_b32_e32 v3, v7, v3, vcc
	;; [unrolled: 1-line block ×3, first 2 shown]
	v_cmp_gt_u32_e32 vcc, 2, v1
	v_cndmask_b32_e64 v1, 0, 1, vcc
	v_lshlrev_b32_e32 v1, 1, v1
	v_and_b32_e32 v5, 0xff, v8
	v_add_lshl_u32 v1, v1, v4, 2
	ds_bpermute_b32 v6, v1, v5
	ds_bpermute_b32 v4, v1, v2
	;; [unrolled: 1-line block ×3, first 2 shown]
	v_and_b32_e32 v1, 1, v8
	s_waitcnt lgkmcnt(2)
	v_and_b32_e32 v7, 1, v6
	v_cmp_eq_u32_e64 s[0:1], 1, v7
	s_waitcnt lgkmcnt(0)
	v_cmp_lt_i64_e32 vcc, v[4:5], v[2:3]
	s_and_b64 vcc, s[0:1], vcc
	v_cndmask_b32_e64 v7, v8, 1, s[0:1]
	v_cndmask_b32_e32 v2, v2, v4, vcc
	v_cndmask_b32_e32 v3, v3, v5, vcc
	v_cmp_eq_u32_e32 vcc, 1, v1
	v_cndmask_b32_e32 v1, v6, v7, vcc
	v_cndmask_b32_e32 v3, v5, v3, vcc
	;; [unrolled: 1-line block ×3, first 2 shown]
	v_and_b32_e32 v6, 0xff, v1
.LBB309_152:
	s_or_b64 exec, exec, s[14:15]
	s_branch .LBB309_183
.LBB309_153:
                                        ; implicit-def: $vgpr4_vgpr5
                                        ; implicit-def: $vgpr1
	s_cbranch_execnz .LBB309_188
	s_branch .LBB309_208
.LBB309_154:
                                        ; implicit-def: $vgpr4_vgpr5
                                        ; implicit-def: $vgpr1
	s_branch .LBB309_208
.LBB309_155:
                                        ; implicit-def: $vgpr2_vgpr3
                                        ; implicit-def: $vgpr6
	s_cbranch_execz .LBB309_183
; %bb.156:
	s_sub_i32 s14, s22, s12
	s_waitcnt lgkmcnt(0)
	v_pk_mov_b32 v[4:5], 0, 0
	v_cmp_gt_u32_e32 vcc, s14, v0
	v_mov_b32_e32 v1, 0
	v_pk_mov_b32 v[2:3], v[4:5], v[4:5] op_sel:[0,1]
	v_mov_b32_e32 v7, 0
	s_and_saveexec_b64 s[0:1], vcc
	s_cbranch_execz .LBB309_158
; %bb.157:
	v_lshlrev_b32_e32 v2, 1, v0
	global_load_ushort v6, v2, s[2:3]
	global_load_ushort v7, v2, s[8:9]
	v_mov_b32_e32 v3, s17
	v_add_co_u32_e32 v2, vcc, s16, v0
	v_addc_co_u32_e32 v3, vcc, 0, v3, vcc
	s_waitcnt vmcnt(0)
	v_cmp_ne_u16_e32 vcc, v6, v7
	v_cndmask_b32_e64 v7, 0, 1, vcc
.LBB309_158:
	s_or_b64 exec, exec, s[0:1]
	v_or_b32_e32 v6, 0x100, v0
	v_cmp_gt_u32_e32 vcc, s14, v6
	s_and_saveexec_b64 s[12:13], vcc
	s_cbranch_execz .LBB309_160
; %bb.159:
	v_lshlrev_b32_e32 v1, 1, v0
	global_load_ushort v8, v1, s[2:3] offset:512
	global_load_ushort v9, v1, s[8:9] offset:512
	v_mov_b32_e32 v1, s17
	v_add_co_u32_e64 v4, s[0:1], s16, v6
	v_addc_co_u32_e64 v5, s[0:1], 0, v1, s[0:1]
	s_waitcnt vmcnt(0)
	v_cmp_ne_u16_e64 s[0:1], v8, v9
	v_cndmask_b32_e64 v1, 0, 1, s[0:1]
.LBB309_160:
	s_or_b64 exec, exec, s[12:13]
	s_and_saveexec_b64 s[2:3], vcc
	s_cbranch_execz .LBB309_162
; %bb.161:
	v_and_b32_e32 v8, 1, v1
	v_cmp_lt_i64_e32 vcc, v[4:5], v[2:3]
	v_cmp_eq_u32_e64 s[0:1], 1, v8
	v_and_b32_e32 v6, 1, v7
	s_and_b64 vcc, s[0:1], vcc
	v_cndmask_b32_e64 v7, v7, 1, s[0:1]
	v_cndmask_b32_e32 v2, v2, v4, vcc
	v_cndmask_b32_e32 v3, v3, v5, vcc
	v_cmp_eq_u32_e32 vcc, 1, v6
	v_cndmask_b32_e32 v7, v1, v7, vcc
	v_cndmask_b32_e32 v3, v5, v3, vcc
	;; [unrolled: 1-line block ×3, first 2 shown]
.LBB309_162:
	s_or_b64 exec, exec, s[2:3]
	v_mbcnt_lo_u32_b32 v1, -1, 0
	v_mbcnt_hi_u32_b32 v1, -1, v1
	v_and_b32_e32 v8, 63, v1
	v_cmp_ne_u32_e32 vcc, 63, v8
	v_addc_co_u32_e32 v4, vcc, 0, v1, vcc
	v_and_b32_e32 v6, 0xffff, v7
	v_lshlrev_b32_e32 v5, 2, v4
	ds_bpermute_b32 v10, v5, v6
	ds_bpermute_b32 v4, v5, v2
	;; [unrolled: 1-line block ×3, first 2 shown]
	s_min_u32 s8, s14, 0x100
	v_and_b32_e32 v9, 0xc0, v0
	v_sub_u32_e64 v9, s8, v9 clamp
	v_add_u32_e32 v11, 1, v8
	v_cmp_lt_u32_e32 vcc, v11, v9
	s_and_saveexec_b64 s[2:3], vcc
	s_cbranch_execz .LBB309_164
; %bb.163:
	s_waitcnt lgkmcnt(2)
	v_and_b32_e32 v11, 1, v10
	s_waitcnt lgkmcnt(0)
	v_cmp_lt_i64_e32 vcc, v[4:5], v[2:3]
	v_cmp_eq_u32_e64 s[0:1], 1, v11
	v_and_b32_e32 v6, 1, v7
	s_and_b64 vcc, s[0:1], vcc
	v_cndmask_b32_e64 v7, v7, 1, s[0:1]
	v_cndmask_b32_e32 v2, v2, v4, vcc
	v_cndmask_b32_e32 v3, v3, v5, vcc
	v_cmp_eq_u32_e32 vcc, 1, v6
	v_cndmask_b32_e32 v7, v10, v7, vcc
	v_cndmask_b32_e32 v3, v5, v3, vcc
	v_cndmask_b32_e32 v2, v4, v2, vcc
	v_and_b32_e32 v6, 0xff, v7
.LBB309_164:
	s_or_b64 exec, exec, s[2:3]
	v_cmp_gt_u32_e32 vcc, 62, v8
	s_waitcnt lgkmcnt(1)
	v_cndmask_b32_e64 v4, 0, 1, vcc
	v_lshlrev_b32_e32 v4, 1, v4
	s_waitcnt lgkmcnt(0)
	v_add_lshl_u32 v5, v4, v1, 2
	ds_bpermute_b32 v10, v5, v6
	ds_bpermute_b32 v4, v5, v2
	ds_bpermute_b32 v5, v5, v3
	v_add_u32_e32 v11, 2, v8
	v_cmp_lt_u32_e32 vcc, v11, v9
	s_and_saveexec_b64 s[2:3], vcc
	s_cbranch_execz .LBB309_166
; %bb.165:
	s_waitcnt lgkmcnt(2)
	v_and_b32_e32 v11, 1, v10
	s_waitcnt lgkmcnt(0)
	v_cmp_lt_i64_e32 vcc, v[4:5], v[2:3]
	v_cmp_eq_u32_e64 s[0:1], 1, v11
	v_and_b32_e32 v6, 1, v7
	s_and_b64 vcc, s[0:1], vcc
	v_cndmask_b32_e64 v7, v7, 1, s[0:1]
	v_cndmask_b32_e32 v2, v2, v4, vcc
	v_cndmask_b32_e32 v3, v3, v5, vcc
	v_cmp_eq_u32_e32 vcc, 1, v6
	v_cndmask_b32_e32 v7, v10, v7, vcc
	v_cndmask_b32_e32 v3, v5, v3, vcc
	v_cndmask_b32_e32 v2, v4, v2, vcc
	v_and_b32_e32 v6, 0xff, v7
.LBB309_166:
	s_or_b64 exec, exec, s[2:3]
	v_cmp_gt_u32_e32 vcc, 60, v8
	s_waitcnt lgkmcnt(1)
	v_cndmask_b32_e64 v4, 0, 1, vcc
	v_lshlrev_b32_e32 v4, 2, v4
	s_waitcnt lgkmcnt(0)
	v_add_lshl_u32 v5, v4, v1, 2
	ds_bpermute_b32 v10, v5, v6
	ds_bpermute_b32 v4, v5, v2
	ds_bpermute_b32 v5, v5, v3
	;; [unrolled: 31-line block ×5, first 2 shown]
	v_add_u32_e32 v8, 32, v8
	v_cmp_lt_u32_e32 vcc, v8, v9
	s_and_saveexec_b64 s[2:3], vcc
	s_cbranch_execz .LBB309_174
; %bb.173:
	s_waitcnt lgkmcnt(2)
	v_and_b32_e32 v8, 1, v10
	s_waitcnt lgkmcnt(0)
	v_cmp_lt_i64_e32 vcc, v[4:5], v[2:3]
	v_cmp_eq_u32_e64 s[0:1], 1, v8
	v_and_b32_e32 v6, 1, v7
	s_and_b64 vcc, s[0:1], vcc
	v_cndmask_b32_e64 v7, v7, 1, s[0:1]
	v_cndmask_b32_e32 v2, v2, v4, vcc
	v_cndmask_b32_e32 v3, v3, v5, vcc
	v_cmp_eq_u32_e32 vcc, 1, v6
	v_cndmask_b32_e32 v7, v10, v7, vcc
	v_cndmask_b32_e32 v3, v5, v3, vcc
	;; [unrolled: 1-line block ×3, first 2 shown]
	v_and_b32_e32 v6, 0xff, v7
.LBB309_174:
	s_or_b64 exec, exec, s[2:3]
	v_cmp_eq_u32_e32 vcc, 0, v1
	s_and_saveexec_b64 s[0:1], vcc
	s_cbranch_execz .LBB309_176
; %bb.175:
	s_waitcnt lgkmcnt(1)
	v_lshrrev_b32_e32 v4, 2, v0
	v_and_b32_e32 v4, 48, v4
	ds_write_b8 v4, v7 offset:256
	ds_write_b64 v4, v[2:3] offset:264
.LBB309_176:
	s_or_b64 exec, exec, s[0:1]
	v_cmp_gt_u32_e32 vcc, 4, v0
	s_waitcnt lgkmcnt(0)
	s_barrier
	s_and_saveexec_b64 s[2:3], vcc
	s_cbranch_execz .LBB309_182
; %bb.177:
	v_lshlrev_b32_e32 v2, 4, v1
	ds_read_u8 v7, v2 offset:256
	ds_read_b64 v[2:3], v2 offset:264
	v_and_b32_e32 v8, 3, v1
	v_cmp_ne_u32_e32 vcc, 3, v8
	v_addc_co_u32_e32 v4, vcc, 0, v1, vcc
	s_waitcnt lgkmcnt(1)
	v_and_b32_e32 v6, 0xff, v7
	v_lshlrev_b32_e32 v5, 2, v4
	ds_bpermute_b32 v9, v5, v6
	s_waitcnt lgkmcnt(1)
	ds_bpermute_b32 v4, v5, v2
	ds_bpermute_b32 v5, v5, v3
	s_add_i32 s8, s8, 63
	s_lshr_b32 s12, s8, 6
	v_add_u32_e32 v10, 1, v8
	v_cmp_gt_u32_e32 vcc, s12, v10
	s_and_saveexec_b64 s[8:9], vcc
	s_cbranch_execz .LBB309_179
; %bb.178:
	s_waitcnt lgkmcnt(2)
	v_and_b32_e32 v10, 1, v9
	s_waitcnt lgkmcnt(0)
	v_cmp_lt_i64_e32 vcc, v[4:5], v[2:3]
	v_cmp_eq_u32_e64 s[0:1], 1, v10
	v_and_b32_e32 v6, 1, v7
	s_and_b64 vcc, s[0:1], vcc
	v_cndmask_b32_e64 v7, v7, 1, s[0:1]
	v_cndmask_b32_e32 v2, v2, v4, vcc
	v_cndmask_b32_e32 v3, v3, v5, vcc
	v_cmp_eq_u32_e32 vcc, 1, v6
	v_cndmask_b32_e32 v7, v9, v7, vcc
	v_cndmask_b32_e32 v3, v5, v3, vcc
	;; [unrolled: 1-line block ×3, first 2 shown]
	v_and_b32_e32 v6, 0xff, v7
.LBB309_179:
	s_or_b64 exec, exec, s[8:9]
	v_cmp_gt_u32_e32 vcc, 2, v8
	s_waitcnt lgkmcnt(1)
	v_cndmask_b32_e64 v4, 0, 1, vcc
	v_lshlrev_b32_e32 v4, 1, v4
	s_waitcnt lgkmcnt(0)
	v_add_lshl_u32 v5, v4, v1, 2
	ds_bpermute_b32 v1, v5, v6
	ds_bpermute_b32 v4, v5, v2
	;; [unrolled: 1-line block ×3, first 2 shown]
	v_add_u32_e32 v8, 2, v8
	v_cmp_gt_u32_e32 vcc, s12, v8
	s_and_saveexec_b64 s[8:9], vcc
	s_cbranch_execz .LBB309_181
; %bb.180:
	s_waitcnt lgkmcnt(2)
	v_and_b32_e32 v8, 1, v1
	s_waitcnt lgkmcnt(0)
	v_cmp_lt_i64_e32 vcc, v[4:5], v[2:3]
	v_cmp_eq_u32_e64 s[0:1], 1, v8
	v_and_b32_e32 v6, 1, v7
	s_and_b64 vcc, s[0:1], vcc
	v_cndmask_b32_e64 v7, v7, 1, s[0:1]
	v_cndmask_b32_e32 v2, v2, v4, vcc
	v_cndmask_b32_e32 v3, v3, v5, vcc
	v_cmp_eq_u32_e32 vcc, 1, v6
	v_cndmask_b32_e32 v1, v1, v7, vcc
	v_cndmask_b32_e32 v3, v5, v3, vcc
	v_cndmask_b32_e32 v2, v4, v2, vcc
	v_and_b32_e32 v6, 0xff, v1
.LBB309_181:
	s_or_b64 exec, exec, s[8:9]
.LBB309_182:
	s_or_b64 exec, exec, s[2:3]
.LBB309_183:
	v_cmp_eq_u32_e32 vcc, 0, v0
                                        ; implicit-def: $vgpr4_vgpr5
                                        ; implicit-def: $vgpr1
	s_and_saveexec_b64 s[0:1], vcc
	s_xor_b64 s[8:9], exec, s[0:1]
	s_cbranch_execz .LBB309_187
; %bb.184:
	s_cmp_eq_u64 s[22:23], 0
	s_waitcnt lgkmcnt(0)
	v_pk_mov_b32 v[4:5], s[18:19], s[18:19] op_sel:[0,1]
	v_mov_b32_e32 v1, s33
	s_cbranch_scc1 .LBB309_186
; %bb.185:
	v_and_b32_e32 v1, 1, v6
	s_bitcmp1_b32 s33, 0
	v_mov_b32_e32 v4, s33
	v_cmp_eq_u32_e32 vcc, 1, v1
	v_cmp_gt_i64_e64 s[2:3], s[18:19], v[2:3]
	v_cndmask_b32_e64 v1, v4, 1, vcc
	s_cselect_b64 s[0:1], -1, 0
	v_mov_b32_e32 v4, s18
	s_and_b64 vcc, vcc, s[2:3]
	v_mov_b32_e32 v5, s19
	v_cndmask_b32_e32 v4, v4, v2, vcc
	v_cndmask_b32_e32 v5, v5, v3, vcc
	v_cndmask_b32_e64 v1, v6, v1, s[0:1]
	v_cndmask_b32_e64 v5, v3, v5, s[0:1]
	;; [unrolled: 1-line block ×3, first 2 shown]
.LBB309_186:
	s_or_b64 s[10:11], s[10:11], exec
.LBB309_187:
	s_or_b64 exec, exec, s[8:9]
	s_branch .LBB309_208
.LBB309_188:
	s_cmp_eq_u32 s38, 1
	s_cbranch_scc0 .LBB309_207
; %bb.189:
	s_mov_b32 s3, 0
	s_lshl_b32 s2, s6, 8
	s_mov_b32 s7, s3
	s_lshr_b64 s[0:1], s[22:23], 8
	s_cmp_lg_u64 s[0:1], s[6:7]
	s_cbranch_scc0 .LBB309_211
; %bb.190:
	s_lshl_b64 s[0:1], s[2:3], 1
	s_add_u32 s8, s24, s0
	s_addc_u32 s9, s25, s1
	s_add_u32 s0, s26, s0
	s_waitcnt lgkmcnt(2)
	v_lshlrev_b32_e32 v1, 1, v0
	s_addc_u32 s1, s27, s1
	s_waitcnt lgkmcnt(0)
	global_load_ushort v5, v1, s[8:9]
	global_load_ushort v6, v1, s[0:1]
	s_add_u32 s0, s20, s2
	s_addc_u32 s1, s21, 0
	v_mov_b32_e32 v1, s1
	v_add_co_u32_e32 v2, vcc, s0, v0
	v_addc_co_u32_e32 v3, vcc, 0, v1, vcc
	s_nop 0
	v_mov_b32_dpp v4, v2 quad_perm:[1,0,3,2] row_mask:0xf bank_mask:0xf bound_ctrl:1
	s_waitcnt vmcnt(0)
	v_cmp_ne_u16_e32 vcc, v5, v6
	v_cndmask_b32_e64 v1, 0, 1, vcc
	v_cndmask_b32_e64 v6, 0, 1, vcc
	v_mov_b32_dpp v5, v3 quad_perm:[1,0,3,2] row_mask:0xf bank_mask:0xf bound_ctrl:1
	v_mov_b32_dpp v1, v1 quad_perm:[1,0,3,2] row_mask:0xf bank_mask:0xf bound_ctrl:1
	v_and_b32_e32 v7, 1, v1
	v_cmp_eq_u32_e64 s[0:1], 1, v7
	s_and_saveexec_b64 s[8:9], s[0:1]
; %bb.191:
	v_cmp_lt_i64_e64 s[0:1], v[2:3], v[4:5]
	v_cndmask_b32_e64 v6, v1, 1, vcc
	s_and_b64 vcc, vcc, s[0:1]
	v_cndmask_b32_e32 v3, v5, v3, vcc
	v_cndmask_b32_e32 v2, v4, v2, vcc
; %bb.192:
	s_or_b64 exec, exec, s[8:9]
	v_and_b32_e32 v1, 0xff, v6
	v_and_b32_e32 v6, 1, v6
	v_mov_b32_dpp v4, v2 quad_perm:[2,3,0,1] row_mask:0xf bank_mask:0xf bound_ctrl:1
	v_mov_b32_dpp v7, v1 quad_perm:[2,3,0,1] row_mask:0xf bank_mask:0xf bound_ctrl:1
	v_and_b32_e32 v8, 1, v7
	v_mov_b32_dpp v5, v3 quad_perm:[2,3,0,1] row_mask:0xf bank_mask:0xf bound_ctrl:1
	v_cmp_eq_u32_e32 vcc, 1, v8
	v_cmp_eq_u32_e64 s[0:1], 1, v6
	s_and_saveexec_b64 s[8:9], vcc
; %bb.193:
	v_cmp_lt_i64_e32 vcc, v[2:3], v[4:5]
	v_cndmask_b32_e64 v6, v7, 1, s[0:1]
	s_and_b64 vcc, s[0:1], vcc
	v_cndmask_b32_e32 v2, v4, v2, vcc
	v_and_b32_e32 v4, 1, v6
	v_cndmask_b32_e32 v3, v5, v3, vcc
	v_cmp_eq_u32_e32 vcc, 1, v4
	s_andn2_b64 s[0:1], s[0:1], exec
	s_and_b64 s[12:13], vcc, exec
	v_and_b32_e32 v1, 0xff, v6
	s_or_b64 s[0:1], s[0:1], s[12:13]
; %bb.194:
	s_or_b64 exec, exec, s[8:9]
	v_mov_b32_dpp v6, v1 row_ror:4 row_mask:0xf bank_mask:0xf bound_ctrl:1
	v_and_b32_e32 v7, 1, v6
	v_mov_b32_dpp v4, v2 row_ror:4 row_mask:0xf bank_mask:0xf bound_ctrl:1
	v_mov_b32_dpp v5, v3 row_ror:4 row_mask:0xf bank_mask:0xf bound_ctrl:1
	v_cmp_eq_u32_e32 vcc, 1, v7
	s_and_saveexec_b64 s[8:9], vcc
; %bb.195:
	v_cmp_lt_i64_e32 vcc, v[2:3], v[4:5]
	v_cndmask_b32_e64 v6, v6, 1, s[0:1]
	s_and_b64 vcc, s[0:1], vcc
	v_cndmask_b32_e32 v2, v4, v2, vcc
	v_and_b32_e32 v4, 1, v6
	v_cndmask_b32_e32 v3, v5, v3, vcc
	v_cmp_eq_u32_e32 vcc, 1, v4
	s_andn2_b64 s[0:1], s[0:1], exec
	s_and_b64 s[12:13], vcc, exec
	v_and_b32_e32 v1, 0xff, v6
	s_or_b64 s[0:1], s[0:1], s[12:13]
; %bb.196:
	s_or_b64 exec, exec, s[8:9]
	v_mov_b32_dpp v6, v1 row_ror:8 row_mask:0xf bank_mask:0xf bound_ctrl:1
	v_and_b32_e32 v7, 1, v6
	v_mov_b32_dpp v4, v2 row_ror:8 row_mask:0xf bank_mask:0xf bound_ctrl:1
	v_mov_b32_dpp v5, v3 row_ror:8 row_mask:0xf bank_mask:0xf bound_ctrl:1
	v_cmp_eq_u32_e32 vcc, 1, v7
	s_and_saveexec_b64 s[8:9], vcc
; %bb.197:
	v_cmp_lt_i64_e32 vcc, v[2:3], v[4:5]
	v_cndmask_b32_e64 v6, v6, 1, s[0:1]
	s_and_b64 vcc, s[0:1], vcc
	v_cndmask_b32_e32 v2, v4, v2, vcc
	v_and_b32_e32 v4, 1, v6
	v_cndmask_b32_e32 v3, v5, v3, vcc
	v_cmp_eq_u32_e32 vcc, 1, v4
	s_andn2_b64 s[0:1], s[0:1], exec
	s_and_b64 s[12:13], vcc, exec
	v_and_b32_e32 v1, 0xff, v6
	s_or_b64 s[0:1], s[0:1], s[12:13]
; %bb.198:
	s_or_b64 exec, exec, s[8:9]
	v_mov_b32_dpp v6, v1 row_bcast:15 row_mask:0xf bank_mask:0xf bound_ctrl:1
	v_and_b32_e32 v7, 1, v6
	v_mov_b32_dpp v4, v2 row_bcast:15 row_mask:0xf bank_mask:0xf bound_ctrl:1
	v_mov_b32_dpp v5, v3 row_bcast:15 row_mask:0xf bank_mask:0xf bound_ctrl:1
	v_cmp_eq_u32_e32 vcc, 1, v7
	s_and_saveexec_b64 s[8:9], vcc
; %bb.199:
	v_cmp_lt_i64_e32 vcc, v[2:3], v[4:5]
	v_cndmask_b32_e64 v6, v6, 1, s[0:1]
	s_and_b64 vcc, s[0:1], vcc
	v_cndmask_b32_e32 v2, v4, v2, vcc
	v_and_b32_e32 v4, 1, v6
	v_cndmask_b32_e32 v3, v5, v3, vcc
	v_cmp_eq_u32_e32 vcc, 1, v4
	s_andn2_b64 s[0:1], s[0:1], exec
	s_and_b64 s[12:13], vcc, exec
	v_and_b32_e32 v1, 0xff, v6
	s_or_b64 s[0:1], s[0:1], s[12:13]
; %bb.200:
	s_or_b64 exec, exec, s[8:9]
	v_mov_b32_dpp v6, v1 row_bcast:31 row_mask:0xf bank_mask:0xf bound_ctrl:1
	v_and_b32_e32 v7, 1, v6
	v_mov_b32_dpp v4, v2 row_bcast:31 row_mask:0xf bank_mask:0xf bound_ctrl:1
	v_mov_b32_dpp v5, v3 row_bcast:31 row_mask:0xf bank_mask:0xf bound_ctrl:1
	v_cmp_eq_u32_e32 vcc, 1, v7
	s_and_saveexec_b64 s[8:9], vcc
; %bb.201:
	v_cmp_lt_i64_e32 vcc, v[2:3], v[4:5]
	v_and_b32_e32 v1, 0xff, v6
	s_and_b64 vcc, s[0:1], vcc
	v_cndmask_b32_e32 v2, v4, v2, vcc
	v_cndmask_b32_e32 v3, v5, v3, vcc
	v_cndmask_b32_e64 v1, v1, 1, s[0:1]
; %bb.202:
	s_or_b64 exec, exec, s[8:9]
	v_mbcnt_lo_u32_b32 v4, -1, 0
	v_mbcnt_hi_u32_b32 v4, -1, v4
	v_bfrev_b32_e32 v5, 0.5
	v_lshl_or_b32 v5, v4, 2, v5
	ds_bpermute_b32 v6, v5, v1
	ds_bpermute_b32 v2, v5, v2
	;; [unrolled: 1-line block ×3, first 2 shown]
	v_cmp_eq_u32_e32 vcc, 0, v4
	s_and_saveexec_b64 s[0:1], vcc
	s_cbranch_execz .LBB309_204
; %bb.203:
	v_lshrrev_b32_e32 v1, 2, v0
	v_and_b32_e32 v1, 48, v1
	s_waitcnt lgkmcnt(2)
	ds_write_b8 v1, v6
	s_waitcnt lgkmcnt(1)
	ds_write_b64 v1, v[2:3] offset:8
.LBB309_204:
	s_or_b64 exec, exec, s[0:1]
	v_cmp_gt_u32_e32 vcc, 64, v0
	s_waitcnt lgkmcnt(0)
	s_barrier
	s_and_saveexec_b64 s[8:9], vcc
	s_cbranch_execz .LBB309_206
; %bb.205:
	v_and_b32_e32 v1, 3, v4
	v_lshlrev_b32_e32 v2, 4, v1
	ds_read_u8 v5, v2
	ds_read_b64 v[2:3], v2 offset:8
	v_cmp_ne_u32_e32 vcc, 3, v1
	v_addc_co_u32_e32 v6, vcc, 0, v4, vcc
	s_waitcnt lgkmcnt(1)
	v_and_b32_e32 v7, 0xff, v5
	v_lshlrev_b32_e32 v8, 2, v6
	ds_bpermute_b32 v9, v8, v7
	s_waitcnt lgkmcnt(1)
	ds_bpermute_b32 v6, v8, v2
	ds_bpermute_b32 v7, v8, v3
	v_and_b32_e32 v8, 1, v5
	s_waitcnt lgkmcnt(2)
	v_and_b32_e32 v10, 1, v9
	v_cmp_eq_u32_e64 s[0:1], 1, v10
	s_waitcnt lgkmcnt(0)
	v_cmp_lt_i64_e32 vcc, v[6:7], v[2:3]
	s_and_b64 vcc, s[0:1], vcc
	v_cndmask_b32_e64 v5, v5, 1, s[0:1]
	v_cndmask_b32_e32 v2, v2, v6, vcc
	v_cndmask_b32_e32 v3, v3, v7, vcc
	v_cmp_eq_u32_e32 vcc, 1, v8
	v_cndmask_b32_e32 v8, v9, v5, vcc
	v_cndmask_b32_e32 v3, v7, v3, vcc
	;; [unrolled: 1-line block ×3, first 2 shown]
	v_cmp_gt_u32_e32 vcc, 2, v1
	v_cndmask_b32_e64 v1, 0, 1, vcc
	v_lshlrev_b32_e32 v1, 1, v1
	v_and_b32_e32 v5, 0xff, v8
	v_add_lshl_u32 v1, v1, v4, 2
	ds_bpermute_b32 v6, v1, v5
	ds_bpermute_b32 v4, v1, v2
	;; [unrolled: 1-line block ×3, first 2 shown]
	v_and_b32_e32 v1, 1, v8
	s_waitcnt lgkmcnt(2)
	v_and_b32_e32 v7, 1, v6
	v_cmp_eq_u32_e64 s[0:1], 1, v7
	s_waitcnt lgkmcnt(0)
	v_cmp_lt_i64_e32 vcc, v[4:5], v[2:3]
	s_and_b64 vcc, s[0:1], vcc
	v_cndmask_b32_e64 v7, v8, 1, s[0:1]
	v_cndmask_b32_e32 v2, v2, v4, vcc
	v_cndmask_b32_e32 v3, v3, v5, vcc
	v_cmp_eq_u32_e32 vcc, 1, v1
	v_cndmask_b32_e32 v1, v6, v7, vcc
	v_cndmask_b32_e32 v3, v5, v3, vcc
	;; [unrolled: 1-line block ×3, first 2 shown]
	v_and_b32_e32 v6, 0xff, v1
.LBB309_206:
	s_or_b64 exec, exec, s[8:9]
	s_branch .LBB309_235
.LBB309_207:
                                        ; implicit-def: $vgpr4_vgpr5
                                        ; implicit-def: $vgpr1
                                        ; implicit-def: $sgpr6_sgpr7
.LBB309_208:
	s_and_saveexec_b64 s[0:1], s[10:11]
	s_cbranch_execz .LBB309_210
.LBB309_209:
	s_load_dwordx2 s[0:1], s[4:5], 0x38
	s_lshl_b64 s[2:3], s[6:7], 4
	v_mov_b32_e32 v0, 0
	s_waitcnt lgkmcnt(0)
	s_add_u32 s0, s0, s2
	s_addc_u32 s1, s1, s3
	global_store_byte v0, v1, s[0:1]
	global_store_dwordx2 v0, v[4:5], s[0:1] offset:8
.LBB309_210:
	s_endpgm
.LBB309_211:
                                        ; implicit-def: $vgpr2_vgpr3
                                        ; implicit-def: $vgpr6
	s_cbranch_execz .LBB309_235
; %bb.212:
	s_sub_i32 s8, s22, s2
	v_cmp_gt_u32_e32 vcc, s8, v0
	v_pk_mov_b32 v[2:3], 0, 0
	v_mov_b32_e32 v7, 0
	s_and_saveexec_b64 s[0:1], vcc
	s_cbranch_execz .LBB309_214
; %bb.213:
	s_lshl_b64 s[12:13], s[2:3], 1
	s_add_u32 s14, s26, s12
	s_addc_u32 s15, s27, s13
	s_add_u32 s12, s24, s12
	s_addc_u32 s13, s25, s13
	s_waitcnt lgkmcnt(2)
	v_lshlrev_b32_e32 v1, 1, v0
	s_waitcnt lgkmcnt(1)
	global_load_ushort v4, v1, s[12:13]
	s_waitcnt lgkmcnt(0)
	global_load_ushort v5, v1, s[14:15]
	s_add_u32 s2, s20, s2
	s_addc_u32 s3, s21, 0
	v_mov_b32_e32 v1, s3
	v_add_co_u32_e32 v2, vcc, s2, v0
	v_addc_co_u32_e32 v3, vcc, 0, v1, vcc
	s_waitcnt vmcnt(0)
	v_cmp_ne_u16_e32 vcc, v4, v5
	v_cndmask_b32_e64 v7, 0, 1, vcc
.LBB309_214:
	s_or_b64 exec, exec, s[0:1]
	s_waitcnt lgkmcnt(2)
	v_mbcnt_lo_u32_b32 v1, -1, 0
	v_mbcnt_hi_u32_b32 v1, -1, v1
	v_and_b32_e32 v8, 63, v1
	v_cmp_ne_u32_e32 vcc, 63, v8
	s_waitcnt lgkmcnt(1)
	v_addc_co_u32_e32 v4, vcc, 0, v1, vcc
	v_and_b32_e32 v6, 0xffff, v7
	s_waitcnt lgkmcnt(0)
	v_lshlrev_b32_e32 v5, 2, v4
	ds_bpermute_b32 v10, v5, v6
	ds_bpermute_b32 v4, v5, v2
	;; [unrolled: 1-line block ×3, first 2 shown]
	s_min_u32 s8, s8, 0x100
	v_and_b32_e32 v9, 0xc0, v0
	v_sub_u32_e64 v9, s8, v9 clamp
	v_add_u32_e32 v11, 1, v8
	v_cmp_lt_u32_e32 vcc, v11, v9
	s_and_saveexec_b64 s[2:3], vcc
	s_cbranch_execz .LBB309_216
; %bb.215:
	s_waitcnt lgkmcnt(2)
	v_and_b32_e32 v11, 1, v10
	s_waitcnt lgkmcnt(0)
	v_cmp_lt_i64_e32 vcc, v[4:5], v[2:3]
	v_cmp_eq_u32_e64 s[0:1], 1, v11
	v_and_b32_e32 v6, 1, v7
	s_and_b64 vcc, s[0:1], vcc
	v_cndmask_b32_e64 v7, v7, 1, s[0:1]
	v_cndmask_b32_e32 v2, v2, v4, vcc
	v_cndmask_b32_e32 v3, v3, v5, vcc
	v_cmp_eq_u32_e32 vcc, 1, v6
	v_cndmask_b32_e32 v7, v10, v7, vcc
	v_cndmask_b32_e32 v3, v5, v3, vcc
	v_cndmask_b32_e32 v2, v4, v2, vcc
	v_and_b32_e32 v6, 0xff, v7
.LBB309_216:
	s_or_b64 exec, exec, s[2:3]
	v_cmp_gt_u32_e32 vcc, 62, v8
	s_waitcnt lgkmcnt(1)
	v_cndmask_b32_e64 v4, 0, 1, vcc
	v_lshlrev_b32_e32 v4, 1, v4
	s_waitcnt lgkmcnt(0)
	v_add_lshl_u32 v5, v4, v1, 2
	ds_bpermute_b32 v10, v5, v6
	ds_bpermute_b32 v4, v5, v2
	ds_bpermute_b32 v5, v5, v3
	v_add_u32_e32 v11, 2, v8
	v_cmp_lt_u32_e32 vcc, v11, v9
	s_and_saveexec_b64 s[2:3], vcc
	s_cbranch_execz .LBB309_218
; %bb.217:
	s_waitcnt lgkmcnt(2)
	v_and_b32_e32 v11, 1, v10
	s_waitcnt lgkmcnt(0)
	v_cmp_lt_i64_e32 vcc, v[4:5], v[2:3]
	v_cmp_eq_u32_e64 s[0:1], 1, v11
	v_and_b32_e32 v6, 1, v7
	s_and_b64 vcc, s[0:1], vcc
	v_cndmask_b32_e64 v7, v7, 1, s[0:1]
	v_cndmask_b32_e32 v2, v2, v4, vcc
	v_cndmask_b32_e32 v3, v3, v5, vcc
	v_cmp_eq_u32_e32 vcc, 1, v6
	v_cndmask_b32_e32 v7, v10, v7, vcc
	v_cndmask_b32_e32 v3, v5, v3, vcc
	v_cndmask_b32_e32 v2, v4, v2, vcc
	v_and_b32_e32 v6, 0xff, v7
.LBB309_218:
	s_or_b64 exec, exec, s[2:3]
	v_cmp_gt_u32_e32 vcc, 60, v8
	s_waitcnt lgkmcnt(1)
	v_cndmask_b32_e64 v4, 0, 1, vcc
	v_lshlrev_b32_e32 v4, 2, v4
	s_waitcnt lgkmcnt(0)
	v_add_lshl_u32 v5, v4, v1, 2
	ds_bpermute_b32 v10, v5, v6
	ds_bpermute_b32 v4, v5, v2
	ds_bpermute_b32 v5, v5, v3
	;; [unrolled: 31-line block ×5, first 2 shown]
	v_add_u32_e32 v8, 32, v8
	v_cmp_lt_u32_e32 vcc, v8, v9
	s_and_saveexec_b64 s[2:3], vcc
	s_cbranch_execz .LBB309_226
; %bb.225:
	s_waitcnt lgkmcnt(2)
	v_and_b32_e32 v8, 1, v10
	s_waitcnt lgkmcnt(0)
	v_cmp_lt_i64_e32 vcc, v[4:5], v[2:3]
	v_cmp_eq_u32_e64 s[0:1], 1, v8
	v_and_b32_e32 v6, 1, v7
	s_and_b64 vcc, s[0:1], vcc
	v_cndmask_b32_e64 v7, v7, 1, s[0:1]
	v_cndmask_b32_e32 v2, v2, v4, vcc
	v_cndmask_b32_e32 v3, v3, v5, vcc
	v_cmp_eq_u32_e32 vcc, 1, v6
	v_cndmask_b32_e32 v7, v10, v7, vcc
	v_cndmask_b32_e32 v3, v5, v3, vcc
	;; [unrolled: 1-line block ×3, first 2 shown]
	v_and_b32_e32 v6, 0xff, v7
.LBB309_226:
	s_or_b64 exec, exec, s[2:3]
	v_cmp_eq_u32_e32 vcc, 0, v1
	s_and_saveexec_b64 s[0:1], vcc
	s_cbranch_execz .LBB309_228
; %bb.227:
	s_waitcnt lgkmcnt(1)
	v_lshrrev_b32_e32 v4, 2, v0
	v_and_b32_e32 v4, 48, v4
	ds_write_b8 v4, v7 offset:256
	ds_write_b64 v4, v[2:3] offset:264
.LBB309_228:
	s_or_b64 exec, exec, s[0:1]
	v_cmp_gt_u32_e32 vcc, 4, v0
	s_waitcnt lgkmcnt(0)
	s_barrier
	s_and_saveexec_b64 s[2:3], vcc
	s_cbranch_execz .LBB309_234
; %bb.229:
	v_lshlrev_b32_e32 v2, 4, v1
	ds_read_u8 v7, v2 offset:256
	ds_read_b64 v[2:3], v2 offset:264
	v_and_b32_e32 v8, 3, v1
	v_cmp_ne_u32_e32 vcc, 3, v8
	v_addc_co_u32_e32 v4, vcc, 0, v1, vcc
	s_waitcnt lgkmcnt(1)
	v_and_b32_e32 v6, 0xff, v7
	v_lshlrev_b32_e32 v5, 2, v4
	ds_bpermute_b32 v9, v5, v6
	s_waitcnt lgkmcnt(1)
	ds_bpermute_b32 v4, v5, v2
	ds_bpermute_b32 v5, v5, v3
	s_add_i32 s8, s8, 63
	s_lshr_b32 s12, s8, 6
	v_add_u32_e32 v10, 1, v8
	v_cmp_gt_u32_e32 vcc, s12, v10
	s_and_saveexec_b64 s[8:9], vcc
	s_cbranch_execz .LBB309_231
; %bb.230:
	s_waitcnt lgkmcnt(2)
	v_and_b32_e32 v10, 1, v9
	s_waitcnt lgkmcnt(0)
	v_cmp_lt_i64_e32 vcc, v[4:5], v[2:3]
	v_cmp_eq_u32_e64 s[0:1], 1, v10
	v_and_b32_e32 v6, 1, v7
	s_and_b64 vcc, s[0:1], vcc
	v_cndmask_b32_e64 v7, v7, 1, s[0:1]
	v_cndmask_b32_e32 v2, v2, v4, vcc
	v_cndmask_b32_e32 v3, v3, v5, vcc
	v_cmp_eq_u32_e32 vcc, 1, v6
	v_cndmask_b32_e32 v7, v9, v7, vcc
	v_cndmask_b32_e32 v3, v5, v3, vcc
	;; [unrolled: 1-line block ×3, first 2 shown]
	v_and_b32_e32 v6, 0xff, v7
.LBB309_231:
	s_or_b64 exec, exec, s[8:9]
	v_cmp_gt_u32_e32 vcc, 2, v8
	s_waitcnt lgkmcnt(1)
	v_cndmask_b32_e64 v4, 0, 1, vcc
	v_lshlrev_b32_e32 v4, 1, v4
	s_waitcnt lgkmcnt(0)
	v_add_lshl_u32 v5, v4, v1, 2
	ds_bpermute_b32 v1, v5, v6
	ds_bpermute_b32 v4, v5, v2
	;; [unrolled: 1-line block ×3, first 2 shown]
	v_add_u32_e32 v8, 2, v8
	v_cmp_gt_u32_e32 vcc, s12, v8
	s_and_saveexec_b64 s[8:9], vcc
	s_cbranch_execz .LBB309_233
; %bb.232:
	s_waitcnt lgkmcnt(2)
	v_and_b32_e32 v8, 1, v1
	s_waitcnt lgkmcnt(0)
	v_cmp_lt_i64_e32 vcc, v[4:5], v[2:3]
	v_cmp_eq_u32_e64 s[0:1], 1, v8
	v_and_b32_e32 v6, 1, v7
	s_and_b64 vcc, s[0:1], vcc
	v_cndmask_b32_e64 v7, v7, 1, s[0:1]
	v_cndmask_b32_e32 v2, v2, v4, vcc
	v_cndmask_b32_e32 v3, v3, v5, vcc
	v_cmp_eq_u32_e32 vcc, 1, v6
	v_cndmask_b32_e32 v1, v1, v7, vcc
	v_cndmask_b32_e32 v3, v5, v3, vcc
	v_cndmask_b32_e32 v2, v4, v2, vcc
	v_and_b32_e32 v6, 0xff, v1
.LBB309_233:
	s_or_b64 exec, exec, s[8:9]
.LBB309_234:
	s_or_b64 exec, exec, s[2:3]
.LBB309_235:
	v_cmp_eq_u32_e32 vcc, 0, v0
                                        ; implicit-def: $vgpr4_vgpr5
                                        ; implicit-def: $vgpr1
	s_and_saveexec_b64 s[8:9], vcc
	s_cbranch_execz .LBB309_239
; %bb.236:
	s_cmp_eq_u64 s[22:23], 0
	s_waitcnt lgkmcnt(0)
	v_pk_mov_b32 v[4:5], s[18:19], s[18:19] op_sel:[0,1]
	v_mov_b32_e32 v1, s33
	s_cbranch_scc1 .LBB309_238
; %bb.237:
	v_and_b32_e32 v0, 1, v6
	s_bitcmp1_b32 s33, 0
	v_mov_b32_e32 v1, s33
	v_cmp_eq_u32_e32 vcc, 1, v0
	v_cmp_gt_i64_e64 s[2:3], s[18:19], v[2:3]
	v_cndmask_b32_e64 v0, v1, 1, vcc
	s_cselect_b64 s[0:1], -1, 0
	v_mov_b32_e32 v1, s18
	s_and_b64 vcc, vcc, s[2:3]
	v_cndmask_b32_e32 v4, v1, v2, vcc
	v_mov_b32_e32 v1, s19
	v_cndmask_b32_e32 v5, v1, v3, vcc
	v_cndmask_b32_e64 v1, v6, v0, s[0:1]
	v_cndmask_b32_e64 v5, v3, v5, s[0:1]
	;; [unrolled: 1-line block ×3, first 2 shown]
.LBB309_238:
	s_or_b64 s[10:11], s[10:11], exec
.LBB309_239:
	s_or_b64 exec, exec, s[8:9]
	s_and_saveexec_b64 s[0:1], s[10:11]
	s_cbranch_execnz .LBB309_209
	s_branch .LBB309_210
.LBB309_240:
	v_lshlrev_b32_e32 v10, 1, v0
	global_load_ushort v21, v10, s[30:31] offset:3584
	global_load_ushort v26, v10, s[34:35] offset:3584
	v_mov_b32_e32 v11, s40
	v_add_co_u32_e64 v10, s[16:17], s39, v25
	v_addc_co_u32_e64 v11, s[16:17], 0, v11, s[16:17]
	s_waitcnt vmcnt(0)
	v_cmp_ne_u16_e64 s[16:17], v21, v26
	v_cndmask_b32_e64 v21, 0, 1, s[16:17]
	s_or_b64 exec, exec, s[36:37]
	s_and_saveexec_b64 s[30:31], s[8:9]
	s_cbranch_execz .LBB309_61
.LBB309_241:
	v_and_b32_e32 v26, 1, v18
	v_cmp_lt_i64_e64 s[8:9], v[4:5], v[2:3]
	v_cmp_eq_u32_e64 s[16:17], 1, v26
	v_and_b32_e32 v25, 1, v1
	s_and_b64 s[8:9], s[16:17], s[8:9]
	v_cndmask_b32_e64 v1, v1, 1, s[16:17]
	v_cndmask_b32_e64 v2, v2, v4, s[8:9]
	;; [unrolled: 1-line block ×3, first 2 shown]
	v_cmp_eq_u32_e64 s[8:9], 1, v25
	v_cndmask_b32_e64 v1, v18, v1, s[8:9]
	v_cndmask_b32_e64 v3, v5, v3, s[8:9]
	;; [unrolled: 1-line block ×3, first 2 shown]
	s_or_b64 exec, exec, s[30:31]
	s_and_saveexec_b64 s[16:17], vcc
	s_cbranch_execz .LBB309_62
.LBB309_242:
	v_and_b32_e32 v5, 1, v23
	v_cmp_lt_i64_e32 vcc, v[12:13], v[2:3]
	v_cmp_eq_u32_e64 s[8:9], 1, v5
	v_and_b32_e32 v4, 1, v1
	s_and_b64 vcc, s[8:9], vcc
	v_cndmask_b32_e64 v1, v1, 1, s[8:9]
	v_cndmask_b32_e32 v2, v2, v12, vcc
	v_cndmask_b32_e32 v3, v3, v13, vcc
	v_cmp_eq_u32_e32 vcc, 1, v4
	v_cndmask_b32_e32 v1, v23, v1, vcc
	v_cndmask_b32_e32 v3, v13, v3, vcc
	;; [unrolled: 1-line block ×3, first 2 shown]
	s_or_b64 exec, exec, s[16:17]
	s_and_saveexec_b64 s[16:17], s[10:11]
	s_cbranch_execz .LBB309_63
.LBB309_243:
	v_and_b32_e32 v5, 1, v19
	v_cmp_lt_i64_e32 vcc, v[6:7], v[2:3]
	v_cmp_eq_u32_e64 s[8:9], 1, v5
	v_and_b32_e32 v4, 1, v1
	s_and_b64 vcc, s[8:9], vcc
	v_cndmask_b32_e64 v1, v1, 1, s[8:9]
	v_cndmask_b32_e32 v2, v2, v6, vcc
	v_cndmask_b32_e32 v3, v3, v7, vcc
	v_cmp_eq_u32_e32 vcc, 1, v4
	v_cndmask_b32_e32 v1, v19, v1, vcc
	v_cndmask_b32_e32 v3, v7, v3, vcc
	;; [unrolled: 1-line block ×3, first 2 shown]
	s_or_b64 exec, exec, s[16:17]
	s_and_saveexec_b64 s[8:9], s[0:1]
	s_cbranch_execz .LBB309_64
.LBB309_244:
	v_and_b32_e32 v5, 1, v24
	v_cmp_lt_i64_e32 vcc, v[14:15], v[2:3]
	v_cmp_eq_u32_e64 s[0:1], 1, v5
	v_and_b32_e32 v4, 1, v1
	s_and_b64 vcc, s[0:1], vcc
	v_cndmask_b32_e64 v1, v1, 1, s[0:1]
	v_cndmask_b32_e32 v2, v2, v14, vcc
	v_cndmask_b32_e32 v3, v3, v15, vcc
	v_cmp_eq_u32_e32 vcc, 1, v4
	v_cndmask_b32_e32 v1, v24, v1, vcc
	v_cndmask_b32_e32 v3, v15, v3, vcc
	;; [unrolled: 1-line block ×3, first 2 shown]
	s_or_b64 exec, exec, s[8:9]
	s_and_saveexec_b64 s[8:9], s[12:13]
	s_cbranch_execz .LBB309_65
.LBB309_245:
	v_and_b32_e32 v5, 1, v20
	v_cmp_lt_i64_e32 vcc, v[8:9], v[2:3]
	v_cmp_eq_u32_e64 s[0:1], 1, v5
	v_and_b32_e32 v4, 1, v1
	s_and_b64 vcc, s[0:1], vcc
	v_cndmask_b32_e64 v1, v1, 1, s[0:1]
	v_cndmask_b32_e32 v2, v2, v8, vcc
	v_cndmask_b32_e32 v3, v3, v9, vcc
	v_cmp_eq_u32_e32 vcc, 1, v4
	v_cndmask_b32_e32 v1, v20, v1, vcc
	v_cndmask_b32_e32 v3, v9, v3, vcc
	;; [unrolled: 1-line block ×3, first 2 shown]
	s_or_b64 exec, exec, s[8:9]
	s_and_saveexec_b64 s[8:9], s[2:3]
	s_cbranch_execz .LBB309_66
.LBB309_246:
	v_and_b32_e32 v5, 1, v22
	v_cmp_lt_i64_e32 vcc, v[16:17], v[2:3]
	v_cmp_eq_u32_e64 s[0:1], 1, v5
	v_and_b32_e32 v4, 1, v1
	s_and_b64 vcc, s[0:1], vcc
	v_cndmask_b32_e64 v1, v1, 1, s[0:1]
	v_cndmask_b32_e32 v2, v2, v16, vcc
	v_cndmask_b32_e32 v3, v3, v17, vcc
	v_cmp_eq_u32_e32 vcc, 1, v4
	v_cndmask_b32_e32 v1, v22, v1, vcc
	v_cndmask_b32_e32 v3, v17, v3, vcc
	;; [unrolled: 1-line block ×3, first 2 shown]
	s_or_b64 exec, exec, s[8:9]
	s_and_saveexec_b64 s[2:3], s[14:15]
	s_cbranch_execnz .LBB309_67
	s_branch .LBB309_68
.LBB309_247:
	v_lshlrev_b32_e32 v6, 1, v0
	global_load_ushort v11, v6, s[12:13] offset:1536
	global_load_ushort v14, v6, s[14:15] offset:1536
	v_mov_b32_e32 v7, s29
	v_add_co_u32_e64 v6, s[8:9], s28, v13
	v_addc_co_u32_e64 v7, s[8:9], 0, v7, s[8:9]
	s_waitcnt vmcnt(0)
	v_cmp_ne_u16_e64 s[8:9], v11, v14
	v_cndmask_b32_e64 v11, 0, 1, s[8:9]
	s_or_b64 exec, exec, s[16:17]
	s_and_saveexec_b64 s[12:13], s[0:1]
	s_cbranch_execz .LBB309_104
.LBB309_248:
	v_and_b32_e32 v14, 1, v1
	v_cmp_lt_i64_e64 s[0:1], v[4:5], v[2:3]
	v_cmp_eq_u32_e64 s[8:9], 1, v14
	v_and_b32_e32 v13, 1, v10
	s_and_b64 s[0:1], s[8:9], s[0:1]
	v_cndmask_b32_e64 v10, v10, 1, s[8:9]
	v_cndmask_b32_e64 v2, v2, v4, s[0:1]
	;; [unrolled: 1-line block ×3, first 2 shown]
	v_cmp_eq_u32_e64 s[0:1], 1, v13
	v_cndmask_b32_e64 v10, v1, v10, s[0:1]
	v_cndmask_b32_e64 v3, v5, v3, s[0:1]
	v_cndmask_b32_e64 v2, v4, v2, s[0:1]
	s_or_b64 exec, exec, s[12:13]
	s_and_saveexec_b64 s[8:9], vcc
	s_cbranch_execz .LBB309_105
.LBB309_249:
	v_and_b32_e32 v4, 1, v12
	v_cmp_lt_i64_e32 vcc, v[8:9], v[2:3]
	v_cmp_eq_u32_e64 s[0:1], 1, v4
	v_and_b32_e32 v1, 1, v10
	s_and_b64 vcc, s[0:1], vcc
	v_cndmask_b32_e64 v4, v10, 1, s[0:1]
	v_cndmask_b32_e32 v2, v2, v8, vcc
	v_cndmask_b32_e32 v3, v3, v9, vcc
	v_cmp_eq_u32_e32 vcc, 1, v1
	v_cndmask_b32_e32 v10, v12, v4, vcc
	v_cndmask_b32_e32 v3, v9, v3, vcc
	;; [unrolled: 1-line block ×3, first 2 shown]
	s_or_b64 exec, exec, s[8:9]
	s_and_saveexec_b64 s[8:9], s[2:3]
	s_cbranch_execnz .LBB309_106
	s_branch .LBB309_107
	.section	.rodata,"a",@progbits
	.p2align	6, 0x0
	.amdhsa_kernel _ZN7rocprim17ROCPRIM_400000_NS6detail17trampoline_kernelINS0_14default_configENS1_22reduce_config_selectorIN6thrust23THRUST_200600_302600_NS5tupleIblNS6_9null_typeES8_S8_S8_S8_S8_S8_S8_EEEEZNS1_11reduce_implILb1ES3_NS6_12zip_iteratorINS7_INS6_11hip_rocprim26transform_input_iterator_tIbNSD_35transform_pair_of_input_iterators_tIbNS6_6detail15normal_iteratorINS6_10device_ptrIKsEEEESL_NS6_8equal_toIsEEEENSG_9not_fun_tINSD_8identityEEEEENSD_19counting_iterator_tIlEES8_S8_S8_S8_S8_S8_S8_S8_EEEEPS9_S9_NSD_9__find_if7functorIS9_EEEE10hipError_tPvRmT1_T2_T3_mT4_P12ihipStream_tbEUlT_E1_NS1_11comp_targetILNS1_3genE4ELNS1_11target_archE910ELNS1_3gpuE8ELNS1_3repE0EEENS1_30default_config_static_selectorELNS0_4arch9wavefront6targetE1EEEvS14_
		.amdhsa_group_segment_fixed_size 320
		.amdhsa_private_segment_fixed_size 0
		.amdhsa_kernarg_size 88
		.amdhsa_user_sgpr_count 6
		.amdhsa_user_sgpr_private_segment_buffer 1
		.amdhsa_user_sgpr_dispatch_ptr 0
		.amdhsa_user_sgpr_queue_ptr 0
		.amdhsa_user_sgpr_kernarg_segment_ptr 1
		.amdhsa_user_sgpr_dispatch_id 0
		.amdhsa_user_sgpr_flat_scratch_init 0
		.amdhsa_user_sgpr_kernarg_preload_length 0
		.amdhsa_user_sgpr_kernarg_preload_offset 0
		.amdhsa_user_sgpr_private_segment_size 0
		.amdhsa_uses_dynamic_stack 0
		.amdhsa_system_sgpr_private_segment_wavefront_offset 0
		.amdhsa_system_sgpr_workgroup_id_x 1
		.amdhsa_system_sgpr_workgroup_id_y 0
		.amdhsa_system_sgpr_workgroup_id_z 0
		.amdhsa_system_sgpr_workgroup_info 0
		.amdhsa_system_vgpr_workitem_id 0
		.amdhsa_next_free_vgpr 27
		.amdhsa_next_free_sgpr 42
		.amdhsa_accum_offset 28
		.amdhsa_reserve_vcc 1
		.amdhsa_reserve_flat_scratch 0
		.amdhsa_float_round_mode_32 0
		.amdhsa_float_round_mode_16_64 0
		.amdhsa_float_denorm_mode_32 3
		.amdhsa_float_denorm_mode_16_64 3
		.amdhsa_dx10_clamp 1
		.amdhsa_ieee_mode 1
		.amdhsa_fp16_overflow 0
		.amdhsa_tg_split 0
		.amdhsa_exception_fp_ieee_invalid_op 0
		.amdhsa_exception_fp_denorm_src 0
		.amdhsa_exception_fp_ieee_div_zero 0
		.amdhsa_exception_fp_ieee_overflow 0
		.amdhsa_exception_fp_ieee_underflow 0
		.amdhsa_exception_fp_ieee_inexact 0
		.amdhsa_exception_int_div_zero 0
	.end_amdhsa_kernel
	.section	.text._ZN7rocprim17ROCPRIM_400000_NS6detail17trampoline_kernelINS0_14default_configENS1_22reduce_config_selectorIN6thrust23THRUST_200600_302600_NS5tupleIblNS6_9null_typeES8_S8_S8_S8_S8_S8_S8_EEEEZNS1_11reduce_implILb1ES3_NS6_12zip_iteratorINS7_INS6_11hip_rocprim26transform_input_iterator_tIbNSD_35transform_pair_of_input_iterators_tIbNS6_6detail15normal_iteratorINS6_10device_ptrIKsEEEESL_NS6_8equal_toIsEEEENSG_9not_fun_tINSD_8identityEEEEENSD_19counting_iterator_tIlEES8_S8_S8_S8_S8_S8_S8_S8_EEEEPS9_S9_NSD_9__find_if7functorIS9_EEEE10hipError_tPvRmT1_T2_T3_mT4_P12ihipStream_tbEUlT_E1_NS1_11comp_targetILNS1_3genE4ELNS1_11target_archE910ELNS1_3gpuE8ELNS1_3repE0EEENS1_30default_config_static_selectorELNS0_4arch9wavefront6targetE1EEEvS14_,"axG",@progbits,_ZN7rocprim17ROCPRIM_400000_NS6detail17trampoline_kernelINS0_14default_configENS1_22reduce_config_selectorIN6thrust23THRUST_200600_302600_NS5tupleIblNS6_9null_typeES8_S8_S8_S8_S8_S8_S8_EEEEZNS1_11reduce_implILb1ES3_NS6_12zip_iteratorINS7_INS6_11hip_rocprim26transform_input_iterator_tIbNSD_35transform_pair_of_input_iterators_tIbNS6_6detail15normal_iteratorINS6_10device_ptrIKsEEEESL_NS6_8equal_toIsEEEENSG_9not_fun_tINSD_8identityEEEEENSD_19counting_iterator_tIlEES8_S8_S8_S8_S8_S8_S8_S8_EEEEPS9_S9_NSD_9__find_if7functorIS9_EEEE10hipError_tPvRmT1_T2_T3_mT4_P12ihipStream_tbEUlT_E1_NS1_11comp_targetILNS1_3genE4ELNS1_11target_archE910ELNS1_3gpuE8ELNS1_3repE0EEENS1_30default_config_static_selectorELNS0_4arch9wavefront6targetE1EEEvS14_,comdat
.Lfunc_end309:
	.size	_ZN7rocprim17ROCPRIM_400000_NS6detail17trampoline_kernelINS0_14default_configENS1_22reduce_config_selectorIN6thrust23THRUST_200600_302600_NS5tupleIblNS6_9null_typeES8_S8_S8_S8_S8_S8_S8_EEEEZNS1_11reduce_implILb1ES3_NS6_12zip_iteratorINS7_INS6_11hip_rocprim26transform_input_iterator_tIbNSD_35transform_pair_of_input_iterators_tIbNS6_6detail15normal_iteratorINS6_10device_ptrIKsEEEESL_NS6_8equal_toIsEEEENSG_9not_fun_tINSD_8identityEEEEENSD_19counting_iterator_tIlEES8_S8_S8_S8_S8_S8_S8_S8_EEEEPS9_S9_NSD_9__find_if7functorIS9_EEEE10hipError_tPvRmT1_T2_T3_mT4_P12ihipStream_tbEUlT_E1_NS1_11comp_targetILNS1_3genE4ELNS1_11target_archE910ELNS1_3gpuE8ELNS1_3repE0EEENS1_30default_config_static_selectorELNS0_4arch9wavefront6targetE1EEEvS14_, .Lfunc_end309-_ZN7rocprim17ROCPRIM_400000_NS6detail17trampoline_kernelINS0_14default_configENS1_22reduce_config_selectorIN6thrust23THRUST_200600_302600_NS5tupleIblNS6_9null_typeES8_S8_S8_S8_S8_S8_S8_EEEEZNS1_11reduce_implILb1ES3_NS6_12zip_iteratorINS7_INS6_11hip_rocprim26transform_input_iterator_tIbNSD_35transform_pair_of_input_iterators_tIbNS6_6detail15normal_iteratorINS6_10device_ptrIKsEEEESL_NS6_8equal_toIsEEEENSG_9not_fun_tINSD_8identityEEEEENSD_19counting_iterator_tIlEES8_S8_S8_S8_S8_S8_S8_S8_EEEEPS9_S9_NSD_9__find_if7functorIS9_EEEE10hipError_tPvRmT1_T2_T3_mT4_P12ihipStream_tbEUlT_E1_NS1_11comp_targetILNS1_3genE4ELNS1_11target_archE910ELNS1_3gpuE8ELNS1_3repE0EEENS1_30default_config_static_selectorELNS0_4arch9wavefront6targetE1EEEvS14_
                                        ; -- End function
	.section	.AMDGPU.csdata,"",@progbits
; Kernel info:
; codeLenInByte = 13112
; NumSgprs: 46
; NumVgprs: 27
; NumAgprs: 0
; TotalNumVgprs: 27
; ScratchSize: 0
; MemoryBound: 0
; FloatMode: 240
; IeeeMode: 1
; LDSByteSize: 320 bytes/workgroup (compile time only)
; SGPRBlocks: 5
; VGPRBlocks: 3
; NumSGPRsForWavesPerEU: 46
; NumVGPRsForWavesPerEU: 27
; AccumOffset: 28
; Occupancy: 8
; WaveLimiterHint : 0
; COMPUTE_PGM_RSRC2:SCRATCH_EN: 0
; COMPUTE_PGM_RSRC2:USER_SGPR: 6
; COMPUTE_PGM_RSRC2:TRAP_HANDLER: 0
; COMPUTE_PGM_RSRC2:TGID_X_EN: 1
; COMPUTE_PGM_RSRC2:TGID_Y_EN: 0
; COMPUTE_PGM_RSRC2:TGID_Z_EN: 0
; COMPUTE_PGM_RSRC2:TIDIG_COMP_CNT: 0
; COMPUTE_PGM_RSRC3_GFX90A:ACCUM_OFFSET: 6
; COMPUTE_PGM_RSRC3_GFX90A:TG_SPLIT: 0
	.section	.text._ZN7rocprim17ROCPRIM_400000_NS6detail17trampoline_kernelINS0_14default_configENS1_22reduce_config_selectorIN6thrust23THRUST_200600_302600_NS5tupleIblNS6_9null_typeES8_S8_S8_S8_S8_S8_S8_EEEEZNS1_11reduce_implILb1ES3_NS6_12zip_iteratorINS7_INS6_11hip_rocprim26transform_input_iterator_tIbNSD_35transform_pair_of_input_iterators_tIbNS6_6detail15normal_iteratorINS6_10device_ptrIKsEEEESL_NS6_8equal_toIsEEEENSG_9not_fun_tINSD_8identityEEEEENSD_19counting_iterator_tIlEES8_S8_S8_S8_S8_S8_S8_S8_EEEEPS9_S9_NSD_9__find_if7functorIS9_EEEE10hipError_tPvRmT1_T2_T3_mT4_P12ihipStream_tbEUlT_E1_NS1_11comp_targetILNS1_3genE3ELNS1_11target_archE908ELNS1_3gpuE7ELNS1_3repE0EEENS1_30default_config_static_selectorELNS0_4arch9wavefront6targetE1EEEvS14_,"axG",@progbits,_ZN7rocprim17ROCPRIM_400000_NS6detail17trampoline_kernelINS0_14default_configENS1_22reduce_config_selectorIN6thrust23THRUST_200600_302600_NS5tupleIblNS6_9null_typeES8_S8_S8_S8_S8_S8_S8_EEEEZNS1_11reduce_implILb1ES3_NS6_12zip_iteratorINS7_INS6_11hip_rocprim26transform_input_iterator_tIbNSD_35transform_pair_of_input_iterators_tIbNS6_6detail15normal_iteratorINS6_10device_ptrIKsEEEESL_NS6_8equal_toIsEEEENSG_9not_fun_tINSD_8identityEEEEENSD_19counting_iterator_tIlEES8_S8_S8_S8_S8_S8_S8_S8_EEEEPS9_S9_NSD_9__find_if7functorIS9_EEEE10hipError_tPvRmT1_T2_T3_mT4_P12ihipStream_tbEUlT_E1_NS1_11comp_targetILNS1_3genE3ELNS1_11target_archE908ELNS1_3gpuE7ELNS1_3repE0EEENS1_30default_config_static_selectorELNS0_4arch9wavefront6targetE1EEEvS14_,comdat
	.protected	_ZN7rocprim17ROCPRIM_400000_NS6detail17trampoline_kernelINS0_14default_configENS1_22reduce_config_selectorIN6thrust23THRUST_200600_302600_NS5tupleIblNS6_9null_typeES8_S8_S8_S8_S8_S8_S8_EEEEZNS1_11reduce_implILb1ES3_NS6_12zip_iteratorINS7_INS6_11hip_rocprim26transform_input_iterator_tIbNSD_35transform_pair_of_input_iterators_tIbNS6_6detail15normal_iteratorINS6_10device_ptrIKsEEEESL_NS6_8equal_toIsEEEENSG_9not_fun_tINSD_8identityEEEEENSD_19counting_iterator_tIlEES8_S8_S8_S8_S8_S8_S8_S8_EEEEPS9_S9_NSD_9__find_if7functorIS9_EEEE10hipError_tPvRmT1_T2_T3_mT4_P12ihipStream_tbEUlT_E1_NS1_11comp_targetILNS1_3genE3ELNS1_11target_archE908ELNS1_3gpuE7ELNS1_3repE0EEENS1_30default_config_static_selectorELNS0_4arch9wavefront6targetE1EEEvS14_ ; -- Begin function _ZN7rocprim17ROCPRIM_400000_NS6detail17trampoline_kernelINS0_14default_configENS1_22reduce_config_selectorIN6thrust23THRUST_200600_302600_NS5tupleIblNS6_9null_typeES8_S8_S8_S8_S8_S8_S8_EEEEZNS1_11reduce_implILb1ES3_NS6_12zip_iteratorINS7_INS6_11hip_rocprim26transform_input_iterator_tIbNSD_35transform_pair_of_input_iterators_tIbNS6_6detail15normal_iteratorINS6_10device_ptrIKsEEEESL_NS6_8equal_toIsEEEENSG_9not_fun_tINSD_8identityEEEEENSD_19counting_iterator_tIlEES8_S8_S8_S8_S8_S8_S8_S8_EEEEPS9_S9_NSD_9__find_if7functorIS9_EEEE10hipError_tPvRmT1_T2_T3_mT4_P12ihipStream_tbEUlT_E1_NS1_11comp_targetILNS1_3genE3ELNS1_11target_archE908ELNS1_3gpuE7ELNS1_3repE0EEENS1_30default_config_static_selectorELNS0_4arch9wavefront6targetE1EEEvS14_
	.globl	_ZN7rocprim17ROCPRIM_400000_NS6detail17trampoline_kernelINS0_14default_configENS1_22reduce_config_selectorIN6thrust23THRUST_200600_302600_NS5tupleIblNS6_9null_typeES8_S8_S8_S8_S8_S8_S8_EEEEZNS1_11reduce_implILb1ES3_NS6_12zip_iteratorINS7_INS6_11hip_rocprim26transform_input_iterator_tIbNSD_35transform_pair_of_input_iterators_tIbNS6_6detail15normal_iteratorINS6_10device_ptrIKsEEEESL_NS6_8equal_toIsEEEENSG_9not_fun_tINSD_8identityEEEEENSD_19counting_iterator_tIlEES8_S8_S8_S8_S8_S8_S8_S8_EEEEPS9_S9_NSD_9__find_if7functorIS9_EEEE10hipError_tPvRmT1_T2_T3_mT4_P12ihipStream_tbEUlT_E1_NS1_11comp_targetILNS1_3genE3ELNS1_11target_archE908ELNS1_3gpuE7ELNS1_3repE0EEENS1_30default_config_static_selectorELNS0_4arch9wavefront6targetE1EEEvS14_
	.p2align	8
	.type	_ZN7rocprim17ROCPRIM_400000_NS6detail17trampoline_kernelINS0_14default_configENS1_22reduce_config_selectorIN6thrust23THRUST_200600_302600_NS5tupleIblNS6_9null_typeES8_S8_S8_S8_S8_S8_S8_EEEEZNS1_11reduce_implILb1ES3_NS6_12zip_iteratorINS7_INS6_11hip_rocprim26transform_input_iterator_tIbNSD_35transform_pair_of_input_iterators_tIbNS6_6detail15normal_iteratorINS6_10device_ptrIKsEEEESL_NS6_8equal_toIsEEEENSG_9not_fun_tINSD_8identityEEEEENSD_19counting_iterator_tIlEES8_S8_S8_S8_S8_S8_S8_S8_EEEEPS9_S9_NSD_9__find_if7functorIS9_EEEE10hipError_tPvRmT1_T2_T3_mT4_P12ihipStream_tbEUlT_E1_NS1_11comp_targetILNS1_3genE3ELNS1_11target_archE908ELNS1_3gpuE7ELNS1_3repE0EEENS1_30default_config_static_selectorELNS0_4arch9wavefront6targetE1EEEvS14_,@function
_ZN7rocprim17ROCPRIM_400000_NS6detail17trampoline_kernelINS0_14default_configENS1_22reduce_config_selectorIN6thrust23THRUST_200600_302600_NS5tupleIblNS6_9null_typeES8_S8_S8_S8_S8_S8_S8_EEEEZNS1_11reduce_implILb1ES3_NS6_12zip_iteratorINS7_INS6_11hip_rocprim26transform_input_iterator_tIbNSD_35transform_pair_of_input_iterators_tIbNS6_6detail15normal_iteratorINS6_10device_ptrIKsEEEESL_NS6_8equal_toIsEEEENSG_9not_fun_tINSD_8identityEEEEENSD_19counting_iterator_tIlEES8_S8_S8_S8_S8_S8_S8_S8_EEEEPS9_S9_NSD_9__find_if7functorIS9_EEEE10hipError_tPvRmT1_T2_T3_mT4_P12ihipStream_tbEUlT_E1_NS1_11comp_targetILNS1_3genE3ELNS1_11target_archE908ELNS1_3gpuE7ELNS1_3repE0EEENS1_30default_config_static_selectorELNS0_4arch9wavefront6targetE1EEEvS14_: ; @_ZN7rocprim17ROCPRIM_400000_NS6detail17trampoline_kernelINS0_14default_configENS1_22reduce_config_selectorIN6thrust23THRUST_200600_302600_NS5tupleIblNS6_9null_typeES8_S8_S8_S8_S8_S8_S8_EEEEZNS1_11reduce_implILb1ES3_NS6_12zip_iteratorINS7_INS6_11hip_rocprim26transform_input_iterator_tIbNSD_35transform_pair_of_input_iterators_tIbNS6_6detail15normal_iteratorINS6_10device_ptrIKsEEEESL_NS6_8equal_toIsEEEENSG_9not_fun_tINSD_8identityEEEEENSD_19counting_iterator_tIlEES8_S8_S8_S8_S8_S8_S8_S8_EEEEPS9_S9_NSD_9__find_if7functorIS9_EEEE10hipError_tPvRmT1_T2_T3_mT4_P12ihipStream_tbEUlT_E1_NS1_11comp_targetILNS1_3genE3ELNS1_11target_archE908ELNS1_3gpuE7ELNS1_3repE0EEENS1_30default_config_static_selectorELNS0_4arch9wavefront6targetE1EEEvS14_
; %bb.0:
	.section	.rodata,"a",@progbits
	.p2align	6, 0x0
	.amdhsa_kernel _ZN7rocprim17ROCPRIM_400000_NS6detail17trampoline_kernelINS0_14default_configENS1_22reduce_config_selectorIN6thrust23THRUST_200600_302600_NS5tupleIblNS6_9null_typeES8_S8_S8_S8_S8_S8_S8_EEEEZNS1_11reduce_implILb1ES3_NS6_12zip_iteratorINS7_INS6_11hip_rocprim26transform_input_iterator_tIbNSD_35transform_pair_of_input_iterators_tIbNS6_6detail15normal_iteratorINS6_10device_ptrIKsEEEESL_NS6_8equal_toIsEEEENSG_9not_fun_tINSD_8identityEEEEENSD_19counting_iterator_tIlEES8_S8_S8_S8_S8_S8_S8_S8_EEEEPS9_S9_NSD_9__find_if7functorIS9_EEEE10hipError_tPvRmT1_T2_T3_mT4_P12ihipStream_tbEUlT_E1_NS1_11comp_targetILNS1_3genE3ELNS1_11target_archE908ELNS1_3gpuE7ELNS1_3repE0EEENS1_30default_config_static_selectorELNS0_4arch9wavefront6targetE1EEEvS14_
		.amdhsa_group_segment_fixed_size 0
		.amdhsa_private_segment_fixed_size 0
		.amdhsa_kernarg_size 88
		.amdhsa_user_sgpr_count 6
		.amdhsa_user_sgpr_private_segment_buffer 1
		.amdhsa_user_sgpr_dispatch_ptr 0
		.amdhsa_user_sgpr_queue_ptr 0
		.amdhsa_user_sgpr_kernarg_segment_ptr 1
		.amdhsa_user_sgpr_dispatch_id 0
		.amdhsa_user_sgpr_flat_scratch_init 0
		.amdhsa_user_sgpr_kernarg_preload_length 0
		.amdhsa_user_sgpr_kernarg_preload_offset 0
		.amdhsa_user_sgpr_private_segment_size 0
		.amdhsa_uses_dynamic_stack 0
		.amdhsa_system_sgpr_private_segment_wavefront_offset 0
		.amdhsa_system_sgpr_workgroup_id_x 1
		.amdhsa_system_sgpr_workgroup_id_y 0
		.amdhsa_system_sgpr_workgroup_id_z 0
		.amdhsa_system_sgpr_workgroup_info 0
		.amdhsa_system_vgpr_workitem_id 0
		.amdhsa_next_free_vgpr 1
		.amdhsa_next_free_sgpr 0
		.amdhsa_accum_offset 4
		.amdhsa_reserve_vcc 0
		.amdhsa_reserve_flat_scratch 0
		.amdhsa_float_round_mode_32 0
		.amdhsa_float_round_mode_16_64 0
		.amdhsa_float_denorm_mode_32 3
		.amdhsa_float_denorm_mode_16_64 3
		.amdhsa_dx10_clamp 1
		.amdhsa_ieee_mode 1
		.amdhsa_fp16_overflow 0
		.amdhsa_tg_split 0
		.amdhsa_exception_fp_ieee_invalid_op 0
		.amdhsa_exception_fp_denorm_src 0
		.amdhsa_exception_fp_ieee_div_zero 0
		.amdhsa_exception_fp_ieee_overflow 0
		.amdhsa_exception_fp_ieee_underflow 0
		.amdhsa_exception_fp_ieee_inexact 0
		.amdhsa_exception_int_div_zero 0
	.end_amdhsa_kernel
	.section	.text._ZN7rocprim17ROCPRIM_400000_NS6detail17trampoline_kernelINS0_14default_configENS1_22reduce_config_selectorIN6thrust23THRUST_200600_302600_NS5tupleIblNS6_9null_typeES8_S8_S8_S8_S8_S8_S8_EEEEZNS1_11reduce_implILb1ES3_NS6_12zip_iteratorINS7_INS6_11hip_rocprim26transform_input_iterator_tIbNSD_35transform_pair_of_input_iterators_tIbNS6_6detail15normal_iteratorINS6_10device_ptrIKsEEEESL_NS6_8equal_toIsEEEENSG_9not_fun_tINSD_8identityEEEEENSD_19counting_iterator_tIlEES8_S8_S8_S8_S8_S8_S8_S8_EEEEPS9_S9_NSD_9__find_if7functorIS9_EEEE10hipError_tPvRmT1_T2_T3_mT4_P12ihipStream_tbEUlT_E1_NS1_11comp_targetILNS1_3genE3ELNS1_11target_archE908ELNS1_3gpuE7ELNS1_3repE0EEENS1_30default_config_static_selectorELNS0_4arch9wavefront6targetE1EEEvS14_,"axG",@progbits,_ZN7rocprim17ROCPRIM_400000_NS6detail17trampoline_kernelINS0_14default_configENS1_22reduce_config_selectorIN6thrust23THRUST_200600_302600_NS5tupleIblNS6_9null_typeES8_S8_S8_S8_S8_S8_S8_EEEEZNS1_11reduce_implILb1ES3_NS6_12zip_iteratorINS7_INS6_11hip_rocprim26transform_input_iterator_tIbNSD_35transform_pair_of_input_iterators_tIbNS6_6detail15normal_iteratorINS6_10device_ptrIKsEEEESL_NS6_8equal_toIsEEEENSG_9not_fun_tINSD_8identityEEEEENSD_19counting_iterator_tIlEES8_S8_S8_S8_S8_S8_S8_S8_EEEEPS9_S9_NSD_9__find_if7functorIS9_EEEE10hipError_tPvRmT1_T2_T3_mT4_P12ihipStream_tbEUlT_E1_NS1_11comp_targetILNS1_3genE3ELNS1_11target_archE908ELNS1_3gpuE7ELNS1_3repE0EEENS1_30default_config_static_selectorELNS0_4arch9wavefront6targetE1EEEvS14_,comdat
.Lfunc_end310:
	.size	_ZN7rocprim17ROCPRIM_400000_NS6detail17trampoline_kernelINS0_14default_configENS1_22reduce_config_selectorIN6thrust23THRUST_200600_302600_NS5tupleIblNS6_9null_typeES8_S8_S8_S8_S8_S8_S8_EEEEZNS1_11reduce_implILb1ES3_NS6_12zip_iteratorINS7_INS6_11hip_rocprim26transform_input_iterator_tIbNSD_35transform_pair_of_input_iterators_tIbNS6_6detail15normal_iteratorINS6_10device_ptrIKsEEEESL_NS6_8equal_toIsEEEENSG_9not_fun_tINSD_8identityEEEEENSD_19counting_iterator_tIlEES8_S8_S8_S8_S8_S8_S8_S8_EEEEPS9_S9_NSD_9__find_if7functorIS9_EEEE10hipError_tPvRmT1_T2_T3_mT4_P12ihipStream_tbEUlT_E1_NS1_11comp_targetILNS1_3genE3ELNS1_11target_archE908ELNS1_3gpuE7ELNS1_3repE0EEENS1_30default_config_static_selectorELNS0_4arch9wavefront6targetE1EEEvS14_, .Lfunc_end310-_ZN7rocprim17ROCPRIM_400000_NS6detail17trampoline_kernelINS0_14default_configENS1_22reduce_config_selectorIN6thrust23THRUST_200600_302600_NS5tupleIblNS6_9null_typeES8_S8_S8_S8_S8_S8_S8_EEEEZNS1_11reduce_implILb1ES3_NS6_12zip_iteratorINS7_INS6_11hip_rocprim26transform_input_iterator_tIbNSD_35transform_pair_of_input_iterators_tIbNS6_6detail15normal_iteratorINS6_10device_ptrIKsEEEESL_NS6_8equal_toIsEEEENSG_9not_fun_tINSD_8identityEEEEENSD_19counting_iterator_tIlEES8_S8_S8_S8_S8_S8_S8_S8_EEEEPS9_S9_NSD_9__find_if7functorIS9_EEEE10hipError_tPvRmT1_T2_T3_mT4_P12ihipStream_tbEUlT_E1_NS1_11comp_targetILNS1_3genE3ELNS1_11target_archE908ELNS1_3gpuE7ELNS1_3repE0EEENS1_30default_config_static_selectorELNS0_4arch9wavefront6targetE1EEEvS14_
                                        ; -- End function
	.section	.AMDGPU.csdata,"",@progbits
; Kernel info:
; codeLenInByte = 0
; NumSgprs: 4
; NumVgprs: 0
; NumAgprs: 0
; TotalNumVgprs: 0
; ScratchSize: 0
; MemoryBound: 0
; FloatMode: 240
; IeeeMode: 1
; LDSByteSize: 0 bytes/workgroup (compile time only)
; SGPRBlocks: 0
; VGPRBlocks: 0
; NumSGPRsForWavesPerEU: 4
; NumVGPRsForWavesPerEU: 1
; AccumOffset: 4
; Occupancy: 8
; WaveLimiterHint : 0
; COMPUTE_PGM_RSRC2:SCRATCH_EN: 0
; COMPUTE_PGM_RSRC2:USER_SGPR: 6
; COMPUTE_PGM_RSRC2:TRAP_HANDLER: 0
; COMPUTE_PGM_RSRC2:TGID_X_EN: 1
; COMPUTE_PGM_RSRC2:TGID_Y_EN: 0
; COMPUTE_PGM_RSRC2:TGID_Z_EN: 0
; COMPUTE_PGM_RSRC2:TIDIG_COMP_CNT: 0
; COMPUTE_PGM_RSRC3_GFX90A:ACCUM_OFFSET: 0
; COMPUTE_PGM_RSRC3_GFX90A:TG_SPLIT: 0
	.section	.text._ZN7rocprim17ROCPRIM_400000_NS6detail17trampoline_kernelINS0_14default_configENS1_22reduce_config_selectorIN6thrust23THRUST_200600_302600_NS5tupleIblNS6_9null_typeES8_S8_S8_S8_S8_S8_S8_EEEEZNS1_11reduce_implILb1ES3_NS6_12zip_iteratorINS7_INS6_11hip_rocprim26transform_input_iterator_tIbNSD_35transform_pair_of_input_iterators_tIbNS6_6detail15normal_iteratorINS6_10device_ptrIKsEEEESL_NS6_8equal_toIsEEEENSG_9not_fun_tINSD_8identityEEEEENSD_19counting_iterator_tIlEES8_S8_S8_S8_S8_S8_S8_S8_EEEEPS9_S9_NSD_9__find_if7functorIS9_EEEE10hipError_tPvRmT1_T2_T3_mT4_P12ihipStream_tbEUlT_E1_NS1_11comp_targetILNS1_3genE2ELNS1_11target_archE906ELNS1_3gpuE6ELNS1_3repE0EEENS1_30default_config_static_selectorELNS0_4arch9wavefront6targetE1EEEvS14_,"axG",@progbits,_ZN7rocprim17ROCPRIM_400000_NS6detail17trampoline_kernelINS0_14default_configENS1_22reduce_config_selectorIN6thrust23THRUST_200600_302600_NS5tupleIblNS6_9null_typeES8_S8_S8_S8_S8_S8_S8_EEEEZNS1_11reduce_implILb1ES3_NS6_12zip_iteratorINS7_INS6_11hip_rocprim26transform_input_iterator_tIbNSD_35transform_pair_of_input_iterators_tIbNS6_6detail15normal_iteratorINS6_10device_ptrIKsEEEESL_NS6_8equal_toIsEEEENSG_9not_fun_tINSD_8identityEEEEENSD_19counting_iterator_tIlEES8_S8_S8_S8_S8_S8_S8_S8_EEEEPS9_S9_NSD_9__find_if7functorIS9_EEEE10hipError_tPvRmT1_T2_T3_mT4_P12ihipStream_tbEUlT_E1_NS1_11comp_targetILNS1_3genE2ELNS1_11target_archE906ELNS1_3gpuE6ELNS1_3repE0EEENS1_30default_config_static_selectorELNS0_4arch9wavefront6targetE1EEEvS14_,comdat
	.protected	_ZN7rocprim17ROCPRIM_400000_NS6detail17trampoline_kernelINS0_14default_configENS1_22reduce_config_selectorIN6thrust23THRUST_200600_302600_NS5tupleIblNS6_9null_typeES8_S8_S8_S8_S8_S8_S8_EEEEZNS1_11reduce_implILb1ES3_NS6_12zip_iteratorINS7_INS6_11hip_rocprim26transform_input_iterator_tIbNSD_35transform_pair_of_input_iterators_tIbNS6_6detail15normal_iteratorINS6_10device_ptrIKsEEEESL_NS6_8equal_toIsEEEENSG_9not_fun_tINSD_8identityEEEEENSD_19counting_iterator_tIlEES8_S8_S8_S8_S8_S8_S8_S8_EEEEPS9_S9_NSD_9__find_if7functorIS9_EEEE10hipError_tPvRmT1_T2_T3_mT4_P12ihipStream_tbEUlT_E1_NS1_11comp_targetILNS1_3genE2ELNS1_11target_archE906ELNS1_3gpuE6ELNS1_3repE0EEENS1_30default_config_static_selectorELNS0_4arch9wavefront6targetE1EEEvS14_ ; -- Begin function _ZN7rocprim17ROCPRIM_400000_NS6detail17trampoline_kernelINS0_14default_configENS1_22reduce_config_selectorIN6thrust23THRUST_200600_302600_NS5tupleIblNS6_9null_typeES8_S8_S8_S8_S8_S8_S8_EEEEZNS1_11reduce_implILb1ES3_NS6_12zip_iteratorINS7_INS6_11hip_rocprim26transform_input_iterator_tIbNSD_35transform_pair_of_input_iterators_tIbNS6_6detail15normal_iteratorINS6_10device_ptrIKsEEEESL_NS6_8equal_toIsEEEENSG_9not_fun_tINSD_8identityEEEEENSD_19counting_iterator_tIlEES8_S8_S8_S8_S8_S8_S8_S8_EEEEPS9_S9_NSD_9__find_if7functorIS9_EEEE10hipError_tPvRmT1_T2_T3_mT4_P12ihipStream_tbEUlT_E1_NS1_11comp_targetILNS1_3genE2ELNS1_11target_archE906ELNS1_3gpuE6ELNS1_3repE0EEENS1_30default_config_static_selectorELNS0_4arch9wavefront6targetE1EEEvS14_
	.globl	_ZN7rocprim17ROCPRIM_400000_NS6detail17trampoline_kernelINS0_14default_configENS1_22reduce_config_selectorIN6thrust23THRUST_200600_302600_NS5tupleIblNS6_9null_typeES8_S8_S8_S8_S8_S8_S8_EEEEZNS1_11reduce_implILb1ES3_NS6_12zip_iteratorINS7_INS6_11hip_rocprim26transform_input_iterator_tIbNSD_35transform_pair_of_input_iterators_tIbNS6_6detail15normal_iteratorINS6_10device_ptrIKsEEEESL_NS6_8equal_toIsEEEENSG_9not_fun_tINSD_8identityEEEEENSD_19counting_iterator_tIlEES8_S8_S8_S8_S8_S8_S8_S8_EEEEPS9_S9_NSD_9__find_if7functorIS9_EEEE10hipError_tPvRmT1_T2_T3_mT4_P12ihipStream_tbEUlT_E1_NS1_11comp_targetILNS1_3genE2ELNS1_11target_archE906ELNS1_3gpuE6ELNS1_3repE0EEENS1_30default_config_static_selectorELNS0_4arch9wavefront6targetE1EEEvS14_
	.p2align	8
	.type	_ZN7rocprim17ROCPRIM_400000_NS6detail17trampoline_kernelINS0_14default_configENS1_22reduce_config_selectorIN6thrust23THRUST_200600_302600_NS5tupleIblNS6_9null_typeES8_S8_S8_S8_S8_S8_S8_EEEEZNS1_11reduce_implILb1ES3_NS6_12zip_iteratorINS7_INS6_11hip_rocprim26transform_input_iterator_tIbNSD_35transform_pair_of_input_iterators_tIbNS6_6detail15normal_iteratorINS6_10device_ptrIKsEEEESL_NS6_8equal_toIsEEEENSG_9not_fun_tINSD_8identityEEEEENSD_19counting_iterator_tIlEES8_S8_S8_S8_S8_S8_S8_S8_EEEEPS9_S9_NSD_9__find_if7functorIS9_EEEE10hipError_tPvRmT1_T2_T3_mT4_P12ihipStream_tbEUlT_E1_NS1_11comp_targetILNS1_3genE2ELNS1_11target_archE906ELNS1_3gpuE6ELNS1_3repE0EEENS1_30default_config_static_selectorELNS0_4arch9wavefront6targetE1EEEvS14_,@function
_ZN7rocprim17ROCPRIM_400000_NS6detail17trampoline_kernelINS0_14default_configENS1_22reduce_config_selectorIN6thrust23THRUST_200600_302600_NS5tupleIblNS6_9null_typeES8_S8_S8_S8_S8_S8_S8_EEEEZNS1_11reduce_implILb1ES3_NS6_12zip_iteratorINS7_INS6_11hip_rocprim26transform_input_iterator_tIbNSD_35transform_pair_of_input_iterators_tIbNS6_6detail15normal_iteratorINS6_10device_ptrIKsEEEESL_NS6_8equal_toIsEEEENSG_9not_fun_tINSD_8identityEEEEENSD_19counting_iterator_tIlEES8_S8_S8_S8_S8_S8_S8_S8_EEEEPS9_S9_NSD_9__find_if7functorIS9_EEEE10hipError_tPvRmT1_T2_T3_mT4_P12ihipStream_tbEUlT_E1_NS1_11comp_targetILNS1_3genE2ELNS1_11target_archE906ELNS1_3gpuE6ELNS1_3repE0EEENS1_30default_config_static_selectorELNS0_4arch9wavefront6targetE1EEEvS14_: ; @_ZN7rocprim17ROCPRIM_400000_NS6detail17trampoline_kernelINS0_14default_configENS1_22reduce_config_selectorIN6thrust23THRUST_200600_302600_NS5tupleIblNS6_9null_typeES8_S8_S8_S8_S8_S8_S8_EEEEZNS1_11reduce_implILb1ES3_NS6_12zip_iteratorINS7_INS6_11hip_rocprim26transform_input_iterator_tIbNSD_35transform_pair_of_input_iterators_tIbNS6_6detail15normal_iteratorINS6_10device_ptrIKsEEEESL_NS6_8equal_toIsEEEENSG_9not_fun_tINSD_8identityEEEEENSD_19counting_iterator_tIlEES8_S8_S8_S8_S8_S8_S8_S8_EEEEPS9_S9_NSD_9__find_if7functorIS9_EEEE10hipError_tPvRmT1_T2_T3_mT4_P12ihipStream_tbEUlT_E1_NS1_11comp_targetILNS1_3genE2ELNS1_11target_archE906ELNS1_3gpuE6ELNS1_3repE0EEENS1_30default_config_static_selectorELNS0_4arch9wavefront6targetE1EEEvS14_
; %bb.0:
	.section	.rodata,"a",@progbits
	.p2align	6, 0x0
	.amdhsa_kernel _ZN7rocprim17ROCPRIM_400000_NS6detail17trampoline_kernelINS0_14default_configENS1_22reduce_config_selectorIN6thrust23THRUST_200600_302600_NS5tupleIblNS6_9null_typeES8_S8_S8_S8_S8_S8_S8_EEEEZNS1_11reduce_implILb1ES3_NS6_12zip_iteratorINS7_INS6_11hip_rocprim26transform_input_iterator_tIbNSD_35transform_pair_of_input_iterators_tIbNS6_6detail15normal_iteratorINS6_10device_ptrIKsEEEESL_NS6_8equal_toIsEEEENSG_9not_fun_tINSD_8identityEEEEENSD_19counting_iterator_tIlEES8_S8_S8_S8_S8_S8_S8_S8_EEEEPS9_S9_NSD_9__find_if7functorIS9_EEEE10hipError_tPvRmT1_T2_T3_mT4_P12ihipStream_tbEUlT_E1_NS1_11comp_targetILNS1_3genE2ELNS1_11target_archE906ELNS1_3gpuE6ELNS1_3repE0EEENS1_30default_config_static_selectorELNS0_4arch9wavefront6targetE1EEEvS14_
		.amdhsa_group_segment_fixed_size 0
		.amdhsa_private_segment_fixed_size 0
		.amdhsa_kernarg_size 88
		.amdhsa_user_sgpr_count 6
		.amdhsa_user_sgpr_private_segment_buffer 1
		.amdhsa_user_sgpr_dispatch_ptr 0
		.amdhsa_user_sgpr_queue_ptr 0
		.amdhsa_user_sgpr_kernarg_segment_ptr 1
		.amdhsa_user_sgpr_dispatch_id 0
		.amdhsa_user_sgpr_flat_scratch_init 0
		.amdhsa_user_sgpr_kernarg_preload_length 0
		.amdhsa_user_sgpr_kernarg_preload_offset 0
		.amdhsa_user_sgpr_private_segment_size 0
		.amdhsa_uses_dynamic_stack 0
		.amdhsa_system_sgpr_private_segment_wavefront_offset 0
		.amdhsa_system_sgpr_workgroup_id_x 1
		.amdhsa_system_sgpr_workgroup_id_y 0
		.amdhsa_system_sgpr_workgroup_id_z 0
		.amdhsa_system_sgpr_workgroup_info 0
		.amdhsa_system_vgpr_workitem_id 0
		.amdhsa_next_free_vgpr 1
		.amdhsa_next_free_sgpr 0
		.amdhsa_accum_offset 4
		.amdhsa_reserve_vcc 0
		.amdhsa_reserve_flat_scratch 0
		.amdhsa_float_round_mode_32 0
		.amdhsa_float_round_mode_16_64 0
		.amdhsa_float_denorm_mode_32 3
		.amdhsa_float_denorm_mode_16_64 3
		.amdhsa_dx10_clamp 1
		.amdhsa_ieee_mode 1
		.amdhsa_fp16_overflow 0
		.amdhsa_tg_split 0
		.amdhsa_exception_fp_ieee_invalid_op 0
		.amdhsa_exception_fp_denorm_src 0
		.amdhsa_exception_fp_ieee_div_zero 0
		.amdhsa_exception_fp_ieee_overflow 0
		.amdhsa_exception_fp_ieee_underflow 0
		.amdhsa_exception_fp_ieee_inexact 0
		.amdhsa_exception_int_div_zero 0
	.end_amdhsa_kernel
	.section	.text._ZN7rocprim17ROCPRIM_400000_NS6detail17trampoline_kernelINS0_14default_configENS1_22reduce_config_selectorIN6thrust23THRUST_200600_302600_NS5tupleIblNS6_9null_typeES8_S8_S8_S8_S8_S8_S8_EEEEZNS1_11reduce_implILb1ES3_NS6_12zip_iteratorINS7_INS6_11hip_rocprim26transform_input_iterator_tIbNSD_35transform_pair_of_input_iterators_tIbNS6_6detail15normal_iteratorINS6_10device_ptrIKsEEEESL_NS6_8equal_toIsEEEENSG_9not_fun_tINSD_8identityEEEEENSD_19counting_iterator_tIlEES8_S8_S8_S8_S8_S8_S8_S8_EEEEPS9_S9_NSD_9__find_if7functorIS9_EEEE10hipError_tPvRmT1_T2_T3_mT4_P12ihipStream_tbEUlT_E1_NS1_11comp_targetILNS1_3genE2ELNS1_11target_archE906ELNS1_3gpuE6ELNS1_3repE0EEENS1_30default_config_static_selectorELNS0_4arch9wavefront6targetE1EEEvS14_,"axG",@progbits,_ZN7rocprim17ROCPRIM_400000_NS6detail17trampoline_kernelINS0_14default_configENS1_22reduce_config_selectorIN6thrust23THRUST_200600_302600_NS5tupleIblNS6_9null_typeES8_S8_S8_S8_S8_S8_S8_EEEEZNS1_11reduce_implILb1ES3_NS6_12zip_iteratorINS7_INS6_11hip_rocprim26transform_input_iterator_tIbNSD_35transform_pair_of_input_iterators_tIbNS6_6detail15normal_iteratorINS6_10device_ptrIKsEEEESL_NS6_8equal_toIsEEEENSG_9not_fun_tINSD_8identityEEEEENSD_19counting_iterator_tIlEES8_S8_S8_S8_S8_S8_S8_S8_EEEEPS9_S9_NSD_9__find_if7functorIS9_EEEE10hipError_tPvRmT1_T2_T3_mT4_P12ihipStream_tbEUlT_E1_NS1_11comp_targetILNS1_3genE2ELNS1_11target_archE906ELNS1_3gpuE6ELNS1_3repE0EEENS1_30default_config_static_selectorELNS0_4arch9wavefront6targetE1EEEvS14_,comdat
.Lfunc_end311:
	.size	_ZN7rocprim17ROCPRIM_400000_NS6detail17trampoline_kernelINS0_14default_configENS1_22reduce_config_selectorIN6thrust23THRUST_200600_302600_NS5tupleIblNS6_9null_typeES8_S8_S8_S8_S8_S8_S8_EEEEZNS1_11reduce_implILb1ES3_NS6_12zip_iteratorINS7_INS6_11hip_rocprim26transform_input_iterator_tIbNSD_35transform_pair_of_input_iterators_tIbNS6_6detail15normal_iteratorINS6_10device_ptrIKsEEEESL_NS6_8equal_toIsEEEENSG_9not_fun_tINSD_8identityEEEEENSD_19counting_iterator_tIlEES8_S8_S8_S8_S8_S8_S8_S8_EEEEPS9_S9_NSD_9__find_if7functorIS9_EEEE10hipError_tPvRmT1_T2_T3_mT4_P12ihipStream_tbEUlT_E1_NS1_11comp_targetILNS1_3genE2ELNS1_11target_archE906ELNS1_3gpuE6ELNS1_3repE0EEENS1_30default_config_static_selectorELNS0_4arch9wavefront6targetE1EEEvS14_, .Lfunc_end311-_ZN7rocprim17ROCPRIM_400000_NS6detail17trampoline_kernelINS0_14default_configENS1_22reduce_config_selectorIN6thrust23THRUST_200600_302600_NS5tupleIblNS6_9null_typeES8_S8_S8_S8_S8_S8_S8_EEEEZNS1_11reduce_implILb1ES3_NS6_12zip_iteratorINS7_INS6_11hip_rocprim26transform_input_iterator_tIbNSD_35transform_pair_of_input_iterators_tIbNS6_6detail15normal_iteratorINS6_10device_ptrIKsEEEESL_NS6_8equal_toIsEEEENSG_9not_fun_tINSD_8identityEEEEENSD_19counting_iterator_tIlEES8_S8_S8_S8_S8_S8_S8_S8_EEEEPS9_S9_NSD_9__find_if7functorIS9_EEEE10hipError_tPvRmT1_T2_T3_mT4_P12ihipStream_tbEUlT_E1_NS1_11comp_targetILNS1_3genE2ELNS1_11target_archE906ELNS1_3gpuE6ELNS1_3repE0EEENS1_30default_config_static_selectorELNS0_4arch9wavefront6targetE1EEEvS14_
                                        ; -- End function
	.section	.AMDGPU.csdata,"",@progbits
; Kernel info:
; codeLenInByte = 0
; NumSgprs: 4
; NumVgprs: 0
; NumAgprs: 0
; TotalNumVgprs: 0
; ScratchSize: 0
; MemoryBound: 0
; FloatMode: 240
; IeeeMode: 1
; LDSByteSize: 0 bytes/workgroup (compile time only)
; SGPRBlocks: 0
; VGPRBlocks: 0
; NumSGPRsForWavesPerEU: 4
; NumVGPRsForWavesPerEU: 1
; AccumOffset: 4
; Occupancy: 8
; WaveLimiterHint : 0
; COMPUTE_PGM_RSRC2:SCRATCH_EN: 0
; COMPUTE_PGM_RSRC2:USER_SGPR: 6
; COMPUTE_PGM_RSRC2:TRAP_HANDLER: 0
; COMPUTE_PGM_RSRC2:TGID_X_EN: 1
; COMPUTE_PGM_RSRC2:TGID_Y_EN: 0
; COMPUTE_PGM_RSRC2:TGID_Z_EN: 0
; COMPUTE_PGM_RSRC2:TIDIG_COMP_CNT: 0
; COMPUTE_PGM_RSRC3_GFX90A:ACCUM_OFFSET: 0
; COMPUTE_PGM_RSRC3_GFX90A:TG_SPLIT: 0
	.section	.text._ZN7rocprim17ROCPRIM_400000_NS6detail17trampoline_kernelINS0_14default_configENS1_22reduce_config_selectorIN6thrust23THRUST_200600_302600_NS5tupleIblNS6_9null_typeES8_S8_S8_S8_S8_S8_S8_EEEEZNS1_11reduce_implILb1ES3_NS6_12zip_iteratorINS7_INS6_11hip_rocprim26transform_input_iterator_tIbNSD_35transform_pair_of_input_iterators_tIbNS6_6detail15normal_iteratorINS6_10device_ptrIKsEEEESL_NS6_8equal_toIsEEEENSG_9not_fun_tINSD_8identityEEEEENSD_19counting_iterator_tIlEES8_S8_S8_S8_S8_S8_S8_S8_EEEEPS9_S9_NSD_9__find_if7functorIS9_EEEE10hipError_tPvRmT1_T2_T3_mT4_P12ihipStream_tbEUlT_E1_NS1_11comp_targetILNS1_3genE10ELNS1_11target_archE1201ELNS1_3gpuE5ELNS1_3repE0EEENS1_30default_config_static_selectorELNS0_4arch9wavefront6targetE1EEEvS14_,"axG",@progbits,_ZN7rocprim17ROCPRIM_400000_NS6detail17trampoline_kernelINS0_14default_configENS1_22reduce_config_selectorIN6thrust23THRUST_200600_302600_NS5tupleIblNS6_9null_typeES8_S8_S8_S8_S8_S8_S8_EEEEZNS1_11reduce_implILb1ES3_NS6_12zip_iteratorINS7_INS6_11hip_rocprim26transform_input_iterator_tIbNSD_35transform_pair_of_input_iterators_tIbNS6_6detail15normal_iteratorINS6_10device_ptrIKsEEEESL_NS6_8equal_toIsEEEENSG_9not_fun_tINSD_8identityEEEEENSD_19counting_iterator_tIlEES8_S8_S8_S8_S8_S8_S8_S8_EEEEPS9_S9_NSD_9__find_if7functorIS9_EEEE10hipError_tPvRmT1_T2_T3_mT4_P12ihipStream_tbEUlT_E1_NS1_11comp_targetILNS1_3genE10ELNS1_11target_archE1201ELNS1_3gpuE5ELNS1_3repE0EEENS1_30default_config_static_selectorELNS0_4arch9wavefront6targetE1EEEvS14_,comdat
	.protected	_ZN7rocprim17ROCPRIM_400000_NS6detail17trampoline_kernelINS0_14default_configENS1_22reduce_config_selectorIN6thrust23THRUST_200600_302600_NS5tupleIblNS6_9null_typeES8_S8_S8_S8_S8_S8_S8_EEEEZNS1_11reduce_implILb1ES3_NS6_12zip_iteratorINS7_INS6_11hip_rocprim26transform_input_iterator_tIbNSD_35transform_pair_of_input_iterators_tIbNS6_6detail15normal_iteratorINS6_10device_ptrIKsEEEESL_NS6_8equal_toIsEEEENSG_9not_fun_tINSD_8identityEEEEENSD_19counting_iterator_tIlEES8_S8_S8_S8_S8_S8_S8_S8_EEEEPS9_S9_NSD_9__find_if7functorIS9_EEEE10hipError_tPvRmT1_T2_T3_mT4_P12ihipStream_tbEUlT_E1_NS1_11comp_targetILNS1_3genE10ELNS1_11target_archE1201ELNS1_3gpuE5ELNS1_3repE0EEENS1_30default_config_static_selectorELNS0_4arch9wavefront6targetE1EEEvS14_ ; -- Begin function _ZN7rocprim17ROCPRIM_400000_NS6detail17trampoline_kernelINS0_14default_configENS1_22reduce_config_selectorIN6thrust23THRUST_200600_302600_NS5tupleIblNS6_9null_typeES8_S8_S8_S8_S8_S8_S8_EEEEZNS1_11reduce_implILb1ES3_NS6_12zip_iteratorINS7_INS6_11hip_rocprim26transform_input_iterator_tIbNSD_35transform_pair_of_input_iterators_tIbNS6_6detail15normal_iteratorINS6_10device_ptrIKsEEEESL_NS6_8equal_toIsEEEENSG_9not_fun_tINSD_8identityEEEEENSD_19counting_iterator_tIlEES8_S8_S8_S8_S8_S8_S8_S8_EEEEPS9_S9_NSD_9__find_if7functorIS9_EEEE10hipError_tPvRmT1_T2_T3_mT4_P12ihipStream_tbEUlT_E1_NS1_11comp_targetILNS1_3genE10ELNS1_11target_archE1201ELNS1_3gpuE5ELNS1_3repE0EEENS1_30default_config_static_selectorELNS0_4arch9wavefront6targetE1EEEvS14_
	.globl	_ZN7rocprim17ROCPRIM_400000_NS6detail17trampoline_kernelINS0_14default_configENS1_22reduce_config_selectorIN6thrust23THRUST_200600_302600_NS5tupleIblNS6_9null_typeES8_S8_S8_S8_S8_S8_S8_EEEEZNS1_11reduce_implILb1ES3_NS6_12zip_iteratorINS7_INS6_11hip_rocprim26transform_input_iterator_tIbNSD_35transform_pair_of_input_iterators_tIbNS6_6detail15normal_iteratorINS6_10device_ptrIKsEEEESL_NS6_8equal_toIsEEEENSG_9not_fun_tINSD_8identityEEEEENSD_19counting_iterator_tIlEES8_S8_S8_S8_S8_S8_S8_S8_EEEEPS9_S9_NSD_9__find_if7functorIS9_EEEE10hipError_tPvRmT1_T2_T3_mT4_P12ihipStream_tbEUlT_E1_NS1_11comp_targetILNS1_3genE10ELNS1_11target_archE1201ELNS1_3gpuE5ELNS1_3repE0EEENS1_30default_config_static_selectorELNS0_4arch9wavefront6targetE1EEEvS14_
	.p2align	8
	.type	_ZN7rocprim17ROCPRIM_400000_NS6detail17trampoline_kernelINS0_14default_configENS1_22reduce_config_selectorIN6thrust23THRUST_200600_302600_NS5tupleIblNS6_9null_typeES8_S8_S8_S8_S8_S8_S8_EEEEZNS1_11reduce_implILb1ES3_NS6_12zip_iteratorINS7_INS6_11hip_rocprim26transform_input_iterator_tIbNSD_35transform_pair_of_input_iterators_tIbNS6_6detail15normal_iteratorINS6_10device_ptrIKsEEEESL_NS6_8equal_toIsEEEENSG_9not_fun_tINSD_8identityEEEEENSD_19counting_iterator_tIlEES8_S8_S8_S8_S8_S8_S8_S8_EEEEPS9_S9_NSD_9__find_if7functorIS9_EEEE10hipError_tPvRmT1_T2_T3_mT4_P12ihipStream_tbEUlT_E1_NS1_11comp_targetILNS1_3genE10ELNS1_11target_archE1201ELNS1_3gpuE5ELNS1_3repE0EEENS1_30default_config_static_selectorELNS0_4arch9wavefront6targetE1EEEvS14_,@function
_ZN7rocprim17ROCPRIM_400000_NS6detail17trampoline_kernelINS0_14default_configENS1_22reduce_config_selectorIN6thrust23THRUST_200600_302600_NS5tupleIblNS6_9null_typeES8_S8_S8_S8_S8_S8_S8_EEEEZNS1_11reduce_implILb1ES3_NS6_12zip_iteratorINS7_INS6_11hip_rocprim26transform_input_iterator_tIbNSD_35transform_pair_of_input_iterators_tIbNS6_6detail15normal_iteratorINS6_10device_ptrIKsEEEESL_NS6_8equal_toIsEEEENSG_9not_fun_tINSD_8identityEEEEENSD_19counting_iterator_tIlEES8_S8_S8_S8_S8_S8_S8_S8_EEEEPS9_S9_NSD_9__find_if7functorIS9_EEEE10hipError_tPvRmT1_T2_T3_mT4_P12ihipStream_tbEUlT_E1_NS1_11comp_targetILNS1_3genE10ELNS1_11target_archE1201ELNS1_3gpuE5ELNS1_3repE0EEENS1_30default_config_static_selectorELNS0_4arch9wavefront6targetE1EEEvS14_: ; @_ZN7rocprim17ROCPRIM_400000_NS6detail17trampoline_kernelINS0_14default_configENS1_22reduce_config_selectorIN6thrust23THRUST_200600_302600_NS5tupleIblNS6_9null_typeES8_S8_S8_S8_S8_S8_S8_EEEEZNS1_11reduce_implILb1ES3_NS6_12zip_iteratorINS7_INS6_11hip_rocprim26transform_input_iterator_tIbNSD_35transform_pair_of_input_iterators_tIbNS6_6detail15normal_iteratorINS6_10device_ptrIKsEEEESL_NS6_8equal_toIsEEEENSG_9not_fun_tINSD_8identityEEEEENSD_19counting_iterator_tIlEES8_S8_S8_S8_S8_S8_S8_S8_EEEEPS9_S9_NSD_9__find_if7functorIS9_EEEE10hipError_tPvRmT1_T2_T3_mT4_P12ihipStream_tbEUlT_E1_NS1_11comp_targetILNS1_3genE10ELNS1_11target_archE1201ELNS1_3gpuE5ELNS1_3repE0EEENS1_30default_config_static_selectorELNS0_4arch9wavefront6targetE1EEEvS14_
; %bb.0:
	.section	.rodata,"a",@progbits
	.p2align	6, 0x0
	.amdhsa_kernel _ZN7rocprim17ROCPRIM_400000_NS6detail17trampoline_kernelINS0_14default_configENS1_22reduce_config_selectorIN6thrust23THRUST_200600_302600_NS5tupleIblNS6_9null_typeES8_S8_S8_S8_S8_S8_S8_EEEEZNS1_11reduce_implILb1ES3_NS6_12zip_iteratorINS7_INS6_11hip_rocprim26transform_input_iterator_tIbNSD_35transform_pair_of_input_iterators_tIbNS6_6detail15normal_iteratorINS6_10device_ptrIKsEEEESL_NS6_8equal_toIsEEEENSG_9not_fun_tINSD_8identityEEEEENSD_19counting_iterator_tIlEES8_S8_S8_S8_S8_S8_S8_S8_EEEEPS9_S9_NSD_9__find_if7functorIS9_EEEE10hipError_tPvRmT1_T2_T3_mT4_P12ihipStream_tbEUlT_E1_NS1_11comp_targetILNS1_3genE10ELNS1_11target_archE1201ELNS1_3gpuE5ELNS1_3repE0EEENS1_30default_config_static_selectorELNS0_4arch9wavefront6targetE1EEEvS14_
		.amdhsa_group_segment_fixed_size 0
		.amdhsa_private_segment_fixed_size 0
		.amdhsa_kernarg_size 88
		.amdhsa_user_sgpr_count 6
		.amdhsa_user_sgpr_private_segment_buffer 1
		.amdhsa_user_sgpr_dispatch_ptr 0
		.amdhsa_user_sgpr_queue_ptr 0
		.amdhsa_user_sgpr_kernarg_segment_ptr 1
		.amdhsa_user_sgpr_dispatch_id 0
		.amdhsa_user_sgpr_flat_scratch_init 0
		.amdhsa_user_sgpr_kernarg_preload_length 0
		.amdhsa_user_sgpr_kernarg_preload_offset 0
		.amdhsa_user_sgpr_private_segment_size 0
		.amdhsa_uses_dynamic_stack 0
		.amdhsa_system_sgpr_private_segment_wavefront_offset 0
		.amdhsa_system_sgpr_workgroup_id_x 1
		.amdhsa_system_sgpr_workgroup_id_y 0
		.amdhsa_system_sgpr_workgroup_id_z 0
		.amdhsa_system_sgpr_workgroup_info 0
		.amdhsa_system_vgpr_workitem_id 0
		.amdhsa_next_free_vgpr 1
		.amdhsa_next_free_sgpr 0
		.amdhsa_accum_offset 4
		.amdhsa_reserve_vcc 0
		.amdhsa_reserve_flat_scratch 0
		.amdhsa_float_round_mode_32 0
		.amdhsa_float_round_mode_16_64 0
		.amdhsa_float_denorm_mode_32 3
		.amdhsa_float_denorm_mode_16_64 3
		.amdhsa_dx10_clamp 1
		.amdhsa_ieee_mode 1
		.amdhsa_fp16_overflow 0
		.amdhsa_tg_split 0
		.amdhsa_exception_fp_ieee_invalid_op 0
		.amdhsa_exception_fp_denorm_src 0
		.amdhsa_exception_fp_ieee_div_zero 0
		.amdhsa_exception_fp_ieee_overflow 0
		.amdhsa_exception_fp_ieee_underflow 0
		.amdhsa_exception_fp_ieee_inexact 0
		.amdhsa_exception_int_div_zero 0
	.end_amdhsa_kernel
	.section	.text._ZN7rocprim17ROCPRIM_400000_NS6detail17trampoline_kernelINS0_14default_configENS1_22reduce_config_selectorIN6thrust23THRUST_200600_302600_NS5tupleIblNS6_9null_typeES8_S8_S8_S8_S8_S8_S8_EEEEZNS1_11reduce_implILb1ES3_NS6_12zip_iteratorINS7_INS6_11hip_rocprim26transform_input_iterator_tIbNSD_35transform_pair_of_input_iterators_tIbNS6_6detail15normal_iteratorINS6_10device_ptrIKsEEEESL_NS6_8equal_toIsEEEENSG_9not_fun_tINSD_8identityEEEEENSD_19counting_iterator_tIlEES8_S8_S8_S8_S8_S8_S8_S8_EEEEPS9_S9_NSD_9__find_if7functorIS9_EEEE10hipError_tPvRmT1_T2_T3_mT4_P12ihipStream_tbEUlT_E1_NS1_11comp_targetILNS1_3genE10ELNS1_11target_archE1201ELNS1_3gpuE5ELNS1_3repE0EEENS1_30default_config_static_selectorELNS0_4arch9wavefront6targetE1EEEvS14_,"axG",@progbits,_ZN7rocprim17ROCPRIM_400000_NS6detail17trampoline_kernelINS0_14default_configENS1_22reduce_config_selectorIN6thrust23THRUST_200600_302600_NS5tupleIblNS6_9null_typeES8_S8_S8_S8_S8_S8_S8_EEEEZNS1_11reduce_implILb1ES3_NS6_12zip_iteratorINS7_INS6_11hip_rocprim26transform_input_iterator_tIbNSD_35transform_pair_of_input_iterators_tIbNS6_6detail15normal_iteratorINS6_10device_ptrIKsEEEESL_NS6_8equal_toIsEEEENSG_9not_fun_tINSD_8identityEEEEENSD_19counting_iterator_tIlEES8_S8_S8_S8_S8_S8_S8_S8_EEEEPS9_S9_NSD_9__find_if7functorIS9_EEEE10hipError_tPvRmT1_T2_T3_mT4_P12ihipStream_tbEUlT_E1_NS1_11comp_targetILNS1_3genE10ELNS1_11target_archE1201ELNS1_3gpuE5ELNS1_3repE0EEENS1_30default_config_static_selectorELNS0_4arch9wavefront6targetE1EEEvS14_,comdat
.Lfunc_end312:
	.size	_ZN7rocprim17ROCPRIM_400000_NS6detail17trampoline_kernelINS0_14default_configENS1_22reduce_config_selectorIN6thrust23THRUST_200600_302600_NS5tupleIblNS6_9null_typeES8_S8_S8_S8_S8_S8_S8_EEEEZNS1_11reduce_implILb1ES3_NS6_12zip_iteratorINS7_INS6_11hip_rocprim26transform_input_iterator_tIbNSD_35transform_pair_of_input_iterators_tIbNS6_6detail15normal_iteratorINS6_10device_ptrIKsEEEESL_NS6_8equal_toIsEEEENSG_9not_fun_tINSD_8identityEEEEENSD_19counting_iterator_tIlEES8_S8_S8_S8_S8_S8_S8_S8_EEEEPS9_S9_NSD_9__find_if7functorIS9_EEEE10hipError_tPvRmT1_T2_T3_mT4_P12ihipStream_tbEUlT_E1_NS1_11comp_targetILNS1_3genE10ELNS1_11target_archE1201ELNS1_3gpuE5ELNS1_3repE0EEENS1_30default_config_static_selectorELNS0_4arch9wavefront6targetE1EEEvS14_, .Lfunc_end312-_ZN7rocprim17ROCPRIM_400000_NS6detail17trampoline_kernelINS0_14default_configENS1_22reduce_config_selectorIN6thrust23THRUST_200600_302600_NS5tupleIblNS6_9null_typeES8_S8_S8_S8_S8_S8_S8_EEEEZNS1_11reduce_implILb1ES3_NS6_12zip_iteratorINS7_INS6_11hip_rocprim26transform_input_iterator_tIbNSD_35transform_pair_of_input_iterators_tIbNS6_6detail15normal_iteratorINS6_10device_ptrIKsEEEESL_NS6_8equal_toIsEEEENSG_9not_fun_tINSD_8identityEEEEENSD_19counting_iterator_tIlEES8_S8_S8_S8_S8_S8_S8_S8_EEEEPS9_S9_NSD_9__find_if7functorIS9_EEEE10hipError_tPvRmT1_T2_T3_mT4_P12ihipStream_tbEUlT_E1_NS1_11comp_targetILNS1_3genE10ELNS1_11target_archE1201ELNS1_3gpuE5ELNS1_3repE0EEENS1_30default_config_static_selectorELNS0_4arch9wavefront6targetE1EEEvS14_
                                        ; -- End function
	.section	.AMDGPU.csdata,"",@progbits
; Kernel info:
; codeLenInByte = 0
; NumSgprs: 4
; NumVgprs: 0
; NumAgprs: 0
; TotalNumVgprs: 0
; ScratchSize: 0
; MemoryBound: 0
; FloatMode: 240
; IeeeMode: 1
; LDSByteSize: 0 bytes/workgroup (compile time only)
; SGPRBlocks: 0
; VGPRBlocks: 0
; NumSGPRsForWavesPerEU: 4
; NumVGPRsForWavesPerEU: 1
; AccumOffset: 4
; Occupancy: 8
; WaveLimiterHint : 0
; COMPUTE_PGM_RSRC2:SCRATCH_EN: 0
; COMPUTE_PGM_RSRC2:USER_SGPR: 6
; COMPUTE_PGM_RSRC2:TRAP_HANDLER: 0
; COMPUTE_PGM_RSRC2:TGID_X_EN: 1
; COMPUTE_PGM_RSRC2:TGID_Y_EN: 0
; COMPUTE_PGM_RSRC2:TGID_Z_EN: 0
; COMPUTE_PGM_RSRC2:TIDIG_COMP_CNT: 0
; COMPUTE_PGM_RSRC3_GFX90A:ACCUM_OFFSET: 0
; COMPUTE_PGM_RSRC3_GFX90A:TG_SPLIT: 0
	.section	.text._ZN7rocprim17ROCPRIM_400000_NS6detail17trampoline_kernelINS0_14default_configENS1_22reduce_config_selectorIN6thrust23THRUST_200600_302600_NS5tupleIblNS6_9null_typeES8_S8_S8_S8_S8_S8_S8_EEEEZNS1_11reduce_implILb1ES3_NS6_12zip_iteratorINS7_INS6_11hip_rocprim26transform_input_iterator_tIbNSD_35transform_pair_of_input_iterators_tIbNS6_6detail15normal_iteratorINS6_10device_ptrIKsEEEESL_NS6_8equal_toIsEEEENSG_9not_fun_tINSD_8identityEEEEENSD_19counting_iterator_tIlEES8_S8_S8_S8_S8_S8_S8_S8_EEEEPS9_S9_NSD_9__find_if7functorIS9_EEEE10hipError_tPvRmT1_T2_T3_mT4_P12ihipStream_tbEUlT_E1_NS1_11comp_targetILNS1_3genE10ELNS1_11target_archE1200ELNS1_3gpuE4ELNS1_3repE0EEENS1_30default_config_static_selectorELNS0_4arch9wavefront6targetE1EEEvS14_,"axG",@progbits,_ZN7rocprim17ROCPRIM_400000_NS6detail17trampoline_kernelINS0_14default_configENS1_22reduce_config_selectorIN6thrust23THRUST_200600_302600_NS5tupleIblNS6_9null_typeES8_S8_S8_S8_S8_S8_S8_EEEEZNS1_11reduce_implILb1ES3_NS6_12zip_iteratorINS7_INS6_11hip_rocprim26transform_input_iterator_tIbNSD_35transform_pair_of_input_iterators_tIbNS6_6detail15normal_iteratorINS6_10device_ptrIKsEEEESL_NS6_8equal_toIsEEEENSG_9not_fun_tINSD_8identityEEEEENSD_19counting_iterator_tIlEES8_S8_S8_S8_S8_S8_S8_S8_EEEEPS9_S9_NSD_9__find_if7functorIS9_EEEE10hipError_tPvRmT1_T2_T3_mT4_P12ihipStream_tbEUlT_E1_NS1_11comp_targetILNS1_3genE10ELNS1_11target_archE1200ELNS1_3gpuE4ELNS1_3repE0EEENS1_30default_config_static_selectorELNS0_4arch9wavefront6targetE1EEEvS14_,comdat
	.protected	_ZN7rocprim17ROCPRIM_400000_NS6detail17trampoline_kernelINS0_14default_configENS1_22reduce_config_selectorIN6thrust23THRUST_200600_302600_NS5tupleIblNS6_9null_typeES8_S8_S8_S8_S8_S8_S8_EEEEZNS1_11reduce_implILb1ES3_NS6_12zip_iteratorINS7_INS6_11hip_rocprim26transform_input_iterator_tIbNSD_35transform_pair_of_input_iterators_tIbNS6_6detail15normal_iteratorINS6_10device_ptrIKsEEEESL_NS6_8equal_toIsEEEENSG_9not_fun_tINSD_8identityEEEEENSD_19counting_iterator_tIlEES8_S8_S8_S8_S8_S8_S8_S8_EEEEPS9_S9_NSD_9__find_if7functorIS9_EEEE10hipError_tPvRmT1_T2_T3_mT4_P12ihipStream_tbEUlT_E1_NS1_11comp_targetILNS1_3genE10ELNS1_11target_archE1200ELNS1_3gpuE4ELNS1_3repE0EEENS1_30default_config_static_selectorELNS0_4arch9wavefront6targetE1EEEvS14_ ; -- Begin function _ZN7rocprim17ROCPRIM_400000_NS6detail17trampoline_kernelINS0_14default_configENS1_22reduce_config_selectorIN6thrust23THRUST_200600_302600_NS5tupleIblNS6_9null_typeES8_S8_S8_S8_S8_S8_S8_EEEEZNS1_11reduce_implILb1ES3_NS6_12zip_iteratorINS7_INS6_11hip_rocprim26transform_input_iterator_tIbNSD_35transform_pair_of_input_iterators_tIbNS6_6detail15normal_iteratorINS6_10device_ptrIKsEEEESL_NS6_8equal_toIsEEEENSG_9not_fun_tINSD_8identityEEEEENSD_19counting_iterator_tIlEES8_S8_S8_S8_S8_S8_S8_S8_EEEEPS9_S9_NSD_9__find_if7functorIS9_EEEE10hipError_tPvRmT1_T2_T3_mT4_P12ihipStream_tbEUlT_E1_NS1_11comp_targetILNS1_3genE10ELNS1_11target_archE1200ELNS1_3gpuE4ELNS1_3repE0EEENS1_30default_config_static_selectorELNS0_4arch9wavefront6targetE1EEEvS14_
	.globl	_ZN7rocprim17ROCPRIM_400000_NS6detail17trampoline_kernelINS0_14default_configENS1_22reduce_config_selectorIN6thrust23THRUST_200600_302600_NS5tupleIblNS6_9null_typeES8_S8_S8_S8_S8_S8_S8_EEEEZNS1_11reduce_implILb1ES3_NS6_12zip_iteratorINS7_INS6_11hip_rocprim26transform_input_iterator_tIbNSD_35transform_pair_of_input_iterators_tIbNS6_6detail15normal_iteratorINS6_10device_ptrIKsEEEESL_NS6_8equal_toIsEEEENSG_9not_fun_tINSD_8identityEEEEENSD_19counting_iterator_tIlEES8_S8_S8_S8_S8_S8_S8_S8_EEEEPS9_S9_NSD_9__find_if7functorIS9_EEEE10hipError_tPvRmT1_T2_T3_mT4_P12ihipStream_tbEUlT_E1_NS1_11comp_targetILNS1_3genE10ELNS1_11target_archE1200ELNS1_3gpuE4ELNS1_3repE0EEENS1_30default_config_static_selectorELNS0_4arch9wavefront6targetE1EEEvS14_
	.p2align	8
	.type	_ZN7rocprim17ROCPRIM_400000_NS6detail17trampoline_kernelINS0_14default_configENS1_22reduce_config_selectorIN6thrust23THRUST_200600_302600_NS5tupleIblNS6_9null_typeES8_S8_S8_S8_S8_S8_S8_EEEEZNS1_11reduce_implILb1ES3_NS6_12zip_iteratorINS7_INS6_11hip_rocprim26transform_input_iterator_tIbNSD_35transform_pair_of_input_iterators_tIbNS6_6detail15normal_iteratorINS6_10device_ptrIKsEEEESL_NS6_8equal_toIsEEEENSG_9not_fun_tINSD_8identityEEEEENSD_19counting_iterator_tIlEES8_S8_S8_S8_S8_S8_S8_S8_EEEEPS9_S9_NSD_9__find_if7functorIS9_EEEE10hipError_tPvRmT1_T2_T3_mT4_P12ihipStream_tbEUlT_E1_NS1_11comp_targetILNS1_3genE10ELNS1_11target_archE1200ELNS1_3gpuE4ELNS1_3repE0EEENS1_30default_config_static_selectorELNS0_4arch9wavefront6targetE1EEEvS14_,@function
_ZN7rocprim17ROCPRIM_400000_NS6detail17trampoline_kernelINS0_14default_configENS1_22reduce_config_selectorIN6thrust23THRUST_200600_302600_NS5tupleIblNS6_9null_typeES8_S8_S8_S8_S8_S8_S8_EEEEZNS1_11reduce_implILb1ES3_NS6_12zip_iteratorINS7_INS6_11hip_rocprim26transform_input_iterator_tIbNSD_35transform_pair_of_input_iterators_tIbNS6_6detail15normal_iteratorINS6_10device_ptrIKsEEEESL_NS6_8equal_toIsEEEENSG_9not_fun_tINSD_8identityEEEEENSD_19counting_iterator_tIlEES8_S8_S8_S8_S8_S8_S8_S8_EEEEPS9_S9_NSD_9__find_if7functorIS9_EEEE10hipError_tPvRmT1_T2_T3_mT4_P12ihipStream_tbEUlT_E1_NS1_11comp_targetILNS1_3genE10ELNS1_11target_archE1200ELNS1_3gpuE4ELNS1_3repE0EEENS1_30default_config_static_selectorELNS0_4arch9wavefront6targetE1EEEvS14_: ; @_ZN7rocprim17ROCPRIM_400000_NS6detail17trampoline_kernelINS0_14default_configENS1_22reduce_config_selectorIN6thrust23THRUST_200600_302600_NS5tupleIblNS6_9null_typeES8_S8_S8_S8_S8_S8_S8_EEEEZNS1_11reduce_implILb1ES3_NS6_12zip_iteratorINS7_INS6_11hip_rocprim26transform_input_iterator_tIbNSD_35transform_pair_of_input_iterators_tIbNS6_6detail15normal_iteratorINS6_10device_ptrIKsEEEESL_NS6_8equal_toIsEEEENSG_9not_fun_tINSD_8identityEEEEENSD_19counting_iterator_tIlEES8_S8_S8_S8_S8_S8_S8_S8_EEEEPS9_S9_NSD_9__find_if7functorIS9_EEEE10hipError_tPvRmT1_T2_T3_mT4_P12ihipStream_tbEUlT_E1_NS1_11comp_targetILNS1_3genE10ELNS1_11target_archE1200ELNS1_3gpuE4ELNS1_3repE0EEENS1_30default_config_static_selectorELNS0_4arch9wavefront6targetE1EEEvS14_
; %bb.0:
	.section	.rodata,"a",@progbits
	.p2align	6, 0x0
	.amdhsa_kernel _ZN7rocprim17ROCPRIM_400000_NS6detail17trampoline_kernelINS0_14default_configENS1_22reduce_config_selectorIN6thrust23THRUST_200600_302600_NS5tupleIblNS6_9null_typeES8_S8_S8_S8_S8_S8_S8_EEEEZNS1_11reduce_implILb1ES3_NS6_12zip_iteratorINS7_INS6_11hip_rocprim26transform_input_iterator_tIbNSD_35transform_pair_of_input_iterators_tIbNS6_6detail15normal_iteratorINS6_10device_ptrIKsEEEESL_NS6_8equal_toIsEEEENSG_9not_fun_tINSD_8identityEEEEENSD_19counting_iterator_tIlEES8_S8_S8_S8_S8_S8_S8_S8_EEEEPS9_S9_NSD_9__find_if7functorIS9_EEEE10hipError_tPvRmT1_T2_T3_mT4_P12ihipStream_tbEUlT_E1_NS1_11comp_targetILNS1_3genE10ELNS1_11target_archE1200ELNS1_3gpuE4ELNS1_3repE0EEENS1_30default_config_static_selectorELNS0_4arch9wavefront6targetE1EEEvS14_
		.amdhsa_group_segment_fixed_size 0
		.amdhsa_private_segment_fixed_size 0
		.amdhsa_kernarg_size 88
		.amdhsa_user_sgpr_count 6
		.amdhsa_user_sgpr_private_segment_buffer 1
		.amdhsa_user_sgpr_dispatch_ptr 0
		.amdhsa_user_sgpr_queue_ptr 0
		.amdhsa_user_sgpr_kernarg_segment_ptr 1
		.amdhsa_user_sgpr_dispatch_id 0
		.amdhsa_user_sgpr_flat_scratch_init 0
		.amdhsa_user_sgpr_kernarg_preload_length 0
		.amdhsa_user_sgpr_kernarg_preload_offset 0
		.amdhsa_user_sgpr_private_segment_size 0
		.amdhsa_uses_dynamic_stack 0
		.amdhsa_system_sgpr_private_segment_wavefront_offset 0
		.amdhsa_system_sgpr_workgroup_id_x 1
		.amdhsa_system_sgpr_workgroup_id_y 0
		.amdhsa_system_sgpr_workgroup_id_z 0
		.amdhsa_system_sgpr_workgroup_info 0
		.amdhsa_system_vgpr_workitem_id 0
		.amdhsa_next_free_vgpr 1
		.amdhsa_next_free_sgpr 0
		.amdhsa_accum_offset 4
		.amdhsa_reserve_vcc 0
		.amdhsa_reserve_flat_scratch 0
		.amdhsa_float_round_mode_32 0
		.amdhsa_float_round_mode_16_64 0
		.amdhsa_float_denorm_mode_32 3
		.amdhsa_float_denorm_mode_16_64 3
		.amdhsa_dx10_clamp 1
		.amdhsa_ieee_mode 1
		.amdhsa_fp16_overflow 0
		.amdhsa_tg_split 0
		.amdhsa_exception_fp_ieee_invalid_op 0
		.amdhsa_exception_fp_denorm_src 0
		.amdhsa_exception_fp_ieee_div_zero 0
		.amdhsa_exception_fp_ieee_overflow 0
		.amdhsa_exception_fp_ieee_underflow 0
		.amdhsa_exception_fp_ieee_inexact 0
		.amdhsa_exception_int_div_zero 0
	.end_amdhsa_kernel
	.section	.text._ZN7rocprim17ROCPRIM_400000_NS6detail17trampoline_kernelINS0_14default_configENS1_22reduce_config_selectorIN6thrust23THRUST_200600_302600_NS5tupleIblNS6_9null_typeES8_S8_S8_S8_S8_S8_S8_EEEEZNS1_11reduce_implILb1ES3_NS6_12zip_iteratorINS7_INS6_11hip_rocprim26transform_input_iterator_tIbNSD_35transform_pair_of_input_iterators_tIbNS6_6detail15normal_iteratorINS6_10device_ptrIKsEEEESL_NS6_8equal_toIsEEEENSG_9not_fun_tINSD_8identityEEEEENSD_19counting_iterator_tIlEES8_S8_S8_S8_S8_S8_S8_S8_EEEEPS9_S9_NSD_9__find_if7functorIS9_EEEE10hipError_tPvRmT1_T2_T3_mT4_P12ihipStream_tbEUlT_E1_NS1_11comp_targetILNS1_3genE10ELNS1_11target_archE1200ELNS1_3gpuE4ELNS1_3repE0EEENS1_30default_config_static_selectorELNS0_4arch9wavefront6targetE1EEEvS14_,"axG",@progbits,_ZN7rocprim17ROCPRIM_400000_NS6detail17trampoline_kernelINS0_14default_configENS1_22reduce_config_selectorIN6thrust23THRUST_200600_302600_NS5tupleIblNS6_9null_typeES8_S8_S8_S8_S8_S8_S8_EEEEZNS1_11reduce_implILb1ES3_NS6_12zip_iteratorINS7_INS6_11hip_rocprim26transform_input_iterator_tIbNSD_35transform_pair_of_input_iterators_tIbNS6_6detail15normal_iteratorINS6_10device_ptrIKsEEEESL_NS6_8equal_toIsEEEENSG_9not_fun_tINSD_8identityEEEEENSD_19counting_iterator_tIlEES8_S8_S8_S8_S8_S8_S8_S8_EEEEPS9_S9_NSD_9__find_if7functorIS9_EEEE10hipError_tPvRmT1_T2_T3_mT4_P12ihipStream_tbEUlT_E1_NS1_11comp_targetILNS1_3genE10ELNS1_11target_archE1200ELNS1_3gpuE4ELNS1_3repE0EEENS1_30default_config_static_selectorELNS0_4arch9wavefront6targetE1EEEvS14_,comdat
.Lfunc_end313:
	.size	_ZN7rocprim17ROCPRIM_400000_NS6detail17trampoline_kernelINS0_14default_configENS1_22reduce_config_selectorIN6thrust23THRUST_200600_302600_NS5tupleIblNS6_9null_typeES8_S8_S8_S8_S8_S8_S8_EEEEZNS1_11reduce_implILb1ES3_NS6_12zip_iteratorINS7_INS6_11hip_rocprim26transform_input_iterator_tIbNSD_35transform_pair_of_input_iterators_tIbNS6_6detail15normal_iteratorINS6_10device_ptrIKsEEEESL_NS6_8equal_toIsEEEENSG_9not_fun_tINSD_8identityEEEEENSD_19counting_iterator_tIlEES8_S8_S8_S8_S8_S8_S8_S8_EEEEPS9_S9_NSD_9__find_if7functorIS9_EEEE10hipError_tPvRmT1_T2_T3_mT4_P12ihipStream_tbEUlT_E1_NS1_11comp_targetILNS1_3genE10ELNS1_11target_archE1200ELNS1_3gpuE4ELNS1_3repE0EEENS1_30default_config_static_selectorELNS0_4arch9wavefront6targetE1EEEvS14_, .Lfunc_end313-_ZN7rocprim17ROCPRIM_400000_NS6detail17trampoline_kernelINS0_14default_configENS1_22reduce_config_selectorIN6thrust23THRUST_200600_302600_NS5tupleIblNS6_9null_typeES8_S8_S8_S8_S8_S8_S8_EEEEZNS1_11reduce_implILb1ES3_NS6_12zip_iteratorINS7_INS6_11hip_rocprim26transform_input_iterator_tIbNSD_35transform_pair_of_input_iterators_tIbNS6_6detail15normal_iteratorINS6_10device_ptrIKsEEEESL_NS6_8equal_toIsEEEENSG_9not_fun_tINSD_8identityEEEEENSD_19counting_iterator_tIlEES8_S8_S8_S8_S8_S8_S8_S8_EEEEPS9_S9_NSD_9__find_if7functorIS9_EEEE10hipError_tPvRmT1_T2_T3_mT4_P12ihipStream_tbEUlT_E1_NS1_11comp_targetILNS1_3genE10ELNS1_11target_archE1200ELNS1_3gpuE4ELNS1_3repE0EEENS1_30default_config_static_selectorELNS0_4arch9wavefront6targetE1EEEvS14_
                                        ; -- End function
	.section	.AMDGPU.csdata,"",@progbits
; Kernel info:
; codeLenInByte = 0
; NumSgprs: 4
; NumVgprs: 0
; NumAgprs: 0
; TotalNumVgprs: 0
; ScratchSize: 0
; MemoryBound: 0
; FloatMode: 240
; IeeeMode: 1
; LDSByteSize: 0 bytes/workgroup (compile time only)
; SGPRBlocks: 0
; VGPRBlocks: 0
; NumSGPRsForWavesPerEU: 4
; NumVGPRsForWavesPerEU: 1
; AccumOffset: 4
; Occupancy: 8
; WaveLimiterHint : 0
; COMPUTE_PGM_RSRC2:SCRATCH_EN: 0
; COMPUTE_PGM_RSRC2:USER_SGPR: 6
; COMPUTE_PGM_RSRC2:TRAP_HANDLER: 0
; COMPUTE_PGM_RSRC2:TGID_X_EN: 1
; COMPUTE_PGM_RSRC2:TGID_Y_EN: 0
; COMPUTE_PGM_RSRC2:TGID_Z_EN: 0
; COMPUTE_PGM_RSRC2:TIDIG_COMP_CNT: 0
; COMPUTE_PGM_RSRC3_GFX90A:ACCUM_OFFSET: 0
; COMPUTE_PGM_RSRC3_GFX90A:TG_SPLIT: 0
	.section	.text._ZN7rocprim17ROCPRIM_400000_NS6detail17trampoline_kernelINS0_14default_configENS1_22reduce_config_selectorIN6thrust23THRUST_200600_302600_NS5tupleIblNS6_9null_typeES8_S8_S8_S8_S8_S8_S8_EEEEZNS1_11reduce_implILb1ES3_NS6_12zip_iteratorINS7_INS6_11hip_rocprim26transform_input_iterator_tIbNSD_35transform_pair_of_input_iterators_tIbNS6_6detail15normal_iteratorINS6_10device_ptrIKsEEEESL_NS6_8equal_toIsEEEENSG_9not_fun_tINSD_8identityEEEEENSD_19counting_iterator_tIlEES8_S8_S8_S8_S8_S8_S8_S8_EEEEPS9_S9_NSD_9__find_if7functorIS9_EEEE10hipError_tPvRmT1_T2_T3_mT4_P12ihipStream_tbEUlT_E1_NS1_11comp_targetILNS1_3genE9ELNS1_11target_archE1100ELNS1_3gpuE3ELNS1_3repE0EEENS1_30default_config_static_selectorELNS0_4arch9wavefront6targetE1EEEvS14_,"axG",@progbits,_ZN7rocprim17ROCPRIM_400000_NS6detail17trampoline_kernelINS0_14default_configENS1_22reduce_config_selectorIN6thrust23THRUST_200600_302600_NS5tupleIblNS6_9null_typeES8_S8_S8_S8_S8_S8_S8_EEEEZNS1_11reduce_implILb1ES3_NS6_12zip_iteratorINS7_INS6_11hip_rocprim26transform_input_iterator_tIbNSD_35transform_pair_of_input_iterators_tIbNS6_6detail15normal_iteratorINS6_10device_ptrIKsEEEESL_NS6_8equal_toIsEEEENSG_9not_fun_tINSD_8identityEEEEENSD_19counting_iterator_tIlEES8_S8_S8_S8_S8_S8_S8_S8_EEEEPS9_S9_NSD_9__find_if7functorIS9_EEEE10hipError_tPvRmT1_T2_T3_mT4_P12ihipStream_tbEUlT_E1_NS1_11comp_targetILNS1_3genE9ELNS1_11target_archE1100ELNS1_3gpuE3ELNS1_3repE0EEENS1_30default_config_static_selectorELNS0_4arch9wavefront6targetE1EEEvS14_,comdat
	.protected	_ZN7rocprim17ROCPRIM_400000_NS6detail17trampoline_kernelINS0_14default_configENS1_22reduce_config_selectorIN6thrust23THRUST_200600_302600_NS5tupleIblNS6_9null_typeES8_S8_S8_S8_S8_S8_S8_EEEEZNS1_11reduce_implILb1ES3_NS6_12zip_iteratorINS7_INS6_11hip_rocprim26transform_input_iterator_tIbNSD_35transform_pair_of_input_iterators_tIbNS6_6detail15normal_iteratorINS6_10device_ptrIKsEEEESL_NS6_8equal_toIsEEEENSG_9not_fun_tINSD_8identityEEEEENSD_19counting_iterator_tIlEES8_S8_S8_S8_S8_S8_S8_S8_EEEEPS9_S9_NSD_9__find_if7functorIS9_EEEE10hipError_tPvRmT1_T2_T3_mT4_P12ihipStream_tbEUlT_E1_NS1_11comp_targetILNS1_3genE9ELNS1_11target_archE1100ELNS1_3gpuE3ELNS1_3repE0EEENS1_30default_config_static_selectorELNS0_4arch9wavefront6targetE1EEEvS14_ ; -- Begin function _ZN7rocprim17ROCPRIM_400000_NS6detail17trampoline_kernelINS0_14default_configENS1_22reduce_config_selectorIN6thrust23THRUST_200600_302600_NS5tupleIblNS6_9null_typeES8_S8_S8_S8_S8_S8_S8_EEEEZNS1_11reduce_implILb1ES3_NS6_12zip_iteratorINS7_INS6_11hip_rocprim26transform_input_iterator_tIbNSD_35transform_pair_of_input_iterators_tIbNS6_6detail15normal_iteratorINS6_10device_ptrIKsEEEESL_NS6_8equal_toIsEEEENSG_9not_fun_tINSD_8identityEEEEENSD_19counting_iterator_tIlEES8_S8_S8_S8_S8_S8_S8_S8_EEEEPS9_S9_NSD_9__find_if7functorIS9_EEEE10hipError_tPvRmT1_T2_T3_mT4_P12ihipStream_tbEUlT_E1_NS1_11comp_targetILNS1_3genE9ELNS1_11target_archE1100ELNS1_3gpuE3ELNS1_3repE0EEENS1_30default_config_static_selectorELNS0_4arch9wavefront6targetE1EEEvS14_
	.globl	_ZN7rocprim17ROCPRIM_400000_NS6detail17trampoline_kernelINS0_14default_configENS1_22reduce_config_selectorIN6thrust23THRUST_200600_302600_NS5tupleIblNS6_9null_typeES8_S8_S8_S8_S8_S8_S8_EEEEZNS1_11reduce_implILb1ES3_NS6_12zip_iteratorINS7_INS6_11hip_rocprim26transform_input_iterator_tIbNSD_35transform_pair_of_input_iterators_tIbNS6_6detail15normal_iteratorINS6_10device_ptrIKsEEEESL_NS6_8equal_toIsEEEENSG_9not_fun_tINSD_8identityEEEEENSD_19counting_iterator_tIlEES8_S8_S8_S8_S8_S8_S8_S8_EEEEPS9_S9_NSD_9__find_if7functorIS9_EEEE10hipError_tPvRmT1_T2_T3_mT4_P12ihipStream_tbEUlT_E1_NS1_11comp_targetILNS1_3genE9ELNS1_11target_archE1100ELNS1_3gpuE3ELNS1_3repE0EEENS1_30default_config_static_selectorELNS0_4arch9wavefront6targetE1EEEvS14_
	.p2align	8
	.type	_ZN7rocprim17ROCPRIM_400000_NS6detail17trampoline_kernelINS0_14default_configENS1_22reduce_config_selectorIN6thrust23THRUST_200600_302600_NS5tupleIblNS6_9null_typeES8_S8_S8_S8_S8_S8_S8_EEEEZNS1_11reduce_implILb1ES3_NS6_12zip_iteratorINS7_INS6_11hip_rocprim26transform_input_iterator_tIbNSD_35transform_pair_of_input_iterators_tIbNS6_6detail15normal_iteratorINS6_10device_ptrIKsEEEESL_NS6_8equal_toIsEEEENSG_9not_fun_tINSD_8identityEEEEENSD_19counting_iterator_tIlEES8_S8_S8_S8_S8_S8_S8_S8_EEEEPS9_S9_NSD_9__find_if7functorIS9_EEEE10hipError_tPvRmT1_T2_T3_mT4_P12ihipStream_tbEUlT_E1_NS1_11comp_targetILNS1_3genE9ELNS1_11target_archE1100ELNS1_3gpuE3ELNS1_3repE0EEENS1_30default_config_static_selectorELNS0_4arch9wavefront6targetE1EEEvS14_,@function
_ZN7rocprim17ROCPRIM_400000_NS6detail17trampoline_kernelINS0_14default_configENS1_22reduce_config_selectorIN6thrust23THRUST_200600_302600_NS5tupleIblNS6_9null_typeES8_S8_S8_S8_S8_S8_S8_EEEEZNS1_11reduce_implILb1ES3_NS6_12zip_iteratorINS7_INS6_11hip_rocprim26transform_input_iterator_tIbNSD_35transform_pair_of_input_iterators_tIbNS6_6detail15normal_iteratorINS6_10device_ptrIKsEEEESL_NS6_8equal_toIsEEEENSG_9not_fun_tINSD_8identityEEEEENSD_19counting_iterator_tIlEES8_S8_S8_S8_S8_S8_S8_S8_EEEEPS9_S9_NSD_9__find_if7functorIS9_EEEE10hipError_tPvRmT1_T2_T3_mT4_P12ihipStream_tbEUlT_E1_NS1_11comp_targetILNS1_3genE9ELNS1_11target_archE1100ELNS1_3gpuE3ELNS1_3repE0EEENS1_30default_config_static_selectorELNS0_4arch9wavefront6targetE1EEEvS14_: ; @_ZN7rocprim17ROCPRIM_400000_NS6detail17trampoline_kernelINS0_14default_configENS1_22reduce_config_selectorIN6thrust23THRUST_200600_302600_NS5tupleIblNS6_9null_typeES8_S8_S8_S8_S8_S8_S8_EEEEZNS1_11reduce_implILb1ES3_NS6_12zip_iteratorINS7_INS6_11hip_rocprim26transform_input_iterator_tIbNSD_35transform_pair_of_input_iterators_tIbNS6_6detail15normal_iteratorINS6_10device_ptrIKsEEEESL_NS6_8equal_toIsEEEENSG_9not_fun_tINSD_8identityEEEEENSD_19counting_iterator_tIlEES8_S8_S8_S8_S8_S8_S8_S8_EEEEPS9_S9_NSD_9__find_if7functorIS9_EEEE10hipError_tPvRmT1_T2_T3_mT4_P12ihipStream_tbEUlT_E1_NS1_11comp_targetILNS1_3genE9ELNS1_11target_archE1100ELNS1_3gpuE3ELNS1_3repE0EEENS1_30default_config_static_selectorELNS0_4arch9wavefront6targetE1EEEvS14_
; %bb.0:
	.section	.rodata,"a",@progbits
	.p2align	6, 0x0
	.amdhsa_kernel _ZN7rocprim17ROCPRIM_400000_NS6detail17trampoline_kernelINS0_14default_configENS1_22reduce_config_selectorIN6thrust23THRUST_200600_302600_NS5tupleIblNS6_9null_typeES8_S8_S8_S8_S8_S8_S8_EEEEZNS1_11reduce_implILb1ES3_NS6_12zip_iteratorINS7_INS6_11hip_rocprim26transform_input_iterator_tIbNSD_35transform_pair_of_input_iterators_tIbNS6_6detail15normal_iteratorINS6_10device_ptrIKsEEEESL_NS6_8equal_toIsEEEENSG_9not_fun_tINSD_8identityEEEEENSD_19counting_iterator_tIlEES8_S8_S8_S8_S8_S8_S8_S8_EEEEPS9_S9_NSD_9__find_if7functorIS9_EEEE10hipError_tPvRmT1_T2_T3_mT4_P12ihipStream_tbEUlT_E1_NS1_11comp_targetILNS1_3genE9ELNS1_11target_archE1100ELNS1_3gpuE3ELNS1_3repE0EEENS1_30default_config_static_selectorELNS0_4arch9wavefront6targetE1EEEvS14_
		.amdhsa_group_segment_fixed_size 0
		.amdhsa_private_segment_fixed_size 0
		.amdhsa_kernarg_size 88
		.amdhsa_user_sgpr_count 6
		.amdhsa_user_sgpr_private_segment_buffer 1
		.amdhsa_user_sgpr_dispatch_ptr 0
		.amdhsa_user_sgpr_queue_ptr 0
		.amdhsa_user_sgpr_kernarg_segment_ptr 1
		.amdhsa_user_sgpr_dispatch_id 0
		.amdhsa_user_sgpr_flat_scratch_init 0
		.amdhsa_user_sgpr_kernarg_preload_length 0
		.amdhsa_user_sgpr_kernarg_preload_offset 0
		.amdhsa_user_sgpr_private_segment_size 0
		.amdhsa_uses_dynamic_stack 0
		.amdhsa_system_sgpr_private_segment_wavefront_offset 0
		.amdhsa_system_sgpr_workgroup_id_x 1
		.amdhsa_system_sgpr_workgroup_id_y 0
		.amdhsa_system_sgpr_workgroup_id_z 0
		.amdhsa_system_sgpr_workgroup_info 0
		.amdhsa_system_vgpr_workitem_id 0
		.amdhsa_next_free_vgpr 1
		.amdhsa_next_free_sgpr 0
		.amdhsa_accum_offset 4
		.amdhsa_reserve_vcc 0
		.amdhsa_reserve_flat_scratch 0
		.amdhsa_float_round_mode_32 0
		.amdhsa_float_round_mode_16_64 0
		.amdhsa_float_denorm_mode_32 3
		.amdhsa_float_denorm_mode_16_64 3
		.amdhsa_dx10_clamp 1
		.amdhsa_ieee_mode 1
		.amdhsa_fp16_overflow 0
		.amdhsa_tg_split 0
		.amdhsa_exception_fp_ieee_invalid_op 0
		.amdhsa_exception_fp_denorm_src 0
		.amdhsa_exception_fp_ieee_div_zero 0
		.amdhsa_exception_fp_ieee_overflow 0
		.amdhsa_exception_fp_ieee_underflow 0
		.amdhsa_exception_fp_ieee_inexact 0
		.amdhsa_exception_int_div_zero 0
	.end_amdhsa_kernel
	.section	.text._ZN7rocprim17ROCPRIM_400000_NS6detail17trampoline_kernelINS0_14default_configENS1_22reduce_config_selectorIN6thrust23THRUST_200600_302600_NS5tupleIblNS6_9null_typeES8_S8_S8_S8_S8_S8_S8_EEEEZNS1_11reduce_implILb1ES3_NS6_12zip_iteratorINS7_INS6_11hip_rocprim26transform_input_iterator_tIbNSD_35transform_pair_of_input_iterators_tIbNS6_6detail15normal_iteratorINS6_10device_ptrIKsEEEESL_NS6_8equal_toIsEEEENSG_9not_fun_tINSD_8identityEEEEENSD_19counting_iterator_tIlEES8_S8_S8_S8_S8_S8_S8_S8_EEEEPS9_S9_NSD_9__find_if7functorIS9_EEEE10hipError_tPvRmT1_T2_T3_mT4_P12ihipStream_tbEUlT_E1_NS1_11comp_targetILNS1_3genE9ELNS1_11target_archE1100ELNS1_3gpuE3ELNS1_3repE0EEENS1_30default_config_static_selectorELNS0_4arch9wavefront6targetE1EEEvS14_,"axG",@progbits,_ZN7rocprim17ROCPRIM_400000_NS6detail17trampoline_kernelINS0_14default_configENS1_22reduce_config_selectorIN6thrust23THRUST_200600_302600_NS5tupleIblNS6_9null_typeES8_S8_S8_S8_S8_S8_S8_EEEEZNS1_11reduce_implILb1ES3_NS6_12zip_iteratorINS7_INS6_11hip_rocprim26transform_input_iterator_tIbNSD_35transform_pair_of_input_iterators_tIbNS6_6detail15normal_iteratorINS6_10device_ptrIKsEEEESL_NS6_8equal_toIsEEEENSG_9not_fun_tINSD_8identityEEEEENSD_19counting_iterator_tIlEES8_S8_S8_S8_S8_S8_S8_S8_EEEEPS9_S9_NSD_9__find_if7functorIS9_EEEE10hipError_tPvRmT1_T2_T3_mT4_P12ihipStream_tbEUlT_E1_NS1_11comp_targetILNS1_3genE9ELNS1_11target_archE1100ELNS1_3gpuE3ELNS1_3repE0EEENS1_30default_config_static_selectorELNS0_4arch9wavefront6targetE1EEEvS14_,comdat
.Lfunc_end314:
	.size	_ZN7rocprim17ROCPRIM_400000_NS6detail17trampoline_kernelINS0_14default_configENS1_22reduce_config_selectorIN6thrust23THRUST_200600_302600_NS5tupleIblNS6_9null_typeES8_S8_S8_S8_S8_S8_S8_EEEEZNS1_11reduce_implILb1ES3_NS6_12zip_iteratorINS7_INS6_11hip_rocprim26transform_input_iterator_tIbNSD_35transform_pair_of_input_iterators_tIbNS6_6detail15normal_iteratorINS6_10device_ptrIKsEEEESL_NS6_8equal_toIsEEEENSG_9not_fun_tINSD_8identityEEEEENSD_19counting_iterator_tIlEES8_S8_S8_S8_S8_S8_S8_S8_EEEEPS9_S9_NSD_9__find_if7functorIS9_EEEE10hipError_tPvRmT1_T2_T3_mT4_P12ihipStream_tbEUlT_E1_NS1_11comp_targetILNS1_3genE9ELNS1_11target_archE1100ELNS1_3gpuE3ELNS1_3repE0EEENS1_30default_config_static_selectorELNS0_4arch9wavefront6targetE1EEEvS14_, .Lfunc_end314-_ZN7rocprim17ROCPRIM_400000_NS6detail17trampoline_kernelINS0_14default_configENS1_22reduce_config_selectorIN6thrust23THRUST_200600_302600_NS5tupleIblNS6_9null_typeES8_S8_S8_S8_S8_S8_S8_EEEEZNS1_11reduce_implILb1ES3_NS6_12zip_iteratorINS7_INS6_11hip_rocprim26transform_input_iterator_tIbNSD_35transform_pair_of_input_iterators_tIbNS6_6detail15normal_iteratorINS6_10device_ptrIKsEEEESL_NS6_8equal_toIsEEEENSG_9not_fun_tINSD_8identityEEEEENSD_19counting_iterator_tIlEES8_S8_S8_S8_S8_S8_S8_S8_EEEEPS9_S9_NSD_9__find_if7functorIS9_EEEE10hipError_tPvRmT1_T2_T3_mT4_P12ihipStream_tbEUlT_E1_NS1_11comp_targetILNS1_3genE9ELNS1_11target_archE1100ELNS1_3gpuE3ELNS1_3repE0EEENS1_30default_config_static_selectorELNS0_4arch9wavefront6targetE1EEEvS14_
                                        ; -- End function
	.section	.AMDGPU.csdata,"",@progbits
; Kernel info:
; codeLenInByte = 0
; NumSgprs: 4
; NumVgprs: 0
; NumAgprs: 0
; TotalNumVgprs: 0
; ScratchSize: 0
; MemoryBound: 0
; FloatMode: 240
; IeeeMode: 1
; LDSByteSize: 0 bytes/workgroup (compile time only)
; SGPRBlocks: 0
; VGPRBlocks: 0
; NumSGPRsForWavesPerEU: 4
; NumVGPRsForWavesPerEU: 1
; AccumOffset: 4
; Occupancy: 8
; WaveLimiterHint : 0
; COMPUTE_PGM_RSRC2:SCRATCH_EN: 0
; COMPUTE_PGM_RSRC2:USER_SGPR: 6
; COMPUTE_PGM_RSRC2:TRAP_HANDLER: 0
; COMPUTE_PGM_RSRC2:TGID_X_EN: 1
; COMPUTE_PGM_RSRC2:TGID_Y_EN: 0
; COMPUTE_PGM_RSRC2:TGID_Z_EN: 0
; COMPUTE_PGM_RSRC2:TIDIG_COMP_CNT: 0
; COMPUTE_PGM_RSRC3_GFX90A:ACCUM_OFFSET: 0
; COMPUTE_PGM_RSRC3_GFX90A:TG_SPLIT: 0
	.section	.text._ZN7rocprim17ROCPRIM_400000_NS6detail17trampoline_kernelINS0_14default_configENS1_22reduce_config_selectorIN6thrust23THRUST_200600_302600_NS5tupleIblNS6_9null_typeES8_S8_S8_S8_S8_S8_S8_EEEEZNS1_11reduce_implILb1ES3_NS6_12zip_iteratorINS7_INS6_11hip_rocprim26transform_input_iterator_tIbNSD_35transform_pair_of_input_iterators_tIbNS6_6detail15normal_iteratorINS6_10device_ptrIKsEEEESL_NS6_8equal_toIsEEEENSG_9not_fun_tINSD_8identityEEEEENSD_19counting_iterator_tIlEES8_S8_S8_S8_S8_S8_S8_S8_EEEEPS9_S9_NSD_9__find_if7functorIS9_EEEE10hipError_tPvRmT1_T2_T3_mT4_P12ihipStream_tbEUlT_E1_NS1_11comp_targetILNS1_3genE8ELNS1_11target_archE1030ELNS1_3gpuE2ELNS1_3repE0EEENS1_30default_config_static_selectorELNS0_4arch9wavefront6targetE1EEEvS14_,"axG",@progbits,_ZN7rocprim17ROCPRIM_400000_NS6detail17trampoline_kernelINS0_14default_configENS1_22reduce_config_selectorIN6thrust23THRUST_200600_302600_NS5tupleIblNS6_9null_typeES8_S8_S8_S8_S8_S8_S8_EEEEZNS1_11reduce_implILb1ES3_NS6_12zip_iteratorINS7_INS6_11hip_rocprim26transform_input_iterator_tIbNSD_35transform_pair_of_input_iterators_tIbNS6_6detail15normal_iteratorINS6_10device_ptrIKsEEEESL_NS6_8equal_toIsEEEENSG_9not_fun_tINSD_8identityEEEEENSD_19counting_iterator_tIlEES8_S8_S8_S8_S8_S8_S8_S8_EEEEPS9_S9_NSD_9__find_if7functorIS9_EEEE10hipError_tPvRmT1_T2_T3_mT4_P12ihipStream_tbEUlT_E1_NS1_11comp_targetILNS1_3genE8ELNS1_11target_archE1030ELNS1_3gpuE2ELNS1_3repE0EEENS1_30default_config_static_selectorELNS0_4arch9wavefront6targetE1EEEvS14_,comdat
	.protected	_ZN7rocprim17ROCPRIM_400000_NS6detail17trampoline_kernelINS0_14default_configENS1_22reduce_config_selectorIN6thrust23THRUST_200600_302600_NS5tupleIblNS6_9null_typeES8_S8_S8_S8_S8_S8_S8_EEEEZNS1_11reduce_implILb1ES3_NS6_12zip_iteratorINS7_INS6_11hip_rocprim26transform_input_iterator_tIbNSD_35transform_pair_of_input_iterators_tIbNS6_6detail15normal_iteratorINS6_10device_ptrIKsEEEESL_NS6_8equal_toIsEEEENSG_9not_fun_tINSD_8identityEEEEENSD_19counting_iterator_tIlEES8_S8_S8_S8_S8_S8_S8_S8_EEEEPS9_S9_NSD_9__find_if7functorIS9_EEEE10hipError_tPvRmT1_T2_T3_mT4_P12ihipStream_tbEUlT_E1_NS1_11comp_targetILNS1_3genE8ELNS1_11target_archE1030ELNS1_3gpuE2ELNS1_3repE0EEENS1_30default_config_static_selectorELNS0_4arch9wavefront6targetE1EEEvS14_ ; -- Begin function _ZN7rocprim17ROCPRIM_400000_NS6detail17trampoline_kernelINS0_14default_configENS1_22reduce_config_selectorIN6thrust23THRUST_200600_302600_NS5tupleIblNS6_9null_typeES8_S8_S8_S8_S8_S8_S8_EEEEZNS1_11reduce_implILb1ES3_NS6_12zip_iteratorINS7_INS6_11hip_rocprim26transform_input_iterator_tIbNSD_35transform_pair_of_input_iterators_tIbNS6_6detail15normal_iteratorINS6_10device_ptrIKsEEEESL_NS6_8equal_toIsEEEENSG_9not_fun_tINSD_8identityEEEEENSD_19counting_iterator_tIlEES8_S8_S8_S8_S8_S8_S8_S8_EEEEPS9_S9_NSD_9__find_if7functorIS9_EEEE10hipError_tPvRmT1_T2_T3_mT4_P12ihipStream_tbEUlT_E1_NS1_11comp_targetILNS1_3genE8ELNS1_11target_archE1030ELNS1_3gpuE2ELNS1_3repE0EEENS1_30default_config_static_selectorELNS0_4arch9wavefront6targetE1EEEvS14_
	.globl	_ZN7rocprim17ROCPRIM_400000_NS6detail17trampoline_kernelINS0_14default_configENS1_22reduce_config_selectorIN6thrust23THRUST_200600_302600_NS5tupleIblNS6_9null_typeES8_S8_S8_S8_S8_S8_S8_EEEEZNS1_11reduce_implILb1ES3_NS6_12zip_iteratorINS7_INS6_11hip_rocprim26transform_input_iterator_tIbNSD_35transform_pair_of_input_iterators_tIbNS6_6detail15normal_iteratorINS6_10device_ptrIKsEEEESL_NS6_8equal_toIsEEEENSG_9not_fun_tINSD_8identityEEEEENSD_19counting_iterator_tIlEES8_S8_S8_S8_S8_S8_S8_S8_EEEEPS9_S9_NSD_9__find_if7functorIS9_EEEE10hipError_tPvRmT1_T2_T3_mT4_P12ihipStream_tbEUlT_E1_NS1_11comp_targetILNS1_3genE8ELNS1_11target_archE1030ELNS1_3gpuE2ELNS1_3repE0EEENS1_30default_config_static_selectorELNS0_4arch9wavefront6targetE1EEEvS14_
	.p2align	8
	.type	_ZN7rocprim17ROCPRIM_400000_NS6detail17trampoline_kernelINS0_14default_configENS1_22reduce_config_selectorIN6thrust23THRUST_200600_302600_NS5tupleIblNS6_9null_typeES8_S8_S8_S8_S8_S8_S8_EEEEZNS1_11reduce_implILb1ES3_NS6_12zip_iteratorINS7_INS6_11hip_rocprim26transform_input_iterator_tIbNSD_35transform_pair_of_input_iterators_tIbNS6_6detail15normal_iteratorINS6_10device_ptrIKsEEEESL_NS6_8equal_toIsEEEENSG_9not_fun_tINSD_8identityEEEEENSD_19counting_iterator_tIlEES8_S8_S8_S8_S8_S8_S8_S8_EEEEPS9_S9_NSD_9__find_if7functorIS9_EEEE10hipError_tPvRmT1_T2_T3_mT4_P12ihipStream_tbEUlT_E1_NS1_11comp_targetILNS1_3genE8ELNS1_11target_archE1030ELNS1_3gpuE2ELNS1_3repE0EEENS1_30default_config_static_selectorELNS0_4arch9wavefront6targetE1EEEvS14_,@function
_ZN7rocprim17ROCPRIM_400000_NS6detail17trampoline_kernelINS0_14default_configENS1_22reduce_config_selectorIN6thrust23THRUST_200600_302600_NS5tupleIblNS6_9null_typeES8_S8_S8_S8_S8_S8_S8_EEEEZNS1_11reduce_implILb1ES3_NS6_12zip_iteratorINS7_INS6_11hip_rocprim26transform_input_iterator_tIbNSD_35transform_pair_of_input_iterators_tIbNS6_6detail15normal_iteratorINS6_10device_ptrIKsEEEESL_NS6_8equal_toIsEEEENSG_9not_fun_tINSD_8identityEEEEENSD_19counting_iterator_tIlEES8_S8_S8_S8_S8_S8_S8_S8_EEEEPS9_S9_NSD_9__find_if7functorIS9_EEEE10hipError_tPvRmT1_T2_T3_mT4_P12ihipStream_tbEUlT_E1_NS1_11comp_targetILNS1_3genE8ELNS1_11target_archE1030ELNS1_3gpuE2ELNS1_3repE0EEENS1_30default_config_static_selectorELNS0_4arch9wavefront6targetE1EEEvS14_: ; @_ZN7rocprim17ROCPRIM_400000_NS6detail17trampoline_kernelINS0_14default_configENS1_22reduce_config_selectorIN6thrust23THRUST_200600_302600_NS5tupleIblNS6_9null_typeES8_S8_S8_S8_S8_S8_S8_EEEEZNS1_11reduce_implILb1ES3_NS6_12zip_iteratorINS7_INS6_11hip_rocprim26transform_input_iterator_tIbNSD_35transform_pair_of_input_iterators_tIbNS6_6detail15normal_iteratorINS6_10device_ptrIKsEEEESL_NS6_8equal_toIsEEEENSG_9not_fun_tINSD_8identityEEEEENSD_19counting_iterator_tIlEES8_S8_S8_S8_S8_S8_S8_S8_EEEEPS9_S9_NSD_9__find_if7functorIS9_EEEE10hipError_tPvRmT1_T2_T3_mT4_P12ihipStream_tbEUlT_E1_NS1_11comp_targetILNS1_3genE8ELNS1_11target_archE1030ELNS1_3gpuE2ELNS1_3repE0EEENS1_30default_config_static_selectorELNS0_4arch9wavefront6targetE1EEEvS14_
; %bb.0:
	.section	.rodata,"a",@progbits
	.p2align	6, 0x0
	.amdhsa_kernel _ZN7rocprim17ROCPRIM_400000_NS6detail17trampoline_kernelINS0_14default_configENS1_22reduce_config_selectorIN6thrust23THRUST_200600_302600_NS5tupleIblNS6_9null_typeES8_S8_S8_S8_S8_S8_S8_EEEEZNS1_11reduce_implILb1ES3_NS6_12zip_iteratorINS7_INS6_11hip_rocprim26transform_input_iterator_tIbNSD_35transform_pair_of_input_iterators_tIbNS6_6detail15normal_iteratorINS6_10device_ptrIKsEEEESL_NS6_8equal_toIsEEEENSG_9not_fun_tINSD_8identityEEEEENSD_19counting_iterator_tIlEES8_S8_S8_S8_S8_S8_S8_S8_EEEEPS9_S9_NSD_9__find_if7functorIS9_EEEE10hipError_tPvRmT1_T2_T3_mT4_P12ihipStream_tbEUlT_E1_NS1_11comp_targetILNS1_3genE8ELNS1_11target_archE1030ELNS1_3gpuE2ELNS1_3repE0EEENS1_30default_config_static_selectorELNS0_4arch9wavefront6targetE1EEEvS14_
		.amdhsa_group_segment_fixed_size 0
		.amdhsa_private_segment_fixed_size 0
		.amdhsa_kernarg_size 88
		.amdhsa_user_sgpr_count 6
		.amdhsa_user_sgpr_private_segment_buffer 1
		.amdhsa_user_sgpr_dispatch_ptr 0
		.amdhsa_user_sgpr_queue_ptr 0
		.amdhsa_user_sgpr_kernarg_segment_ptr 1
		.amdhsa_user_sgpr_dispatch_id 0
		.amdhsa_user_sgpr_flat_scratch_init 0
		.amdhsa_user_sgpr_kernarg_preload_length 0
		.amdhsa_user_sgpr_kernarg_preload_offset 0
		.amdhsa_user_sgpr_private_segment_size 0
		.amdhsa_uses_dynamic_stack 0
		.amdhsa_system_sgpr_private_segment_wavefront_offset 0
		.amdhsa_system_sgpr_workgroup_id_x 1
		.amdhsa_system_sgpr_workgroup_id_y 0
		.amdhsa_system_sgpr_workgroup_id_z 0
		.amdhsa_system_sgpr_workgroup_info 0
		.amdhsa_system_vgpr_workitem_id 0
		.amdhsa_next_free_vgpr 1
		.amdhsa_next_free_sgpr 0
		.amdhsa_accum_offset 4
		.amdhsa_reserve_vcc 0
		.amdhsa_reserve_flat_scratch 0
		.amdhsa_float_round_mode_32 0
		.amdhsa_float_round_mode_16_64 0
		.amdhsa_float_denorm_mode_32 3
		.amdhsa_float_denorm_mode_16_64 3
		.amdhsa_dx10_clamp 1
		.amdhsa_ieee_mode 1
		.amdhsa_fp16_overflow 0
		.amdhsa_tg_split 0
		.amdhsa_exception_fp_ieee_invalid_op 0
		.amdhsa_exception_fp_denorm_src 0
		.amdhsa_exception_fp_ieee_div_zero 0
		.amdhsa_exception_fp_ieee_overflow 0
		.amdhsa_exception_fp_ieee_underflow 0
		.amdhsa_exception_fp_ieee_inexact 0
		.amdhsa_exception_int_div_zero 0
	.end_amdhsa_kernel
	.section	.text._ZN7rocprim17ROCPRIM_400000_NS6detail17trampoline_kernelINS0_14default_configENS1_22reduce_config_selectorIN6thrust23THRUST_200600_302600_NS5tupleIblNS6_9null_typeES8_S8_S8_S8_S8_S8_S8_EEEEZNS1_11reduce_implILb1ES3_NS6_12zip_iteratorINS7_INS6_11hip_rocprim26transform_input_iterator_tIbNSD_35transform_pair_of_input_iterators_tIbNS6_6detail15normal_iteratorINS6_10device_ptrIKsEEEESL_NS6_8equal_toIsEEEENSG_9not_fun_tINSD_8identityEEEEENSD_19counting_iterator_tIlEES8_S8_S8_S8_S8_S8_S8_S8_EEEEPS9_S9_NSD_9__find_if7functorIS9_EEEE10hipError_tPvRmT1_T2_T3_mT4_P12ihipStream_tbEUlT_E1_NS1_11comp_targetILNS1_3genE8ELNS1_11target_archE1030ELNS1_3gpuE2ELNS1_3repE0EEENS1_30default_config_static_selectorELNS0_4arch9wavefront6targetE1EEEvS14_,"axG",@progbits,_ZN7rocprim17ROCPRIM_400000_NS6detail17trampoline_kernelINS0_14default_configENS1_22reduce_config_selectorIN6thrust23THRUST_200600_302600_NS5tupleIblNS6_9null_typeES8_S8_S8_S8_S8_S8_S8_EEEEZNS1_11reduce_implILb1ES3_NS6_12zip_iteratorINS7_INS6_11hip_rocprim26transform_input_iterator_tIbNSD_35transform_pair_of_input_iterators_tIbNS6_6detail15normal_iteratorINS6_10device_ptrIKsEEEESL_NS6_8equal_toIsEEEENSG_9not_fun_tINSD_8identityEEEEENSD_19counting_iterator_tIlEES8_S8_S8_S8_S8_S8_S8_S8_EEEEPS9_S9_NSD_9__find_if7functorIS9_EEEE10hipError_tPvRmT1_T2_T3_mT4_P12ihipStream_tbEUlT_E1_NS1_11comp_targetILNS1_3genE8ELNS1_11target_archE1030ELNS1_3gpuE2ELNS1_3repE0EEENS1_30default_config_static_selectorELNS0_4arch9wavefront6targetE1EEEvS14_,comdat
.Lfunc_end315:
	.size	_ZN7rocprim17ROCPRIM_400000_NS6detail17trampoline_kernelINS0_14default_configENS1_22reduce_config_selectorIN6thrust23THRUST_200600_302600_NS5tupleIblNS6_9null_typeES8_S8_S8_S8_S8_S8_S8_EEEEZNS1_11reduce_implILb1ES3_NS6_12zip_iteratorINS7_INS6_11hip_rocprim26transform_input_iterator_tIbNSD_35transform_pair_of_input_iterators_tIbNS6_6detail15normal_iteratorINS6_10device_ptrIKsEEEESL_NS6_8equal_toIsEEEENSG_9not_fun_tINSD_8identityEEEEENSD_19counting_iterator_tIlEES8_S8_S8_S8_S8_S8_S8_S8_EEEEPS9_S9_NSD_9__find_if7functorIS9_EEEE10hipError_tPvRmT1_T2_T3_mT4_P12ihipStream_tbEUlT_E1_NS1_11comp_targetILNS1_3genE8ELNS1_11target_archE1030ELNS1_3gpuE2ELNS1_3repE0EEENS1_30default_config_static_selectorELNS0_4arch9wavefront6targetE1EEEvS14_, .Lfunc_end315-_ZN7rocprim17ROCPRIM_400000_NS6detail17trampoline_kernelINS0_14default_configENS1_22reduce_config_selectorIN6thrust23THRUST_200600_302600_NS5tupleIblNS6_9null_typeES8_S8_S8_S8_S8_S8_S8_EEEEZNS1_11reduce_implILb1ES3_NS6_12zip_iteratorINS7_INS6_11hip_rocprim26transform_input_iterator_tIbNSD_35transform_pair_of_input_iterators_tIbNS6_6detail15normal_iteratorINS6_10device_ptrIKsEEEESL_NS6_8equal_toIsEEEENSG_9not_fun_tINSD_8identityEEEEENSD_19counting_iterator_tIlEES8_S8_S8_S8_S8_S8_S8_S8_EEEEPS9_S9_NSD_9__find_if7functorIS9_EEEE10hipError_tPvRmT1_T2_T3_mT4_P12ihipStream_tbEUlT_E1_NS1_11comp_targetILNS1_3genE8ELNS1_11target_archE1030ELNS1_3gpuE2ELNS1_3repE0EEENS1_30default_config_static_selectorELNS0_4arch9wavefront6targetE1EEEvS14_
                                        ; -- End function
	.section	.AMDGPU.csdata,"",@progbits
; Kernel info:
; codeLenInByte = 0
; NumSgprs: 4
; NumVgprs: 0
; NumAgprs: 0
; TotalNumVgprs: 0
; ScratchSize: 0
; MemoryBound: 0
; FloatMode: 240
; IeeeMode: 1
; LDSByteSize: 0 bytes/workgroup (compile time only)
; SGPRBlocks: 0
; VGPRBlocks: 0
; NumSGPRsForWavesPerEU: 4
; NumVGPRsForWavesPerEU: 1
; AccumOffset: 4
; Occupancy: 8
; WaveLimiterHint : 0
; COMPUTE_PGM_RSRC2:SCRATCH_EN: 0
; COMPUTE_PGM_RSRC2:USER_SGPR: 6
; COMPUTE_PGM_RSRC2:TRAP_HANDLER: 0
; COMPUTE_PGM_RSRC2:TGID_X_EN: 1
; COMPUTE_PGM_RSRC2:TGID_Y_EN: 0
; COMPUTE_PGM_RSRC2:TGID_Z_EN: 0
; COMPUTE_PGM_RSRC2:TIDIG_COMP_CNT: 0
; COMPUTE_PGM_RSRC3_GFX90A:ACCUM_OFFSET: 0
; COMPUTE_PGM_RSRC3_GFX90A:TG_SPLIT: 0
	.section	.text._ZN6thrust23THRUST_200600_302600_NS11hip_rocprim14__parallel_for6kernelILj256ENS1_20__uninitialized_fill7functorINS0_10device_ptrIiEEiEEmLj1EEEvT0_T1_SA_,"axG",@progbits,_ZN6thrust23THRUST_200600_302600_NS11hip_rocprim14__parallel_for6kernelILj256ENS1_20__uninitialized_fill7functorINS0_10device_ptrIiEEiEEmLj1EEEvT0_T1_SA_,comdat
	.protected	_ZN6thrust23THRUST_200600_302600_NS11hip_rocprim14__parallel_for6kernelILj256ENS1_20__uninitialized_fill7functorINS0_10device_ptrIiEEiEEmLj1EEEvT0_T1_SA_ ; -- Begin function _ZN6thrust23THRUST_200600_302600_NS11hip_rocprim14__parallel_for6kernelILj256ENS1_20__uninitialized_fill7functorINS0_10device_ptrIiEEiEEmLj1EEEvT0_T1_SA_
	.globl	_ZN6thrust23THRUST_200600_302600_NS11hip_rocprim14__parallel_for6kernelILj256ENS1_20__uninitialized_fill7functorINS0_10device_ptrIiEEiEEmLj1EEEvT0_T1_SA_
	.p2align	8
	.type	_ZN6thrust23THRUST_200600_302600_NS11hip_rocprim14__parallel_for6kernelILj256ENS1_20__uninitialized_fill7functorINS0_10device_ptrIiEEiEEmLj1EEEvT0_T1_SA_,@function
_ZN6thrust23THRUST_200600_302600_NS11hip_rocprim14__parallel_for6kernelILj256ENS1_20__uninitialized_fill7functorINS0_10device_ptrIiEEiEEmLj1EEEvT0_T1_SA_: ; @_ZN6thrust23THRUST_200600_302600_NS11hip_rocprim14__parallel_for6kernelILj256ENS1_20__uninitialized_fill7functorINS0_10device_ptrIiEEiEEmLj1EEEvT0_T1_SA_
; %bb.0:
	s_load_dwordx4 s[8:11], s[4:5], 0x10
	s_lshl_b32 s0, s6, 8
	v_mov_b32_e32 v2, 0x100
	v_mov_b32_e32 v3, 0
	s_waitcnt lgkmcnt(0)
	s_add_u32 s0, s0, s10
	s_addc_u32 s1, 0, s11
	s_sub_u32 s2, s8, s0
	s_subb_u32 s3, s9, s1
	v_cmp_lt_u64_e32 vcc, s[2:3], v[2:3]
	s_cbranch_vccz .LBB316_2
; %bb.1:
	v_cmp_gt_u32_e32 vcc, s2, v0
	s_and_b64 s[2:3], vcc, exec
	s_cbranch_execz .LBB316_3
	s_branch .LBB316_4
.LBB316_2:
	s_mov_b64 s[2:3], 0
.LBB316_3:
	s_or_b64 s[2:3], s[2:3], exec
.LBB316_4:
	s_and_saveexec_b64 s[6:7], s[2:3]
	s_cbranch_execnz .LBB316_6
; %bb.5:
	s_endpgm
.LBB316_6:
	s_load_dwordx2 s[2:3], s[4:5], 0x0
	s_load_dword s6, s[4:5], 0x8
	s_lshl_b64 s[0:1], s[0:1], 2
	v_mov_b32_e32 v1, 0
	v_lshlrev_b64 v[0:1], 2, v[0:1]
	s_waitcnt lgkmcnt(0)
	s_add_u32 s0, s2, s0
	s_addc_u32 s1, s3, s1
	v_mov_b32_e32 v2, s1
	v_add_co_u32_e32 v0, vcc, s0, v0
	v_addc_co_u32_e32 v1, vcc, v2, v1, vcc
	v_mov_b32_e32 v2, s6
	flat_store_dword v[0:1], v2
	s_endpgm
	.section	.rodata,"a",@progbits
	.p2align	6, 0x0
	.amdhsa_kernel _ZN6thrust23THRUST_200600_302600_NS11hip_rocprim14__parallel_for6kernelILj256ENS1_20__uninitialized_fill7functorINS0_10device_ptrIiEEiEEmLj1EEEvT0_T1_SA_
		.amdhsa_group_segment_fixed_size 0
		.amdhsa_private_segment_fixed_size 0
		.amdhsa_kernarg_size 32
		.amdhsa_user_sgpr_count 6
		.amdhsa_user_sgpr_private_segment_buffer 1
		.amdhsa_user_sgpr_dispatch_ptr 0
		.amdhsa_user_sgpr_queue_ptr 0
		.amdhsa_user_sgpr_kernarg_segment_ptr 1
		.amdhsa_user_sgpr_dispatch_id 0
		.amdhsa_user_sgpr_flat_scratch_init 0
		.amdhsa_user_sgpr_kernarg_preload_length 0
		.amdhsa_user_sgpr_kernarg_preload_offset 0
		.amdhsa_user_sgpr_private_segment_size 0
		.amdhsa_uses_dynamic_stack 0
		.amdhsa_system_sgpr_private_segment_wavefront_offset 0
		.amdhsa_system_sgpr_workgroup_id_x 1
		.amdhsa_system_sgpr_workgroup_id_y 0
		.amdhsa_system_sgpr_workgroup_id_z 0
		.amdhsa_system_sgpr_workgroup_info 0
		.amdhsa_system_vgpr_workitem_id 0
		.amdhsa_next_free_vgpr 4
		.amdhsa_next_free_sgpr 12
		.amdhsa_accum_offset 4
		.amdhsa_reserve_vcc 1
		.amdhsa_reserve_flat_scratch 0
		.amdhsa_float_round_mode_32 0
		.amdhsa_float_round_mode_16_64 0
		.amdhsa_float_denorm_mode_32 3
		.amdhsa_float_denorm_mode_16_64 3
		.amdhsa_dx10_clamp 1
		.amdhsa_ieee_mode 1
		.amdhsa_fp16_overflow 0
		.amdhsa_tg_split 0
		.amdhsa_exception_fp_ieee_invalid_op 0
		.amdhsa_exception_fp_denorm_src 0
		.amdhsa_exception_fp_ieee_div_zero 0
		.amdhsa_exception_fp_ieee_overflow 0
		.amdhsa_exception_fp_ieee_underflow 0
		.amdhsa_exception_fp_ieee_inexact 0
		.amdhsa_exception_int_div_zero 0
	.end_amdhsa_kernel
	.section	.text._ZN6thrust23THRUST_200600_302600_NS11hip_rocprim14__parallel_for6kernelILj256ENS1_20__uninitialized_fill7functorINS0_10device_ptrIiEEiEEmLj1EEEvT0_T1_SA_,"axG",@progbits,_ZN6thrust23THRUST_200600_302600_NS11hip_rocprim14__parallel_for6kernelILj256ENS1_20__uninitialized_fill7functorINS0_10device_ptrIiEEiEEmLj1EEEvT0_T1_SA_,comdat
.Lfunc_end316:
	.size	_ZN6thrust23THRUST_200600_302600_NS11hip_rocprim14__parallel_for6kernelILj256ENS1_20__uninitialized_fill7functorINS0_10device_ptrIiEEiEEmLj1EEEvT0_T1_SA_, .Lfunc_end316-_ZN6thrust23THRUST_200600_302600_NS11hip_rocprim14__parallel_for6kernelILj256ENS1_20__uninitialized_fill7functorINS0_10device_ptrIiEEiEEmLj1EEEvT0_T1_SA_
                                        ; -- End function
	.section	.AMDGPU.csdata,"",@progbits
; Kernel info:
; codeLenInByte = 160
; NumSgprs: 16
; NumVgprs: 4
; NumAgprs: 0
; TotalNumVgprs: 4
; ScratchSize: 0
; MemoryBound: 0
; FloatMode: 240
; IeeeMode: 1
; LDSByteSize: 0 bytes/workgroup (compile time only)
; SGPRBlocks: 1
; VGPRBlocks: 0
; NumSGPRsForWavesPerEU: 16
; NumVGPRsForWavesPerEU: 4
; AccumOffset: 4
; Occupancy: 8
; WaveLimiterHint : 0
; COMPUTE_PGM_RSRC2:SCRATCH_EN: 0
; COMPUTE_PGM_RSRC2:USER_SGPR: 6
; COMPUTE_PGM_RSRC2:TRAP_HANDLER: 0
; COMPUTE_PGM_RSRC2:TGID_X_EN: 1
; COMPUTE_PGM_RSRC2:TGID_Y_EN: 0
; COMPUTE_PGM_RSRC2:TGID_Z_EN: 0
; COMPUTE_PGM_RSRC2:TIDIG_COMP_CNT: 0
; COMPUTE_PGM_RSRC3_GFX90A:ACCUM_OFFSET: 0
; COMPUTE_PGM_RSRC3_GFX90A:TG_SPLIT: 0
	.section	.text._ZN7rocprim17ROCPRIM_400000_NS6detail17trampoline_kernelINS0_14default_configENS1_21merge_config_selectorIdNS0_10empty_typeEEEZNS1_10merge_implIS3_N6thrust23THRUST_200600_302600_NS6detail15normal_iteratorINS9_10device_ptrIKdEEEESF_NS9_16discard_iteratorINS9_11use_defaultEEEPS5_SJ_SJ_NS9_4lessIdEEEE10hipError_tPvRmT0_T1_T2_T3_T4_T5_mmT6_P12ihipStream_tbEUlT_E_NS1_11comp_targetILNS1_3genE0ELNS1_11target_archE4294967295ELNS1_3gpuE0ELNS1_3repE0EEENS1_30default_config_static_selectorELNS0_4arch9wavefront6targetE1EEEvSQ_,"axG",@progbits,_ZN7rocprim17ROCPRIM_400000_NS6detail17trampoline_kernelINS0_14default_configENS1_21merge_config_selectorIdNS0_10empty_typeEEEZNS1_10merge_implIS3_N6thrust23THRUST_200600_302600_NS6detail15normal_iteratorINS9_10device_ptrIKdEEEESF_NS9_16discard_iteratorINS9_11use_defaultEEEPS5_SJ_SJ_NS9_4lessIdEEEE10hipError_tPvRmT0_T1_T2_T3_T4_T5_mmT6_P12ihipStream_tbEUlT_E_NS1_11comp_targetILNS1_3genE0ELNS1_11target_archE4294967295ELNS1_3gpuE0ELNS1_3repE0EEENS1_30default_config_static_selectorELNS0_4arch9wavefront6targetE1EEEvSQ_,comdat
	.protected	_ZN7rocprim17ROCPRIM_400000_NS6detail17trampoline_kernelINS0_14default_configENS1_21merge_config_selectorIdNS0_10empty_typeEEEZNS1_10merge_implIS3_N6thrust23THRUST_200600_302600_NS6detail15normal_iteratorINS9_10device_ptrIKdEEEESF_NS9_16discard_iteratorINS9_11use_defaultEEEPS5_SJ_SJ_NS9_4lessIdEEEE10hipError_tPvRmT0_T1_T2_T3_T4_T5_mmT6_P12ihipStream_tbEUlT_E_NS1_11comp_targetILNS1_3genE0ELNS1_11target_archE4294967295ELNS1_3gpuE0ELNS1_3repE0EEENS1_30default_config_static_selectorELNS0_4arch9wavefront6targetE1EEEvSQ_ ; -- Begin function _ZN7rocprim17ROCPRIM_400000_NS6detail17trampoline_kernelINS0_14default_configENS1_21merge_config_selectorIdNS0_10empty_typeEEEZNS1_10merge_implIS3_N6thrust23THRUST_200600_302600_NS6detail15normal_iteratorINS9_10device_ptrIKdEEEESF_NS9_16discard_iteratorINS9_11use_defaultEEEPS5_SJ_SJ_NS9_4lessIdEEEE10hipError_tPvRmT0_T1_T2_T3_T4_T5_mmT6_P12ihipStream_tbEUlT_E_NS1_11comp_targetILNS1_3genE0ELNS1_11target_archE4294967295ELNS1_3gpuE0ELNS1_3repE0EEENS1_30default_config_static_selectorELNS0_4arch9wavefront6targetE1EEEvSQ_
	.globl	_ZN7rocprim17ROCPRIM_400000_NS6detail17trampoline_kernelINS0_14default_configENS1_21merge_config_selectorIdNS0_10empty_typeEEEZNS1_10merge_implIS3_N6thrust23THRUST_200600_302600_NS6detail15normal_iteratorINS9_10device_ptrIKdEEEESF_NS9_16discard_iteratorINS9_11use_defaultEEEPS5_SJ_SJ_NS9_4lessIdEEEE10hipError_tPvRmT0_T1_T2_T3_T4_T5_mmT6_P12ihipStream_tbEUlT_E_NS1_11comp_targetILNS1_3genE0ELNS1_11target_archE4294967295ELNS1_3gpuE0ELNS1_3repE0EEENS1_30default_config_static_selectorELNS0_4arch9wavefront6targetE1EEEvSQ_
	.p2align	8
	.type	_ZN7rocprim17ROCPRIM_400000_NS6detail17trampoline_kernelINS0_14default_configENS1_21merge_config_selectorIdNS0_10empty_typeEEEZNS1_10merge_implIS3_N6thrust23THRUST_200600_302600_NS6detail15normal_iteratorINS9_10device_ptrIKdEEEESF_NS9_16discard_iteratorINS9_11use_defaultEEEPS5_SJ_SJ_NS9_4lessIdEEEE10hipError_tPvRmT0_T1_T2_T3_T4_T5_mmT6_P12ihipStream_tbEUlT_E_NS1_11comp_targetILNS1_3genE0ELNS1_11target_archE4294967295ELNS1_3gpuE0ELNS1_3repE0EEENS1_30default_config_static_selectorELNS0_4arch9wavefront6targetE1EEEvSQ_,@function
_ZN7rocprim17ROCPRIM_400000_NS6detail17trampoline_kernelINS0_14default_configENS1_21merge_config_selectorIdNS0_10empty_typeEEEZNS1_10merge_implIS3_N6thrust23THRUST_200600_302600_NS6detail15normal_iteratorINS9_10device_ptrIKdEEEESF_NS9_16discard_iteratorINS9_11use_defaultEEEPS5_SJ_SJ_NS9_4lessIdEEEE10hipError_tPvRmT0_T1_T2_T3_T4_T5_mmT6_P12ihipStream_tbEUlT_E_NS1_11comp_targetILNS1_3genE0ELNS1_11target_archE4294967295ELNS1_3gpuE0ELNS1_3repE0EEENS1_30default_config_static_selectorELNS0_4arch9wavefront6targetE1EEEvSQ_: ; @_ZN7rocprim17ROCPRIM_400000_NS6detail17trampoline_kernelINS0_14default_configENS1_21merge_config_selectorIdNS0_10empty_typeEEEZNS1_10merge_implIS3_N6thrust23THRUST_200600_302600_NS6detail15normal_iteratorINS9_10device_ptrIKdEEEESF_NS9_16discard_iteratorINS9_11use_defaultEEEPS5_SJ_SJ_NS9_4lessIdEEEE10hipError_tPvRmT0_T1_T2_T3_T4_T5_mmT6_P12ihipStream_tbEUlT_E_NS1_11comp_targetILNS1_3genE0ELNS1_11target_archE4294967295ELNS1_3gpuE0ELNS1_3repE0EEENS1_30default_config_static_selectorELNS0_4arch9wavefront6targetE1EEEvSQ_
; %bb.0:
	.section	.rodata,"a",@progbits
	.p2align	6, 0x0
	.amdhsa_kernel _ZN7rocprim17ROCPRIM_400000_NS6detail17trampoline_kernelINS0_14default_configENS1_21merge_config_selectorIdNS0_10empty_typeEEEZNS1_10merge_implIS3_N6thrust23THRUST_200600_302600_NS6detail15normal_iteratorINS9_10device_ptrIKdEEEESF_NS9_16discard_iteratorINS9_11use_defaultEEEPS5_SJ_SJ_NS9_4lessIdEEEE10hipError_tPvRmT0_T1_T2_T3_T4_T5_mmT6_P12ihipStream_tbEUlT_E_NS1_11comp_targetILNS1_3genE0ELNS1_11target_archE4294967295ELNS1_3gpuE0ELNS1_3repE0EEENS1_30default_config_static_selectorELNS0_4arch9wavefront6targetE1EEEvSQ_
		.amdhsa_group_segment_fixed_size 0
		.amdhsa_private_segment_fixed_size 0
		.amdhsa_kernarg_size 48
		.amdhsa_user_sgpr_count 6
		.amdhsa_user_sgpr_private_segment_buffer 1
		.amdhsa_user_sgpr_dispatch_ptr 0
		.amdhsa_user_sgpr_queue_ptr 0
		.amdhsa_user_sgpr_kernarg_segment_ptr 1
		.amdhsa_user_sgpr_dispatch_id 0
		.amdhsa_user_sgpr_flat_scratch_init 0
		.amdhsa_user_sgpr_kernarg_preload_length 0
		.amdhsa_user_sgpr_kernarg_preload_offset 0
		.amdhsa_user_sgpr_private_segment_size 0
		.amdhsa_uses_dynamic_stack 0
		.amdhsa_system_sgpr_private_segment_wavefront_offset 0
		.amdhsa_system_sgpr_workgroup_id_x 1
		.amdhsa_system_sgpr_workgroup_id_y 0
		.amdhsa_system_sgpr_workgroup_id_z 0
		.amdhsa_system_sgpr_workgroup_info 0
		.amdhsa_system_vgpr_workitem_id 0
		.amdhsa_next_free_vgpr 1
		.amdhsa_next_free_sgpr 0
		.amdhsa_accum_offset 4
		.amdhsa_reserve_vcc 0
		.amdhsa_reserve_flat_scratch 0
		.amdhsa_float_round_mode_32 0
		.amdhsa_float_round_mode_16_64 0
		.amdhsa_float_denorm_mode_32 3
		.amdhsa_float_denorm_mode_16_64 3
		.amdhsa_dx10_clamp 1
		.amdhsa_ieee_mode 1
		.amdhsa_fp16_overflow 0
		.amdhsa_tg_split 0
		.amdhsa_exception_fp_ieee_invalid_op 0
		.amdhsa_exception_fp_denorm_src 0
		.amdhsa_exception_fp_ieee_div_zero 0
		.amdhsa_exception_fp_ieee_overflow 0
		.amdhsa_exception_fp_ieee_underflow 0
		.amdhsa_exception_fp_ieee_inexact 0
		.amdhsa_exception_int_div_zero 0
	.end_amdhsa_kernel
	.section	.text._ZN7rocprim17ROCPRIM_400000_NS6detail17trampoline_kernelINS0_14default_configENS1_21merge_config_selectorIdNS0_10empty_typeEEEZNS1_10merge_implIS3_N6thrust23THRUST_200600_302600_NS6detail15normal_iteratorINS9_10device_ptrIKdEEEESF_NS9_16discard_iteratorINS9_11use_defaultEEEPS5_SJ_SJ_NS9_4lessIdEEEE10hipError_tPvRmT0_T1_T2_T3_T4_T5_mmT6_P12ihipStream_tbEUlT_E_NS1_11comp_targetILNS1_3genE0ELNS1_11target_archE4294967295ELNS1_3gpuE0ELNS1_3repE0EEENS1_30default_config_static_selectorELNS0_4arch9wavefront6targetE1EEEvSQ_,"axG",@progbits,_ZN7rocprim17ROCPRIM_400000_NS6detail17trampoline_kernelINS0_14default_configENS1_21merge_config_selectorIdNS0_10empty_typeEEEZNS1_10merge_implIS3_N6thrust23THRUST_200600_302600_NS6detail15normal_iteratorINS9_10device_ptrIKdEEEESF_NS9_16discard_iteratorINS9_11use_defaultEEEPS5_SJ_SJ_NS9_4lessIdEEEE10hipError_tPvRmT0_T1_T2_T3_T4_T5_mmT6_P12ihipStream_tbEUlT_E_NS1_11comp_targetILNS1_3genE0ELNS1_11target_archE4294967295ELNS1_3gpuE0ELNS1_3repE0EEENS1_30default_config_static_selectorELNS0_4arch9wavefront6targetE1EEEvSQ_,comdat
.Lfunc_end317:
	.size	_ZN7rocprim17ROCPRIM_400000_NS6detail17trampoline_kernelINS0_14default_configENS1_21merge_config_selectorIdNS0_10empty_typeEEEZNS1_10merge_implIS3_N6thrust23THRUST_200600_302600_NS6detail15normal_iteratorINS9_10device_ptrIKdEEEESF_NS9_16discard_iteratorINS9_11use_defaultEEEPS5_SJ_SJ_NS9_4lessIdEEEE10hipError_tPvRmT0_T1_T2_T3_T4_T5_mmT6_P12ihipStream_tbEUlT_E_NS1_11comp_targetILNS1_3genE0ELNS1_11target_archE4294967295ELNS1_3gpuE0ELNS1_3repE0EEENS1_30default_config_static_selectorELNS0_4arch9wavefront6targetE1EEEvSQ_, .Lfunc_end317-_ZN7rocprim17ROCPRIM_400000_NS6detail17trampoline_kernelINS0_14default_configENS1_21merge_config_selectorIdNS0_10empty_typeEEEZNS1_10merge_implIS3_N6thrust23THRUST_200600_302600_NS6detail15normal_iteratorINS9_10device_ptrIKdEEEESF_NS9_16discard_iteratorINS9_11use_defaultEEEPS5_SJ_SJ_NS9_4lessIdEEEE10hipError_tPvRmT0_T1_T2_T3_T4_T5_mmT6_P12ihipStream_tbEUlT_E_NS1_11comp_targetILNS1_3genE0ELNS1_11target_archE4294967295ELNS1_3gpuE0ELNS1_3repE0EEENS1_30default_config_static_selectorELNS0_4arch9wavefront6targetE1EEEvSQ_
                                        ; -- End function
	.section	.AMDGPU.csdata,"",@progbits
; Kernel info:
; codeLenInByte = 0
; NumSgprs: 4
; NumVgprs: 0
; NumAgprs: 0
; TotalNumVgprs: 0
; ScratchSize: 0
; MemoryBound: 0
; FloatMode: 240
; IeeeMode: 1
; LDSByteSize: 0 bytes/workgroup (compile time only)
; SGPRBlocks: 0
; VGPRBlocks: 0
; NumSGPRsForWavesPerEU: 4
; NumVGPRsForWavesPerEU: 1
; AccumOffset: 4
; Occupancy: 8
; WaveLimiterHint : 0
; COMPUTE_PGM_RSRC2:SCRATCH_EN: 0
; COMPUTE_PGM_RSRC2:USER_SGPR: 6
; COMPUTE_PGM_RSRC2:TRAP_HANDLER: 0
; COMPUTE_PGM_RSRC2:TGID_X_EN: 1
; COMPUTE_PGM_RSRC2:TGID_Y_EN: 0
; COMPUTE_PGM_RSRC2:TGID_Z_EN: 0
; COMPUTE_PGM_RSRC2:TIDIG_COMP_CNT: 0
; COMPUTE_PGM_RSRC3_GFX90A:ACCUM_OFFSET: 0
; COMPUTE_PGM_RSRC3_GFX90A:TG_SPLIT: 0
	.section	.text._ZN7rocprim17ROCPRIM_400000_NS6detail17trampoline_kernelINS0_14default_configENS1_21merge_config_selectorIdNS0_10empty_typeEEEZNS1_10merge_implIS3_N6thrust23THRUST_200600_302600_NS6detail15normal_iteratorINS9_10device_ptrIKdEEEESF_NS9_16discard_iteratorINS9_11use_defaultEEEPS5_SJ_SJ_NS9_4lessIdEEEE10hipError_tPvRmT0_T1_T2_T3_T4_T5_mmT6_P12ihipStream_tbEUlT_E_NS1_11comp_targetILNS1_3genE5ELNS1_11target_archE942ELNS1_3gpuE9ELNS1_3repE0EEENS1_30default_config_static_selectorELNS0_4arch9wavefront6targetE1EEEvSQ_,"axG",@progbits,_ZN7rocprim17ROCPRIM_400000_NS6detail17trampoline_kernelINS0_14default_configENS1_21merge_config_selectorIdNS0_10empty_typeEEEZNS1_10merge_implIS3_N6thrust23THRUST_200600_302600_NS6detail15normal_iteratorINS9_10device_ptrIKdEEEESF_NS9_16discard_iteratorINS9_11use_defaultEEEPS5_SJ_SJ_NS9_4lessIdEEEE10hipError_tPvRmT0_T1_T2_T3_T4_T5_mmT6_P12ihipStream_tbEUlT_E_NS1_11comp_targetILNS1_3genE5ELNS1_11target_archE942ELNS1_3gpuE9ELNS1_3repE0EEENS1_30default_config_static_selectorELNS0_4arch9wavefront6targetE1EEEvSQ_,comdat
	.protected	_ZN7rocprim17ROCPRIM_400000_NS6detail17trampoline_kernelINS0_14default_configENS1_21merge_config_selectorIdNS0_10empty_typeEEEZNS1_10merge_implIS3_N6thrust23THRUST_200600_302600_NS6detail15normal_iteratorINS9_10device_ptrIKdEEEESF_NS9_16discard_iteratorINS9_11use_defaultEEEPS5_SJ_SJ_NS9_4lessIdEEEE10hipError_tPvRmT0_T1_T2_T3_T4_T5_mmT6_P12ihipStream_tbEUlT_E_NS1_11comp_targetILNS1_3genE5ELNS1_11target_archE942ELNS1_3gpuE9ELNS1_3repE0EEENS1_30default_config_static_selectorELNS0_4arch9wavefront6targetE1EEEvSQ_ ; -- Begin function _ZN7rocprim17ROCPRIM_400000_NS6detail17trampoline_kernelINS0_14default_configENS1_21merge_config_selectorIdNS0_10empty_typeEEEZNS1_10merge_implIS3_N6thrust23THRUST_200600_302600_NS6detail15normal_iteratorINS9_10device_ptrIKdEEEESF_NS9_16discard_iteratorINS9_11use_defaultEEEPS5_SJ_SJ_NS9_4lessIdEEEE10hipError_tPvRmT0_T1_T2_T3_T4_T5_mmT6_P12ihipStream_tbEUlT_E_NS1_11comp_targetILNS1_3genE5ELNS1_11target_archE942ELNS1_3gpuE9ELNS1_3repE0EEENS1_30default_config_static_selectorELNS0_4arch9wavefront6targetE1EEEvSQ_
	.globl	_ZN7rocprim17ROCPRIM_400000_NS6detail17trampoline_kernelINS0_14default_configENS1_21merge_config_selectorIdNS0_10empty_typeEEEZNS1_10merge_implIS3_N6thrust23THRUST_200600_302600_NS6detail15normal_iteratorINS9_10device_ptrIKdEEEESF_NS9_16discard_iteratorINS9_11use_defaultEEEPS5_SJ_SJ_NS9_4lessIdEEEE10hipError_tPvRmT0_T1_T2_T3_T4_T5_mmT6_P12ihipStream_tbEUlT_E_NS1_11comp_targetILNS1_3genE5ELNS1_11target_archE942ELNS1_3gpuE9ELNS1_3repE0EEENS1_30default_config_static_selectorELNS0_4arch9wavefront6targetE1EEEvSQ_
	.p2align	8
	.type	_ZN7rocprim17ROCPRIM_400000_NS6detail17trampoline_kernelINS0_14default_configENS1_21merge_config_selectorIdNS0_10empty_typeEEEZNS1_10merge_implIS3_N6thrust23THRUST_200600_302600_NS6detail15normal_iteratorINS9_10device_ptrIKdEEEESF_NS9_16discard_iteratorINS9_11use_defaultEEEPS5_SJ_SJ_NS9_4lessIdEEEE10hipError_tPvRmT0_T1_T2_T3_T4_T5_mmT6_P12ihipStream_tbEUlT_E_NS1_11comp_targetILNS1_3genE5ELNS1_11target_archE942ELNS1_3gpuE9ELNS1_3repE0EEENS1_30default_config_static_selectorELNS0_4arch9wavefront6targetE1EEEvSQ_,@function
_ZN7rocprim17ROCPRIM_400000_NS6detail17trampoline_kernelINS0_14default_configENS1_21merge_config_selectorIdNS0_10empty_typeEEEZNS1_10merge_implIS3_N6thrust23THRUST_200600_302600_NS6detail15normal_iteratorINS9_10device_ptrIKdEEEESF_NS9_16discard_iteratorINS9_11use_defaultEEEPS5_SJ_SJ_NS9_4lessIdEEEE10hipError_tPvRmT0_T1_T2_T3_T4_T5_mmT6_P12ihipStream_tbEUlT_E_NS1_11comp_targetILNS1_3genE5ELNS1_11target_archE942ELNS1_3gpuE9ELNS1_3repE0EEENS1_30default_config_static_selectorELNS0_4arch9wavefront6targetE1EEEvSQ_: ; @_ZN7rocprim17ROCPRIM_400000_NS6detail17trampoline_kernelINS0_14default_configENS1_21merge_config_selectorIdNS0_10empty_typeEEEZNS1_10merge_implIS3_N6thrust23THRUST_200600_302600_NS6detail15normal_iteratorINS9_10device_ptrIKdEEEESF_NS9_16discard_iteratorINS9_11use_defaultEEEPS5_SJ_SJ_NS9_4lessIdEEEE10hipError_tPvRmT0_T1_T2_T3_T4_T5_mmT6_P12ihipStream_tbEUlT_E_NS1_11comp_targetILNS1_3genE5ELNS1_11target_archE942ELNS1_3gpuE9ELNS1_3repE0EEENS1_30default_config_static_selectorELNS0_4arch9wavefront6targetE1EEEvSQ_
; %bb.0:
	.section	.rodata,"a",@progbits
	.p2align	6, 0x0
	.amdhsa_kernel _ZN7rocprim17ROCPRIM_400000_NS6detail17trampoline_kernelINS0_14default_configENS1_21merge_config_selectorIdNS0_10empty_typeEEEZNS1_10merge_implIS3_N6thrust23THRUST_200600_302600_NS6detail15normal_iteratorINS9_10device_ptrIKdEEEESF_NS9_16discard_iteratorINS9_11use_defaultEEEPS5_SJ_SJ_NS9_4lessIdEEEE10hipError_tPvRmT0_T1_T2_T3_T4_T5_mmT6_P12ihipStream_tbEUlT_E_NS1_11comp_targetILNS1_3genE5ELNS1_11target_archE942ELNS1_3gpuE9ELNS1_3repE0EEENS1_30default_config_static_selectorELNS0_4arch9wavefront6targetE1EEEvSQ_
		.amdhsa_group_segment_fixed_size 0
		.amdhsa_private_segment_fixed_size 0
		.amdhsa_kernarg_size 48
		.amdhsa_user_sgpr_count 6
		.amdhsa_user_sgpr_private_segment_buffer 1
		.amdhsa_user_sgpr_dispatch_ptr 0
		.amdhsa_user_sgpr_queue_ptr 0
		.amdhsa_user_sgpr_kernarg_segment_ptr 1
		.amdhsa_user_sgpr_dispatch_id 0
		.amdhsa_user_sgpr_flat_scratch_init 0
		.amdhsa_user_sgpr_kernarg_preload_length 0
		.amdhsa_user_sgpr_kernarg_preload_offset 0
		.amdhsa_user_sgpr_private_segment_size 0
		.amdhsa_uses_dynamic_stack 0
		.amdhsa_system_sgpr_private_segment_wavefront_offset 0
		.amdhsa_system_sgpr_workgroup_id_x 1
		.amdhsa_system_sgpr_workgroup_id_y 0
		.amdhsa_system_sgpr_workgroup_id_z 0
		.amdhsa_system_sgpr_workgroup_info 0
		.amdhsa_system_vgpr_workitem_id 0
		.amdhsa_next_free_vgpr 1
		.amdhsa_next_free_sgpr 0
		.amdhsa_accum_offset 4
		.amdhsa_reserve_vcc 0
		.amdhsa_reserve_flat_scratch 0
		.amdhsa_float_round_mode_32 0
		.amdhsa_float_round_mode_16_64 0
		.amdhsa_float_denorm_mode_32 3
		.amdhsa_float_denorm_mode_16_64 3
		.amdhsa_dx10_clamp 1
		.amdhsa_ieee_mode 1
		.amdhsa_fp16_overflow 0
		.amdhsa_tg_split 0
		.amdhsa_exception_fp_ieee_invalid_op 0
		.amdhsa_exception_fp_denorm_src 0
		.amdhsa_exception_fp_ieee_div_zero 0
		.amdhsa_exception_fp_ieee_overflow 0
		.amdhsa_exception_fp_ieee_underflow 0
		.amdhsa_exception_fp_ieee_inexact 0
		.amdhsa_exception_int_div_zero 0
	.end_amdhsa_kernel
	.section	.text._ZN7rocprim17ROCPRIM_400000_NS6detail17trampoline_kernelINS0_14default_configENS1_21merge_config_selectorIdNS0_10empty_typeEEEZNS1_10merge_implIS3_N6thrust23THRUST_200600_302600_NS6detail15normal_iteratorINS9_10device_ptrIKdEEEESF_NS9_16discard_iteratorINS9_11use_defaultEEEPS5_SJ_SJ_NS9_4lessIdEEEE10hipError_tPvRmT0_T1_T2_T3_T4_T5_mmT6_P12ihipStream_tbEUlT_E_NS1_11comp_targetILNS1_3genE5ELNS1_11target_archE942ELNS1_3gpuE9ELNS1_3repE0EEENS1_30default_config_static_selectorELNS0_4arch9wavefront6targetE1EEEvSQ_,"axG",@progbits,_ZN7rocprim17ROCPRIM_400000_NS6detail17trampoline_kernelINS0_14default_configENS1_21merge_config_selectorIdNS0_10empty_typeEEEZNS1_10merge_implIS3_N6thrust23THRUST_200600_302600_NS6detail15normal_iteratorINS9_10device_ptrIKdEEEESF_NS9_16discard_iteratorINS9_11use_defaultEEEPS5_SJ_SJ_NS9_4lessIdEEEE10hipError_tPvRmT0_T1_T2_T3_T4_T5_mmT6_P12ihipStream_tbEUlT_E_NS1_11comp_targetILNS1_3genE5ELNS1_11target_archE942ELNS1_3gpuE9ELNS1_3repE0EEENS1_30default_config_static_selectorELNS0_4arch9wavefront6targetE1EEEvSQ_,comdat
.Lfunc_end318:
	.size	_ZN7rocprim17ROCPRIM_400000_NS6detail17trampoline_kernelINS0_14default_configENS1_21merge_config_selectorIdNS0_10empty_typeEEEZNS1_10merge_implIS3_N6thrust23THRUST_200600_302600_NS6detail15normal_iteratorINS9_10device_ptrIKdEEEESF_NS9_16discard_iteratorINS9_11use_defaultEEEPS5_SJ_SJ_NS9_4lessIdEEEE10hipError_tPvRmT0_T1_T2_T3_T4_T5_mmT6_P12ihipStream_tbEUlT_E_NS1_11comp_targetILNS1_3genE5ELNS1_11target_archE942ELNS1_3gpuE9ELNS1_3repE0EEENS1_30default_config_static_selectorELNS0_4arch9wavefront6targetE1EEEvSQ_, .Lfunc_end318-_ZN7rocprim17ROCPRIM_400000_NS6detail17trampoline_kernelINS0_14default_configENS1_21merge_config_selectorIdNS0_10empty_typeEEEZNS1_10merge_implIS3_N6thrust23THRUST_200600_302600_NS6detail15normal_iteratorINS9_10device_ptrIKdEEEESF_NS9_16discard_iteratorINS9_11use_defaultEEEPS5_SJ_SJ_NS9_4lessIdEEEE10hipError_tPvRmT0_T1_T2_T3_T4_T5_mmT6_P12ihipStream_tbEUlT_E_NS1_11comp_targetILNS1_3genE5ELNS1_11target_archE942ELNS1_3gpuE9ELNS1_3repE0EEENS1_30default_config_static_selectorELNS0_4arch9wavefront6targetE1EEEvSQ_
                                        ; -- End function
	.section	.AMDGPU.csdata,"",@progbits
; Kernel info:
; codeLenInByte = 0
; NumSgprs: 4
; NumVgprs: 0
; NumAgprs: 0
; TotalNumVgprs: 0
; ScratchSize: 0
; MemoryBound: 0
; FloatMode: 240
; IeeeMode: 1
; LDSByteSize: 0 bytes/workgroup (compile time only)
; SGPRBlocks: 0
; VGPRBlocks: 0
; NumSGPRsForWavesPerEU: 4
; NumVGPRsForWavesPerEU: 1
; AccumOffset: 4
; Occupancy: 8
; WaveLimiterHint : 0
; COMPUTE_PGM_RSRC2:SCRATCH_EN: 0
; COMPUTE_PGM_RSRC2:USER_SGPR: 6
; COMPUTE_PGM_RSRC2:TRAP_HANDLER: 0
; COMPUTE_PGM_RSRC2:TGID_X_EN: 1
; COMPUTE_PGM_RSRC2:TGID_Y_EN: 0
; COMPUTE_PGM_RSRC2:TGID_Z_EN: 0
; COMPUTE_PGM_RSRC2:TIDIG_COMP_CNT: 0
; COMPUTE_PGM_RSRC3_GFX90A:ACCUM_OFFSET: 0
; COMPUTE_PGM_RSRC3_GFX90A:TG_SPLIT: 0
	.section	.text._ZN7rocprim17ROCPRIM_400000_NS6detail17trampoline_kernelINS0_14default_configENS1_21merge_config_selectorIdNS0_10empty_typeEEEZNS1_10merge_implIS3_N6thrust23THRUST_200600_302600_NS6detail15normal_iteratorINS9_10device_ptrIKdEEEESF_NS9_16discard_iteratorINS9_11use_defaultEEEPS5_SJ_SJ_NS9_4lessIdEEEE10hipError_tPvRmT0_T1_T2_T3_T4_T5_mmT6_P12ihipStream_tbEUlT_E_NS1_11comp_targetILNS1_3genE4ELNS1_11target_archE910ELNS1_3gpuE8ELNS1_3repE0EEENS1_30default_config_static_selectorELNS0_4arch9wavefront6targetE1EEEvSQ_,"axG",@progbits,_ZN7rocprim17ROCPRIM_400000_NS6detail17trampoline_kernelINS0_14default_configENS1_21merge_config_selectorIdNS0_10empty_typeEEEZNS1_10merge_implIS3_N6thrust23THRUST_200600_302600_NS6detail15normal_iteratorINS9_10device_ptrIKdEEEESF_NS9_16discard_iteratorINS9_11use_defaultEEEPS5_SJ_SJ_NS9_4lessIdEEEE10hipError_tPvRmT0_T1_T2_T3_T4_T5_mmT6_P12ihipStream_tbEUlT_E_NS1_11comp_targetILNS1_3genE4ELNS1_11target_archE910ELNS1_3gpuE8ELNS1_3repE0EEENS1_30default_config_static_selectorELNS0_4arch9wavefront6targetE1EEEvSQ_,comdat
	.protected	_ZN7rocprim17ROCPRIM_400000_NS6detail17trampoline_kernelINS0_14default_configENS1_21merge_config_selectorIdNS0_10empty_typeEEEZNS1_10merge_implIS3_N6thrust23THRUST_200600_302600_NS6detail15normal_iteratorINS9_10device_ptrIKdEEEESF_NS9_16discard_iteratorINS9_11use_defaultEEEPS5_SJ_SJ_NS9_4lessIdEEEE10hipError_tPvRmT0_T1_T2_T3_T4_T5_mmT6_P12ihipStream_tbEUlT_E_NS1_11comp_targetILNS1_3genE4ELNS1_11target_archE910ELNS1_3gpuE8ELNS1_3repE0EEENS1_30default_config_static_selectorELNS0_4arch9wavefront6targetE1EEEvSQ_ ; -- Begin function _ZN7rocprim17ROCPRIM_400000_NS6detail17trampoline_kernelINS0_14default_configENS1_21merge_config_selectorIdNS0_10empty_typeEEEZNS1_10merge_implIS3_N6thrust23THRUST_200600_302600_NS6detail15normal_iteratorINS9_10device_ptrIKdEEEESF_NS9_16discard_iteratorINS9_11use_defaultEEEPS5_SJ_SJ_NS9_4lessIdEEEE10hipError_tPvRmT0_T1_T2_T3_T4_T5_mmT6_P12ihipStream_tbEUlT_E_NS1_11comp_targetILNS1_3genE4ELNS1_11target_archE910ELNS1_3gpuE8ELNS1_3repE0EEENS1_30default_config_static_selectorELNS0_4arch9wavefront6targetE1EEEvSQ_
	.globl	_ZN7rocprim17ROCPRIM_400000_NS6detail17trampoline_kernelINS0_14default_configENS1_21merge_config_selectorIdNS0_10empty_typeEEEZNS1_10merge_implIS3_N6thrust23THRUST_200600_302600_NS6detail15normal_iteratorINS9_10device_ptrIKdEEEESF_NS9_16discard_iteratorINS9_11use_defaultEEEPS5_SJ_SJ_NS9_4lessIdEEEE10hipError_tPvRmT0_T1_T2_T3_T4_T5_mmT6_P12ihipStream_tbEUlT_E_NS1_11comp_targetILNS1_3genE4ELNS1_11target_archE910ELNS1_3gpuE8ELNS1_3repE0EEENS1_30default_config_static_selectorELNS0_4arch9wavefront6targetE1EEEvSQ_
	.p2align	8
	.type	_ZN7rocprim17ROCPRIM_400000_NS6detail17trampoline_kernelINS0_14default_configENS1_21merge_config_selectorIdNS0_10empty_typeEEEZNS1_10merge_implIS3_N6thrust23THRUST_200600_302600_NS6detail15normal_iteratorINS9_10device_ptrIKdEEEESF_NS9_16discard_iteratorINS9_11use_defaultEEEPS5_SJ_SJ_NS9_4lessIdEEEE10hipError_tPvRmT0_T1_T2_T3_T4_T5_mmT6_P12ihipStream_tbEUlT_E_NS1_11comp_targetILNS1_3genE4ELNS1_11target_archE910ELNS1_3gpuE8ELNS1_3repE0EEENS1_30default_config_static_selectorELNS0_4arch9wavefront6targetE1EEEvSQ_,@function
_ZN7rocprim17ROCPRIM_400000_NS6detail17trampoline_kernelINS0_14default_configENS1_21merge_config_selectorIdNS0_10empty_typeEEEZNS1_10merge_implIS3_N6thrust23THRUST_200600_302600_NS6detail15normal_iteratorINS9_10device_ptrIKdEEEESF_NS9_16discard_iteratorINS9_11use_defaultEEEPS5_SJ_SJ_NS9_4lessIdEEEE10hipError_tPvRmT0_T1_T2_T3_T4_T5_mmT6_P12ihipStream_tbEUlT_E_NS1_11comp_targetILNS1_3genE4ELNS1_11target_archE910ELNS1_3gpuE8ELNS1_3repE0EEENS1_30default_config_static_selectorELNS0_4arch9wavefront6targetE1EEEvSQ_: ; @_ZN7rocprim17ROCPRIM_400000_NS6detail17trampoline_kernelINS0_14default_configENS1_21merge_config_selectorIdNS0_10empty_typeEEEZNS1_10merge_implIS3_N6thrust23THRUST_200600_302600_NS6detail15normal_iteratorINS9_10device_ptrIKdEEEESF_NS9_16discard_iteratorINS9_11use_defaultEEEPS5_SJ_SJ_NS9_4lessIdEEEE10hipError_tPvRmT0_T1_T2_T3_T4_T5_mmT6_P12ihipStream_tbEUlT_E_NS1_11comp_targetILNS1_3genE4ELNS1_11target_archE910ELNS1_3gpuE8ELNS1_3repE0EEENS1_30default_config_static_selectorELNS0_4arch9wavefront6targetE1EEEvSQ_
; %bb.0:
	s_load_dword s7, s[4:5], 0x28
	s_load_dword s0, s[4:5], 0x3c
	s_load_dwordx4 s[8:11], s[4:5], 0x18
	s_waitcnt lgkmcnt(0)
	v_cvt_f32_u32_e32 v1, s7
	s_and_b32 s0, s0, 0xffff
	s_add_u32 s12, s10, s8
	s_addc_u32 s13, s11, s9
	v_rcp_iflag_f32_e32 v1, v1
	s_sub_i32 s1, 0, s7
	s_mul_i32 s6, s6, s0
	s_add_i32 s0, s7, s12
	v_mul_f32_e32 v1, 0x4f7ffffe, v1
	v_cvt_u32_f32_e32 v1, v1
	s_add_i32 s0, s0, -1
	v_add_u32_e32 v0, s6, v0
	v_readfirstlane_b32 s2, v1
	s_mul_i32 s1, s1, s2
	s_mul_hi_u32 s1, s2, s1
	s_add_i32 s2, s2, s1
	s_mul_hi_u32 s1, s0, s2
	s_mul_i32 s2, s1, s7
	s_sub_i32 s0, s0, s2
	s_add_i32 s3, s1, 1
	s_sub_i32 s2, s0, s7
	s_cmp_ge_u32 s0, s7
	s_cselect_b32 s1, s3, s1
	s_cselect_b32 s0, s2, s0
	s_add_i32 s2, s1, 1
	s_cmp_ge_u32 s0, s7
	s_cselect_b32 s0, s2, s1
	v_cmp_ge_u32_e32 vcc, s0, v0
	s_and_saveexec_b64 s[0:1], vcc
	s_cbranch_execz .LBB319_6
; %bb.1:
	v_mul_lo_u32 v2, v0, s7
	v_mov_b32_e32 v3, 0
	v_mov_b32_e32 v1, s13
	v_cmp_gt_u64_e32 vcc, s[12:13], v[2:3]
	v_cndmask_b32_e64 v7, v1, 0, vcc
	v_mov_b32_e32 v1, s12
	v_cndmask_b32_e32 v6, v1, v2, vcc
	v_mov_b32_e32 v1, s11
	v_subrev_co_u32_e32 v2, vcc, s10, v6
	v_subb_co_u32_e32 v3, vcc, v7, v1, vcc
	s_load_dwordx4 s[0:3], s[4:5], 0x0
	v_cmp_gt_u64_e32 vcc, v[2:3], v[6:7]
	v_cndmask_b32_e64 v3, v3, 0, vcc
	v_cndmask_b32_e64 v2, v2, 0, vcc
	v_mov_b32_e32 v1, s9
	v_cmp_gt_u64_e32 vcc, s[8:9], v[6:7]
	v_cndmask_b32_e32 v5, v1, v7, vcc
	v_mov_b32_e32 v1, s8
	v_cndmask_b32_e32 v4, v1, v6, vcc
	v_cmp_lt_u64_e32 vcc, v[2:3], v[4:5]
	s_and_saveexec_b64 s[6:7], vcc
	s_cbranch_execz .LBB319_5
; %bb.2:
	s_load_dwordx2 s[4:5], s[4:5], 0x10
	v_lshlrev_b64 v[6:7], 3, v[6:7]
	s_waitcnt lgkmcnt(0)
	v_mov_b32_e32 v8, s5
	v_add_co_u32_e32 v1, vcc, s4, v6
	v_addc_co_u32_e32 v6, vcc, v8, v7, vcc
	s_mov_b64 s[4:5], 0
	v_mov_b32_e32 v7, s3
.LBB319_3:                              ; =>This Inner Loop Header: Depth=1
	v_add_co_u32_e32 v8, vcc, v4, v2
	v_addc_co_u32_e32 v9, vcc, v5, v3, vcc
	v_lshrrev_b64 v[8:9], 1, v[8:9]
	v_lshlrev_b64 v[12:13], 3, v[8:9]
	v_not_b32_e32 v11, v9
	v_not_b32_e32 v10, v8
	v_add_co_u32_e32 v12, vcc, s2, v12
	v_addc_co_u32_e32 v13, vcc, v7, v13, vcc
	v_lshlrev_b64 v[10:11], 3, v[10:11]
	v_add_co_u32_e32 v10, vcc, v1, v10
	v_addc_co_u32_e32 v11, vcc, v6, v11, vcc
	global_load_dwordx2 v[12:13], v[12:13], off
	v_add_co_u32_e32 v14, vcc, 1, v8
	global_load_dwordx2 v[10:11], v[10:11], off
	v_addc_co_u32_e32 v15, vcc, 0, v9, vcc
	s_waitcnt vmcnt(0)
	v_cmp_lt_f64_e32 vcc, v[10:11], v[12:13]
	v_cndmask_b32_e32 v5, v5, v9, vcc
	v_cndmask_b32_e32 v4, v4, v8, vcc
	;; [unrolled: 1-line block ×4, first 2 shown]
	v_cmp_ge_u64_e32 vcc, v[2:3], v[4:5]
	s_or_b64 s[4:5], vcc, s[4:5]
	s_andn2_b64 exec, exec, s[4:5]
	s_cbranch_execnz .LBB319_3
; %bb.4:
	s_or_b64 exec, exec, s[4:5]
.LBB319_5:
	s_or_b64 exec, exec, s[6:7]
	v_mov_b32_e32 v1, 0
	v_lshlrev_b64 v[0:1], 2, v[0:1]
	s_waitcnt lgkmcnt(0)
	v_mov_b32_e32 v3, s1
	v_add_co_u32_e32 v0, vcc, s0, v0
	v_addc_co_u32_e32 v1, vcc, v3, v1, vcc
	global_store_dword v[0:1], v2, off
.LBB319_6:
	s_endpgm
	.section	.rodata,"a",@progbits
	.p2align	6, 0x0
	.amdhsa_kernel _ZN7rocprim17ROCPRIM_400000_NS6detail17trampoline_kernelINS0_14default_configENS1_21merge_config_selectorIdNS0_10empty_typeEEEZNS1_10merge_implIS3_N6thrust23THRUST_200600_302600_NS6detail15normal_iteratorINS9_10device_ptrIKdEEEESF_NS9_16discard_iteratorINS9_11use_defaultEEEPS5_SJ_SJ_NS9_4lessIdEEEE10hipError_tPvRmT0_T1_T2_T3_T4_T5_mmT6_P12ihipStream_tbEUlT_E_NS1_11comp_targetILNS1_3genE4ELNS1_11target_archE910ELNS1_3gpuE8ELNS1_3repE0EEENS1_30default_config_static_selectorELNS0_4arch9wavefront6targetE1EEEvSQ_
		.amdhsa_group_segment_fixed_size 0
		.amdhsa_private_segment_fixed_size 0
		.amdhsa_kernarg_size 304
		.amdhsa_user_sgpr_count 6
		.amdhsa_user_sgpr_private_segment_buffer 1
		.amdhsa_user_sgpr_dispatch_ptr 0
		.amdhsa_user_sgpr_queue_ptr 0
		.amdhsa_user_sgpr_kernarg_segment_ptr 1
		.amdhsa_user_sgpr_dispatch_id 0
		.amdhsa_user_sgpr_flat_scratch_init 0
		.amdhsa_user_sgpr_kernarg_preload_length 0
		.amdhsa_user_sgpr_kernarg_preload_offset 0
		.amdhsa_user_sgpr_private_segment_size 0
		.amdhsa_uses_dynamic_stack 0
		.amdhsa_system_sgpr_private_segment_wavefront_offset 0
		.amdhsa_system_sgpr_workgroup_id_x 1
		.amdhsa_system_sgpr_workgroup_id_y 0
		.amdhsa_system_sgpr_workgroup_id_z 0
		.amdhsa_system_sgpr_workgroup_info 0
		.amdhsa_system_vgpr_workitem_id 0
		.amdhsa_next_free_vgpr 16
		.amdhsa_next_free_sgpr 14
		.amdhsa_accum_offset 16
		.amdhsa_reserve_vcc 1
		.amdhsa_reserve_flat_scratch 0
		.amdhsa_float_round_mode_32 0
		.amdhsa_float_round_mode_16_64 0
		.amdhsa_float_denorm_mode_32 3
		.amdhsa_float_denorm_mode_16_64 3
		.amdhsa_dx10_clamp 1
		.amdhsa_ieee_mode 1
		.amdhsa_fp16_overflow 0
		.amdhsa_tg_split 0
		.amdhsa_exception_fp_ieee_invalid_op 0
		.amdhsa_exception_fp_denorm_src 0
		.amdhsa_exception_fp_ieee_div_zero 0
		.amdhsa_exception_fp_ieee_overflow 0
		.amdhsa_exception_fp_ieee_underflow 0
		.amdhsa_exception_fp_ieee_inexact 0
		.amdhsa_exception_int_div_zero 0
	.end_amdhsa_kernel
	.section	.text._ZN7rocprim17ROCPRIM_400000_NS6detail17trampoline_kernelINS0_14default_configENS1_21merge_config_selectorIdNS0_10empty_typeEEEZNS1_10merge_implIS3_N6thrust23THRUST_200600_302600_NS6detail15normal_iteratorINS9_10device_ptrIKdEEEESF_NS9_16discard_iteratorINS9_11use_defaultEEEPS5_SJ_SJ_NS9_4lessIdEEEE10hipError_tPvRmT0_T1_T2_T3_T4_T5_mmT6_P12ihipStream_tbEUlT_E_NS1_11comp_targetILNS1_3genE4ELNS1_11target_archE910ELNS1_3gpuE8ELNS1_3repE0EEENS1_30default_config_static_selectorELNS0_4arch9wavefront6targetE1EEEvSQ_,"axG",@progbits,_ZN7rocprim17ROCPRIM_400000_NS6detail17trampoline_kernelINS0_14default_configENS1_21merge_config_selectorIdNS0_10empty_typeEEEZNS1_10merge_implIS3_N6thrust23THRUST_200600_302600_NS6detail15normal_iteratorINS9_10device_ptrIKdEEEESF_NS9_16discard_iteratorINS9_11use_defaultEEEPS5_SJ_SJ_NS9_4lessIdEEEE10hipError_tPvRmT0_T1_T2_T3_T4_T5_mmT6_P12ihipStream_tbEUlT_E_NS1_11comp_targetILNS1_3genE4ELNS1_11target_archE910ELNS1_3gpuE8ELNS1_3repE0EEENS1_30default_config_static_selectorELNS0_4arch9wavefront6targetE1EEEvSQ_,comdat
.Lfunc_end319:
	.size	_ZN7rocprim17ROCPRIM_400000_NS6detail17trampoline_kernelINS0_14default_configENS1_21merge_config_selectorIdNS0_10empty_typeEEEZNS1_10merge_implIS3_N6thrust23THRUST_200600_302600_NS6detail15normal_iteratorINS9_10device_ptrIKdEEEESF_NS9_16discard_iteratorINS9_11use_defaultEEEPS5_SJ_SJ_NS9_4lessIdEEEE10hipError_tPvRmT0_T1_T2_T3_T4_T5_mmT6_P12ihipStream_tbEUlT_E_NS1_11comp_targetILNS1_3genE4ELNS1_11target_archE910ELNS1_3gpuE8ELNS1_3repE0EEENS1_30default_config_static_selectorELNS0_4arch9wavefront6targetE1EEEvSQ_, .Lfunc_end319-_ZN7rocprim17ROCPRIM_400000_NS6detail17trampoline_kernelINS0_14default_configENS1_21merge_config_selectorIdNS0_10empty_typeEEEZNS1_10merge_implIS3_N6thrust23THRUST_200600_302600_NS6detail15normal_iteratorINS9_10device_ptrIKdEEEESF_NS9_16discard_iteratorINS9_11use_defaultEEEPS5_SJ_SJ_NS9_4lessIdEEEE10hipError_tPvRmT0_T1_T2_T3_T4_T5_mmT6_P12ihipStream_tbEUlT_E_NS1_11comp_targetILNS1_3genE4ELNS1_11target_archE910ELNS1_3gpuE8ELNS1_3repE0EEENS1_30default_config_static_selectorELNS0_4arch9wavefront6targetE1EEEvSQ_
                                        ; -- End function
	.section	.AMDGPU.csdata,"",@progbits
; Kernel info:
; codeLenInByte = 472
; NumSgprs: 18
; NumVgprs: 16
; NumAgprs: 0
; TotalNumVgprs: 16
; ScratchSize: 0
; MemoryBound: 0
; FloatMode: 240
; IeeeMode: 1
; LDSByteSize: 0 bytes/workgroup (compile time only)
; SGPRBlocks: 2
; VGPRBlocks: 1
; NumSGPRsForWavesPerEU: 18
; NumVGPRsForWavesPerEU: 16
; AccumOffset: 16
; Occupancy: 8
; WaveLimiterHint : 0
; COMPUTE_PGM_RSRC2:SCRATCH_EN: 0
; COMPUTE_PGM_RSRC2:USER_SGPR: 6
; COMPUTE_PGM_RSRC2:TRAP_HANDLER: 0
; COMPUTE_PGM_RSRC2:TGID_X_EN: 1
; COMPUTE_PGM_RSRC2:TGID_Y_EN: 0
; COMPUTE_PGM_RSRC2:TGID_Z_EN: 0
; COMPUTE_PGM_RSRC2:TIDIG_COMP_CNT: 0
; COMPUTE_PGM_RSRC3_GFX90A:ACCUM_OFFSET: 3
; COMPUTE_PGM_RSRC3_GFX90A:TG_SPLIT: 0
	.section	.text._ZN7rocprim17ROCPRIM_400000_NS6detail17trampoline_kernelINS0_14default_configENS1_21merge_config_selectorIdNS0_10empty_typeEEEZNS1_10merge_implIS3_N6thrust23THRUST_200600_302600_NS6detail15normal_iteratorINS9_10device_ptrIKdEEEESF_NS9_16discard_iteratorINS9_11use_defaultEEEPS5_SJ_SJ_NS9_4lessIdEEEE10hipError_tPvRmT0_T1_T2_T3_T4_T5_mmT6_P12ihipStream_tbEUlT_E_NS1_11comp_targetILNS1_3genE3ELNS1_11target_archE908ELNS1_3gpuE7ELNS1_3repE0EEENS1_30default_config_static_selectorELNS0_4arch9wavefront6targetE1EEEvSQ_,"axG",@progbits,_ZN7rocprim17ROCPRIM_400000_NS6detail17trampoline_kernelINS0_14default_configENS1_21merge_config_selectorIdNS0_10empty_typeEEEZNS1_10merge_implIS3_N6thrust23THRUST_200600_302600_NS6detail15normal_iteratorINS9_10device_ptrIKdEEEESF_NS9_16discard_iteratorINS9_11use_defaultEEEPS5_SJ_SJ_NS9_4lessIdEEEE10hipError_tPvRmT0_T1_T2_T3_T4_T5_mmT6_P12ihipStream_tbEUlT_E_NS1_11comp_targetILNS1_3genE3ELNS1_11target_archE908ELNS1_3gpuE7ELNS1_3repE0EEENS1_30default_config_static_selectorELNS0_4arch9wavefront6targetE1EEEvSQ_,comdat
	.protected	_ZN7rocprim17ROCPRIM_400000_NS6detail17trampoline_kernelINS0_14default_configENS1_21merge_config_selectorIdNS0_10empty_typeEEEZNS1_10merge_implIS3_N6thrust23THRUST_200600_302600_NS6detail15normal_iteratorINS9_10device_ptrIKdEEEESF_NS9_16discard_iteratorINS9_11use_defaultEEEPS5_SJ_SJ_NS9_4lessIdEEEE10hipError_tPvRmT0_T1_T2_T3_T4_T5_mmT6_P12ihipStream_tbEUlT_E_NS1_11comp_targetILNS1_3genE3ELNS1_11target_archE908ELNS1_3gpuE7ELNS1_3repE0EEENS1_30default_config_static_selectorELNS0_4arch9wavefront6targetE1EEEvSQ_ ; -- Begin function _ZN7rocprim17ROCPRIM_400000_NS6detail17trampoline_kernelINS0_14default_configENS1_21merge_config_selectorIdNS0_10empty_typeEEEZNS1_10merge_implIS3_N6thrust23THRUST_200600_302600_NS6detail15normal_iteratorINS9_10device_ptrIKdEEEESF_NS9_16discard_iteratorINS9_11use_defaultEEEPS5_SJ_SJ_NS9_4lessIdEEEE10hipError_tPvRmT0_T1_T2_T3_T4_T5_mmT6_P12ihipStream_tbEUlT_E_NS1_11comp_targetILNS1_3genE3ELNS1_11target_archE908ELNS1_3gpuE7ELNS1_3repE0EEENS1_30default_config_static_selectorELNS0_4arch9wavefront6targetE1EEEvSQ_
	.globl	_ZN7rocprim17ROCPRIM_400000_NS6detail17trampoline_kernelINS0_14default_configENS1_21merge_config_selectorIdNS0_10empty_typeEEEZNS1_10merge_implIS3_N6thrust23THRUST_200600_302600_NS6detail15normal_iteratorINS9_10device_ptrIKdEEEESF_NS9_16discard_iteratorINS9_11use_defaultEEEPS5_SJ_SJ_NS9_4lessIdEEEE10hipError_tPvRmT0_T1_T2_T3_T4_T5_mmT6_P12ihipStream_tbEUlT_E_NS1_11comp_targetILNS1_3genE3ELNS1_11target_archE908ELNS1_3gpuE7ELNS1_3repE0EEENS1_30default_config_static_selectorELNS0_4arch9wavefront6targetE1EEEvSQ_
	.p2align	8
	.type	_ZN7rocprim17ROCPRIM_400000_NS6detail17trampoline_kernelINS0_14default_configENS1_21merge_config_selectorIdNS0_10empty_typeEEEZNS1_10merge_implIS3_N6thrust23THRUST_200600_302600_NS6detail15normal_iteratorINS9_10device_ptrIKdEEEESF_NS9_16discard_iteratorINS9_11use_defaultEEEPS5_SJ_SJ_NS9_4lessIdEEEE10hipError_tPvRmT0_T1_T2_T3_T4_T5_mmT6_P12ihipStream_tbEUlT_E_NS1_11comp_targetILNS1_3genE3ELNS1_11target_archE908ELNS1_3gpuE7ELNS1_3repE0EEENS1_30default_config_static_selectorELNS0_4arch9wavefront6targetE1EEEvSQ_,@function
_ZN7rocprim17ROCPRIM_400000_NS6detail17trampoline_kernelINS0_14default_configENS1_21merge_config_selectorIdNS0_10empty_typeEEEZNS1_10merge_implIS3_N6thrust23THRUST_200600_302600_NS6detail15normal_iteratorINS9_10device_ptrIKdEEEESF_NS9_16discard_iteratorINS9_11use_defaultEEEPS5_SJ_SJ_NS9_4lessIdEEEE10hipError_tPvRmT0_T1_T2_T3_T4_T5_mmT6_P12ihipStream_tbEUlT_E_NS1_11comp_targetILNS1_3genE3ELNS1_11target_archE908ELNS1_3gpuE7ELNS1_3repE0EEENS1_30default_config_static_selectorELNS0_4arch9wavefront6targetE1EEEvSQ_: ; @_ZN7rocprim17ROCPRIM_400000_NS6detail17trampoline_kernelINS0_14default_configENS1_21merge_config_selectorIdNS0_10empty_typeEEEZNS1_10merge_implIS3_N6thrust23THRUST_200600_302600_NS6detail15normal_iteratorINS9_10device_ptrIKdEEEESF_NS9_16discard_iteratorINS9_11use_defaultEEEPS5_SJ_SJ_NS9_4lessIdEEEE10hipError_tPvRmT0_T1_T2_T3_T4_T5_mmT6_P12ihipStream_tbEUlT_E_NS1_11comp_targetILNS1_3genE3ELNS1_11target_archE908ELNS1_3gpuE7ELNS1_3repE0EEENS1_30default_config_static_selectorELNS0_4arch9wavefront6targetE1EEEvSQ_
; %bb.0:
	.section	.rodata,"a",@progbits
	.p2align	6, 0x0
	.amdhsa_kernel _ZN7rocprim17ROCPRIM_400000_NS6detail17trampoline_kernelINS0_14default_configENS1_21merge_config_selectorIdNS0_10empty_typeEEEZNS1_10merge_implIS3_N6thrust23THRUST_200600_302600_NS6detail15normal_iteratorINS9_10device_ptrIKdEEEESF_NS9_16discard_iteratorINS9_11use_defaultEEEPS5_SJ_SJ_NS9_4lessIdEEEE10hipError_tPvRmT0_T1_T2_T3_T4_T5_mmT6_P12ihipStream_tbEUlT_E_NS1_11comp_targetILNS1_3genE3ELNS1_11target_archE908ELNS1_3gpuE7ELNS1_3repE0EEENS1_30default_config_static_selectorELNS0_4arch9wavefront6targetE1EEEvSQ_
		.amdhsa_group_segment_fixed_size 0
		.amdhsa_private_segment_fixed_size 0
		.amdhsa_kernarg_size 48
		.amdhsa_user_sgpr_count 6
		.amdhsa_user_sgpr_private_segment_buffer 1
		.amdhsa_user_sgpr_dispatch_ptr 0
		.amdhsa_user_sgpr_queue_ptr 0
		.amdhsa_user_sgpr_kernarg_segment_ptr 1
		.amdhsa_user_sgpr_dispatch_id 0
		.amdhsa_user_sgpr_flat_scratch_init 0
		.amdhsa_user_sgpr_kernarg_preload_length 0
		.amdhsa_user_sgpr_kernarg_preload_offset 0
		.amdhsa_user_sgpr_private_segment_size 0
		.amdhsa_uses_dynamic_stack 0
		.amdhsa_system_sgpr_private_segment_wavefront_offset 0
		.amdhsa_system_sgpr_workgroup_id_x 1
		.amdhsa_system_sgpr_workgroup_id_y 0
		.amdhsa_system_sgpr_workgroup_id_z 0
		.amdhsa_system_sgpr_workgroup_info 0
		.amdhsa_system_vgpr_workitem_id 0
		.amdhsa_next_free_vgpr 1
		.amdhsa_next_free_sgpr 0
		.amdhsa_accum_offset 4
		.amdhsa_reserve_vcc 0
		.amdhsa_reserve_flat_scratch 0
		.amdhsa_float_round_mode_32 0
		.amdhsa_float_round_mode_16_64 0
		.amdhsa_float_denorm_mode_32 3
		.amdhsa_float_denorm_mode_16_64 3
		.amdhsa_dx10_clamp 1
		.amdhsa_ieee_mode 1
		.amdhsa_fp16_overflow 0
		.amdhsa_tg_split 0
		.amdhsa_exception_fp_ieee_invalid_op 0
		.amdhsa_exception_fp_denorm_src 0
		.amdhsa_exception_fp_ieee_div_zero 0
		.amdhsa_exception_fp_ieee_overflow 0
		.amdhsa_exception_fp_ieee_underflow 0
		.amdhsa_exception_fp_ieee_inexact 0
		.amdhsa_exception_int_div_zero 0
	.end_amdhsa_kernel
	.section	.text._ZN7rocprim17ROCPRIM_400000_NS6detail17trampoline_kernelINS0_14default_configENS1_21merge_config_selectorIdNS0_10empty_typeEEEZNS1_10merge_implIS3_N6thrust23THRUST_200600_302600_NS6detail15normal_iteratorINS9_10device_ptrIKdEEEESF_NS9_16discard_iteratorINS9_11use_defaultEEEPS5_SJ_SJ_NS9_4lessIdEEEE10hipError_tPvRmT0_T1_T2_T3_T4_T5_mmT6_P12ihipStream_tbEUlT_E_NS1_11comp_targetILNS1_3genE3ELNS1_11target_archE908ELNS1_3gpuE7ELNS1_3repE0EEENS1_30default_config_static_selectorELNS0_4arch9wavefront6targetE1EEEvSQ_,"axG",@progbits,_ZN7rocprim17ROCPRIM_400000_NS6detail17trampoline_kernelINS0_14default_configENS1_21merge_config_selectorIdNS0_10empty_typeEEEZNS1_10merge_implIS3_N6thrust23THRUST_200600_302600_NS6detail15normal_iteratorINS9_10device_ptrIKdEEEESF_NS9_16discard_iteratorINS9_11use_defaultEEEPS5_SJ_SJ_NS9_4lessIdEEEE10hipError_tPvRmT0_T1_T2_T3_T4_T5_mmT6_P12ihipStream_tbEUlT_E_NS1_11comp_targetILNS1_3genE3ELNS1_11target_archE908ELNS1_3gpuE7ELNS1_3repE0EEENS1_30default_config_static_selectorELNS0_4arch9wavefront6targetE1EEEvSQ_,comdat
.Lfunc_end320:
	.size	_ZN7rocprim17ROCPRIM_400000_NS6detail17trampoline_kernelINS0_14default_configENS1_21merge_config_selectorIdNS0_10empty_typeEEEZNS1_10merge_implIS3_N6thrust23THRUST_200600_302600_NS6detail15normal_iteratorINS9_10device_ptrIKdEEEESF_NS9_16discard_iteratorINS9_11use_defaultEEEPS5_SJ_SJ_NS9_4lessIdEEEE10hipError_tPvRmT0_T1_T2_T3_T4_T5_mmT6_P12ihipStream_tbEUlT_E_NS1_11comp_targetILNS1_3genE3ELNS1_11target_archE908ELNS1_3gpuE7ELNS1_3repE0EEENS1_30default_config_static_selectorELNS0_4arch9wavefront6targetE1EEEvSQ_, .Lfunc_end320-_ZN7rocprim17ROCPRIM_400000_NS6detail17trampoline_kernelINS0_14default_configENS1_21merge_config_selectorIdNS0_10empty_typeEEEZNS1_10merge_implIS3_N6thrust23THRUST_200600_302600_NS6detail15normal_iteratorINS9_10device_ptrIKdEEEESF_NS9_16discard_iteratorINS9_11use_defaultEEEPS5_SJ_SJ_NS9_4lessIdEEEE10hipError_tPvRmT0_T1_T2_T3_T4_T5_mmT6_P12ihipStream_tbEUlT_E_NS1_11comp_targetILNS1_3genE3ELNS1_11target_archE908ELNS1_3gpuE7ELNS1_3repE0EEENS1_30default_config_static_selectorELNS0_4arch9wavefront6targetE1EEEvSQ_
                                        ; -- End function
	.section	.AMDGPU.csdata,"",@progbits
; Kernel info:
; codeLenInByte = 0
; NumSgprs: 4
; NumVgprs: 0
; NumAgprs: 0
; TotalNumVgprs: 0
; ScratchSize: 0
; MemoryBound: 0
; FloatMode: 240
; IeeeMode: 1
; LDSByteSize: 0 bytes/workgroup (compile time only)
; SGPRBlocks: 0
; VGPRBlocks: 0
; NumSGPRsForWavesPerEU: 4
; NumVGPRsForWavesPerEU: 1
; AccumOffset: 4
; Occupancy: 8
; WaveLimiterHint : 0
; COMPUTE_PGM_RSRC2:SCRATCH_EN: 0
; COMPUTE_PGM_RSRC2:USER_SGPR: 6
; COMPUTE_PGM_RSRC2:TRAP_HANDLER: 0
; COMPUTE_PGM_RSRC2:TGID_X_EN: 1
; COMPUTE_PGM_RSRC2:TGID_Y_EN: 0
; COMPUTE_PGM_RSRC2:TGID_Z_EN: 0
; COMPUTE_PGM_RSRC2:TIDIG_COMP_CNT: 0
; COMPUTE_PGM_RSRC3_GFX90A:ACCUM_OFFSET: 0
; COMPUTE_PGM_RSRC3_GFX90A:TG_SPLIT: 0
	.section	.text._ZN7rocprim17ROCPRIM_400000_NS6detail17trampoline_kernelINS0_14default_configENS1_21merge_config_selectorIdNS0_10empty_typeEEEZNS1_10merge_implIS3_N6thrust23THRUST_200600_302600_NS6detail15normal_iteratorINS9_10device_ptrIKdEEEESF_NS9_16discard_iteratorINS9_11use_defaultEEEPS5_SJ_SJ_NS9_4lessIdEEEE10hipError_tPvRmT0_T1_T2_T3_T4_T5_mmT6_P12ihipStream_tbEUlT_E_NS1_11comp_targetILNS1_3genE2ELNS1_11target_archE906ELNS1_3gpuE6ELNS1_3repE0EEENS1_30default_config_static_selectorELNS0_4arch9wavefront6targetE1EEEvSQ_,"axG",@progbits,_ZN7rocprim17ROCPRIM_400000_NS6detail17trampoline_kernelINS0_14default_configENS1_21merge_config_selectorIdNS0_10empty_typeEEEZNS1_10merge_implIS3_N6thrust23THRUST_200600_302600_NS6detail15normal_iteratorINS9_10device_ptrIKdEEEESF_NS9_16discard_iteratorINS9_11use_defaultEEEPS5_SJ_SJ_NS9_4lessIdEEEE10hipError_tPvRmT0_T1_T2_T3_T4_T5_mmT6_P12ihipStream_tbEUlT_E_NS1_11comp_targetILNS1_3genE2ELNS1_11target_archE906ELNS1_3gpuE6ELNS1_3repE0EEENS1_30default_config_static_selectorELNS0_4arch9wavefront6targetE1EEEvSQ_,comdat
	.protected	_ZN7rocprim17ROCPRIM_400000_NS6detail17trampoline_kernelINS0_14default_configENS1_21merge_config_selectorIdNS0_10empty_typeEEEZNS1_10merge_implIS3_N6thrust23THRUST_200600_302600_NS6detail15normal_iteratorINS9_10device_ptrIKdEEEESF_NS9_16discard_iteratorINS9_11use_defaultEEEPS5_SJ_SJ_NS9_4lessIdEEEE10hipError_tPvRmT0_T1_T2_T3_T4_T5_mmT6_P12ihipStream_tbEUlT_E_NS1_11comp_targetILNS1_3genE2ELNS1_11target_archE906ELNS1_3gpuE6ELNS1_3repE0EEENS1_30default_config_static_selectorELNS0_4arch9wavefront6targetE1EEEvSQ_ ; -- Begin function _ZN7rocprim17ROCPRIM_400000_NS6detail17trampoline_kernelINS0_14default_configENS1_21merge_config_selectorIdNS0_10empty_typeEEEZNS1_10merge_implIS3_N6thrust23THRUST_200600_302600_NS6detail15normal_iteratorINS9_10device_ptrIKdEEEESF_NS9_16discard_iteratorINS9_11use_defaultEEEPS5_SJ_SJ_NS9_4lessIdEEEE10hipError_tPvRmT0_T1_T2_T3_T4_T5_mmT6_P12ihipStream_tbEUlT_E_NS1_11comp_targetILNS1_3genE2ELNS1_11target_archE906ELNS1_3gpuE6ELNS1_3repE0EEENS1_30default_config_static_selectorELNS0_4arch9wavefront6targetE1EEEvSQ_
	.globl	_ZN7rocprim17ROCPRIM_400000_NS6detail17trampoline_kernelINS0_14default_configENS1_21merge_config_selectorIdNS0_10empty_typeEEEZNS1_10merge_implIS3_N6thrust23THRUST_200600_302600_NS6detail15normal_iteratorINS9_10device_ptrIKdEEEESF_NS9_16discard_iteratorINS9_11use_defaultEEEPS5_SJ_SJ_NS9_4lessIdEEEE10hipError_tPvRmT0_T1_T2_T3_T4_T5_mmT6_P12ihipStream_tbEUlT_E_NS1_11comp_targetILNS1_3genE2ELNS1_11target_archE906ELNS1_3gpuE6ELNS1_3repE0EEENS1_30default_config_static_selectorELNS0_4arch9wavefront6targetE1EEEvSQ_
	.p2align	8
	.type	_ZN7rocprim17ROCPRIM_400000_NS6detail17trampoline_kernelINS0_14default_configENS1_21merge_config_selectorIdNS0_10empty_typeEEEZNS1_10merge_implIS3_N6thrust23THRUST_200600_302600_NS6detail15normal_iteratorINS9_10device_ptrIKdEEEESF_NS9_16discard_iteratorINS9_11use_defaultEEEPS5_SJ_SJ_NS9_4lessIdEEEE10hipError_tPvRmT0_T1_T2_T3_T4_T5_mmT6_P12ihipStream_tbEUlT_E_NS1_11comp_targetILNS1_3genE2ELNS1_11target_archE906ELNS1_3gpuE6ELNS1_3repE0EEENS1_30default_config_static_selectorELNS0_4arch9wavefront6targetE1EEEvSQ_,@function
_ZN7rocprim17ROCPRIM_400000_NS6detail17trampoline_kernelINS0_14default_configENS1_21merge_config_selectorIdNS0_10empty_typeEEEZNS1_10merge_implIS3_N6thrust23THRUST_200600_302600_NS6detail15normal_iteratorINS9_10device_ptrIKdEEEESF_NS9_16discard_iteratorINS9_11use_defaultEEEPS5_SJ_SJ_NS9_4lessIdEEEE10hipError_tPvRmT0_T1_T2_T3_T4_T5_mmT6_P12ihipStream_tbEUlT_E_NS1_11comp_targetILNS1_3genE2ELNS1_11target_archE906ELNS1_3gpuE6ELNS1_3repE0EEENS1_30default_config_static_selectorELNS0_4arch9wavefront6targetE1EEEvSQ_: ; @_ZN7rocprim17ROCPRIM_400000_NS6detail17trampoline_kernelINS0_14default_configENS1_21merge_config_selectorIdNS0_10empty_typeEEEZNS1_10merge_implIS3_N6thrust23THRUST_200600_302600_NS6detail15normal_iteratorINS9_10device_ptrIKdEEEESF_NS9_16discard_iteratorINS9_11use_defaultEEEPS5_SJ_SJ_NS9_4lessIdEEEE10hipError_tPvRmT0_T1_T2_T3_T4_T5_mmT6_P12ihipStream_tbEUlT_E_NS1_11comp_targetILNS1_3genE2ELNS1_11target_archE906ELNS1_3gpuE6ELNS1_3repE0EEENS1_30default_config_static_selectorELNS0_4arch9wavefront6targetE1EEEvSQ_
; %bb.0:
	.section	.rodata,"a",@progbits
	.p2align	6, 0x0
	.amdhsa_kernel _ZN7rocprim17ROCPRIM_400000_NS6detail17trampoline_kernelINS0_14default_configENS1_21merge_config_selectorIdNS0_10empty_typeEEEZNS1_10merge_implIS3_N6thrust23THRUST_200600_302600_NS6detail15normal_iteratorINS9_10device_ptrIKdEEEESF_NS9_16discard_iteratorINS9_11use_defaultEEEPS5_SJ_SJ_NS9_4lessIdEEEE10hipError_tPvRmT0_T1_T2_T3_T4_T5_mmT6_P12ihipStream_tbEUlT_E_NS1_11comp_targetILNS1_3genE2ELNS1_11target_archE906ELNS1_3gpuE6ELNS1_3repE0EEENS1_30default_config_static_selectorELNS0_4arch9wavefront6targetE1EEEvSQ_
		.amdhsa_group_segment_fixed_size 0
		.amdhsa_private_segment_fixed_size 0
		.amdhsa_kernarg_size 48
		.amdhsa_user_sgpr_count 6
		.amdhsa_user_sgpr_private_segment_buffer 1
		.amdhsa_user_sgpr_dispatch_ptr 0
		.amdhsa_user_sgpr_queue_ptr 0
		.amdhsa_user_sgpr_kernarg_segment_ptr 1
		.amdhsa_user_sgpr_dispatch_id 0
		.amdhsa_user_sgpr_flat_scratch_init 0
		.amdhsa_user_sgpr_kernarg_preload_length 0
		.amdhsa_user_sgpr_kernarg_preload_offset 0
		.amdhsa_user_sgpr_private_segment_size 0
		.amdhsa_uses_dynamic_stack 0
		.amdhsa_system_sgpr_private_segment_wavefront_offset 0
		.amdhsa_system_sgpr_workgroup_id_x 1
		.amdhsa_system_sgpr_workgroup_id_y 0
		.amdhsa_system_sgpr_workgroup_id_z 0
		.amdhsa_system_sgpr_workgroup_info 0
		.amdhsa_system_vgpr_workitem_id 0
		.amdhsa_next_free_vgpr 1
		.amdhsa_next_free_sgpr 0
		.amdhsa_accum_offset 4
		.amdhsa_reserve_vcc 0
		.amdhsa_reserve_flat_scratch 0
		.amdhsa_float_round_mode_32 0
		.amdhsa_float_round_mode_16_64 0
		.amdhsa_float_denorm_mode_32 3
		.amdhsa_float_denorm_mode_16_64 3
		.amdhsa_dx10_clamp 1
		.amdhsa_ieee_mode 1
		.amdhsa_fp16_overflow 0
		.amdhsa_tg_split 0
		.amdhsa_exception_fp_ieee_invalid_op 0
		.amdhsa_exception_fp_denorm_src 0
		.amdhsa_exception_fp_ieee_div_zero 0
		.amdhsa_exception_fp_ieee_overflow 0
		.amdhsa_exception_fp_ieee_underflow 0
		.amdhsa_exception_fp_ieee_inexact 0
		.amdhsa_exception_int_div_zero 0
	.end_amdhsa_kernel
	.section	.text._ZN7rocprim17ROCPRIM_400000_NS6detail17trampoline_kernelINS0_14default_configENS1_21merge_config_selectorIdNS0_10empty_typeEEEZNS1_10merge_implIS3_N6thrust23THRUST_200600_302600_NS6detail15normal_iteratorINS9_10device_ptrIKdEEEESF_NS9_16discard_iteratorINS9_11use_defaultEEEPS5_SJ_SJ_NS9_4lessIdEEEE10hipError_tPvRmT0_T1_T2_T3_T4_T5_mmT6_P12ihipStream_tbEUlT_E_NS1_11comp_targetILNS1_3genE2ELNS1_11target_archE906ELNS1_3gpuE6ELNS1_3repE0EEENS1_30default_config_static_selectorELNS0_4arch9wavefront6targetE1EEEvSQ_,"axG",@progbits,_ZN7rocprim17ROCPRIM_400000_NS6detail17trampoline_kernelINS0_14default_configENS1_21merge_config_selectorIdNS0_10empty_typeEEEZNS1_10merge_implIS3_N6thrust23THRUST_200600_302600_NS6detail15normal_iteratorINS9_10device_ptrIKdEEEESF_NS9_16discard_iteratorINS9_11use_defaultEEEPS5_SJ_SJ_NS9_4lessIdEEEE10hipError_tPvRmT0_T1_T2_T3_T4_T5_mmT6_P12ihipStream_tbEUlT_E_NS1_11comp_targetILNS1_3genE2ELNS1_11target_archE906ELNS1_3gpuE6ELNS1_3repE0EEENS1_30default_config_static_selectorELNS0_4arch9wavefront6targetE1EEEvSQ_,comdat
.Lfunc_end321:
	.size	_ZN7rocprim17ROCPRIM_400000_NS6detail17trampoline_kernelINS0_14default_configENS1_21merge_config_selectorIdNS0_10empty_typeEEEZNS1_10merge_implIS3_N6thrust23THRUST_200600_302600_NS6detail15normal_iteratorINS9_10device_ptrIKdEEEESF_NS9_16discard_iteratorINS9_11use_defaultEEEPS5_SJ_SJ_NS9_4lessIdEEEE10hipError_tPvRmT0_T1_T2_T3_T4_T5_mmT6_P12ihipStream_tbEUlT_E_NS1_11comp_targetILNS1_3genE2ELNS1_11target_archE906ELNS1_3gpuE6ELNS1_3repE0EEENS1_30default_config_static_selectorELNS0_4arch9wavefront6targetE1EEEvSQ_, .Lfunc_end321-_ZN7rocprim17ROCPRIM_400000_NS6detail17trampoline_kernelINS0_14default_configENS1_21merge_config_selectorIdNS0_10empty_typeEEEZNS1_10merge_implIS3_N6thrust23THRUST_200600_302600_NS6detail15normal_iteratorINS9_10device_ptrIKdEEEESF_NS9_16discard_iteratorINS9_11use_defaultEEEPS5_SJ_SJ_NS9_4lessIdEEEE10hipError_tPvRmT0_T1_T2_T3_T4_T5_mmT6_P12ihipStream_tbEUlT_E_NS1_11comp_targetILNS1_3genE2ELNS1_11target_archE906ELNS1_3gpuE6ELNS1_3repE0EEENS1_30default_config_static_selectorELNS0_4arch9wavefront6targetE1EEEvSQ_
                                        ; -- End function
	.section	.AMDGPU.csdata,"",@progbits
; Kernel info:
; codeLenInByte = 0
; NumSgprs: 4
; NumVgprs: 0
; NumAgprs: 0
; TotalNumVgprs: 0
; ScratchSize: 0
; MemoryBound: 0
; FloatMode: 240
; IeeeMode: 1
; LDSByteSize: 0 bytes/workgroup (compile time only)
; SGPRBlocks: 0
; VGPRBlocks: 0
; NumSGPRsForWavesPerEU: 4
; NumVGPRsForWavesPerEU: 1
; AccumOffset: 4
; Occupancy: 8
; WaveLimiterHint : 0
; COMPUTE_PGM_RSRC2:SCRATCH_EN: 0
; COMPUTE_PGM_RSRC2:USER_SGPR: 6
; COMPUTE_PGM_RSRC2:TRAP_HANDLER: 0
; COMPUTE_PGM_RSRC2:TGID_X_EN: 1
; COMPUTE_PGM_RSRC2:TGID_Y_EN: 0
; COMPUTE_PGM_RSRC2:TGID_Z_EN: 0
; COMPUTE_PGM_RSRC2:TIDIG_COMP_CNT: 0
; COMPUTE_PGM_RSRC3_GFX90A:ACCUM_OFFSET: 0
; COMPUTE_PGM_RSRC3_GFX90A:TG_SPLIT: 0
	.section	.text._ZN7rocprim17ROCPRIM_400000_NS6detail17trampoline_kernelINS0_14default_configENS1_21merge_config_selectorIdNS0_10empty_typeEEEZNS1_10merge_implIS3_N6thrust23THRUST_200600_302600_NS6detail15normal_iteratorINS9_10device_ptrIKdEEEESF_NS9_16discard_iteratorINS9_11use_defaultEEEPS5_SJ_SJ_NS9_4lessIdEEEE10hipError_tPvRmT0_T1_T2_T3_T4_T5_mmT6_P12ihipStream_tbEUlT_E_NS1_11comp_targetILNS1_3genE10ELNS1_11target_archE1201ELNS1_3gpuE5ELNS1_3repE0EEENS1_30default_config_static_selectorELNS0_4arch9wavefront6targetE1EEEvSQ_,"axG",@progbits,_ZN7rocprim17ROCPRIM_400000_NS6detail17trampoline_kernelINS0_14default_configENS1_21merge_config_selectorIdNS0_10empty_typeEEEZNS1_10merge_implIS3_N6thrust23THRUST_200600_302600_NS6detail15normal_iteratorINS9_10device_ptrIKdEEEESF_NS9_16discard_iteratorINS9_11use_defaultEEEPS5_SJ_SJ_NS9_4lessIdEEEE10hipError_tPvRmT0_T1_T2_T3_T4_T5_mmT6_P12ihipStream_tbEUlT_E_NS1_11comp_targetILNS1_3genE10ELNS1_11target_archE1201ELNS1_3gpuE5ELNS1_3repE0EEENS1_30default_config_static_selectorELNS0_4arch9wavefront6targetE1EEEvSQ_,comdat
	.protected	_ZN7rocprim17ROCPRIM_400000_NS6detail17trampoline_kernelINS0_14default_configENS1_21merge_config_selectorIdNS0_10empty_typeEEEZNS1_10merge_implIS3_N6thrust23THRUST_200600_302600_NS6detail15normal_iteratorINS9_10device_ptrIKdEEEESF_NS9_16discard_iteratorINS9_11use_defaultEEEPS5_SJ_SJ_NS9_4lessIdEEEE10hipError_tPvRmT0_T1_T2_T3_T4_T5_mmT6_P12ihipStream_tbEUlT_E_NS1_11comp_targetILNS1_3genE10ELNS1_11target_archE1201ELNS1_3gpuE5ELNS1_3repE0EEENS1_30default_config_static_selectorELNS0_4arch9wavefront6targetE1EEEvSQ_ ; -- Begin function _ZN7rocprim17ROCPRIM_400000_NS6detail17trampoline_kernelINS0_14default_configENS1_21merge_config_selectorIdNS0_10empty_typeEEEZNS1_10merge_implIS3_N6thrust23THRUST_200600_302600_NS6detail15normal_iteratorINS9_10device_ptrIKdEEEESF_NS9_16discard_iteratorINS9_11use_defaultEEEPS5_SJ_SJ_NS9_4lessIdEEEE10hipError_tPvRmT0_T1_T2_T3_T4_T5_mmT6_P12ihipStream_tbEUlT_E_NS1_11comp_targetILNS1_3genE10ELNS1_11target_archE1201ELNS1_3gpuE5ELNS1_3repE0EEENS1_30default_config_static_selectorELNS0_4arch9wavefront6targetE1EEEvSQ_
	.globl	_ZN7rocprim17ROCPRIM_400000_NS6detail17trampoline_kernelINS0_14default_configENS1_21merge_config_selectorIdNS0_10empty_typeEEEZNS1_10merge_implIS3_N6thrust23THRUST_200600_302600_NS6detail15normal_iteratorINS9_10device_ptrIKdEEEESF_NS9_16discard_iteratorINS9_11use_defaultEEEPS5_SJ_SJ_NS9_4lessIdEEEE10hipError_tPvRmT0_T1_T2_T3_T4_T5_mmT6_P12ihipStream_tbEUlT_E_NS1_11comp_targetILNS1_3genE10ELNS1_11target_archE1201ELNS1_3gpuE5ELNS1_3repE0EEENS1_30default_config_static_selectorELNS0_4arch9wavefront6targetE1EEEvSQ_
	.p2align	8
	.type	_ZN7rocprim17ROCPRIM_400000_NS6detail17trampoline_kernelINS0_14default_configENS1_21merge_config_selectorIdNS0_10empty_typeEEEZNS1_10merge_implIS3_N6thrust23THRUST_200600_302600_NS6detail15normal_iteratorINS9_10device_ptrIKdEEEESF_NS9_16discard_iteratorINS9_11use_defaultEEEPS5_SJ_SJ_NS9_4lessIdEEEE10hipError_tPvRmT0_T1_T2_T3_T4_T5_mmT6_P12ihipStream_tbEUlT_E_NS1_11comp_targetILNS1_3genE10ELNS1_11target_archE1201ELNS1_3gpuE5ELNS1_3repE0EEENS1_30default_config_static_selectorELNS0_4arch9wavefront6targetE1EEEvSQ_,@function
_ZN7rocprim17ROCPRIM_400000_NS6detail17trampoline_kernelINS0_14default_configENS1_21merge_config_selectorIdNS0_10empty_typeEEEZNS1_10merge_implIS3_N6thrust23THRUST_200600_302600_NS6detail15normal_iteratorINS9_10device_ptrIKdEEEESF_NS9_16discard_iteratorINS9_11use_defaultEEEPS5_SJ_SJ_NS9_4lessIdEEEE10hipError_tPvRmT0_T1_T2_T3_T4_T5_mmT6_P12ihipStream_tbEUlT_E_NS1_11comp_targetILNS1_3genE10ELNS1_11target_archE1201ELNS1_3gpuE5ELNS1_3repE0EEENS1_30default_config_static_selectorELNS0_4arch9wavefront6targetE1EEEvSQ_: ; @_ZN7rocprim17ROCPRIM_400000_NS6detail17trampoline_kernelINS0_14default_configENS1_21merge_config_selectorIdNS0_10empty_typeEEEZNS1_10merge_implIS3_N6thrust23THRUST_200600_302600_NS6detail15normal_iteratorINS9_10device_ptrIKdEEEESF_NS9_16discard_iteratorINS9_11use_defaultEEEPS5_SJ_SJ_NS9_4lessIdEEEE10hipError_tPvRmT0_T1_T2_T3_T4_T5_mmT6_P12ihipStream_tbEUlT_E_NS1_11comp_targetILNS1_3genE10ELNS1_11target_archE1201ELNS1_3gpuE5ELNS1_3repE0EEENS1_30default_config_static_selectorELNS0_4arch9wavefront6targetE1EEEvSQ_
; %bb.0:
	.section	.rodata,"a",@progbits
	.p2align	6, 0x0
	.amdhsa_kernel _ZN7rocprim17ROCPRIM_400000_NS6detail17trampoline_kernelINS0_14default_configENS1_21merge_config_selectorIdNS0_10empty_typeEEEZNS1_10merge_implIS3_N6thrust23THRUST_200600_302600_NS6detail15normal_iteratorINS9_10device_ptrIKdEEEESF_NS9_16discard_iteratorINS9_11use_defaultEEEPS5_SJ_SJ_NS9_4lessIdEEEE10hipError_tPvRmT0_T1_T2_T3_T4_T5_mmT6_P12ihipStream_tbEUlT_E_NS1_11comp_targetILNS1_3genE10ELNS1_11target_archE1201ELNS1_3gpuE5ELNS1_3repE0EEENS1_30default_config_static_selectorELNS0_4arch9wavefront6targetE1EEEvSQ_
		.amdhsa_group_segment_fixed_size 0
		.amdhsa_private_segment_fixed_size 0
		.amdhsa_kernarg_size 48
		.amdhsa_user_sgpr_count 6
		.amdhsa_user_sgpr_private_segment_buffer 1
		.amdhsa_user_sgpr_dispatch_ptr 0
		.amdhsa_user_sgpr_queue_ptr 0
		.amdhsa_user_sgpr_kernarg_segment_ptr 1
		.amdhsa_user_sgpr_dispatch_id 0
		.amdhsa_user_sgpr_flat_scratch_init 0
		.amdhsa_user_sgpr_kernarg_preload_length 0
		.amdhsa_user_sgpr_kernarg_preload_offset 0
		.amdhsa_user_sgpr_private_segment_size 0
		.amdhsa_uses_dynamic_stack 0
		.amdhsa_system_sgpr_private_segment_wavefront_offset 0
		.amdhsa_system_sgpr_workgroup_id_x 1
		.amdhsa_system_sgpr_workgroup_id_y 0
		.amdhsa_system_sgpr_workgroup_id_z 0
		.amdhsa_system_sgpr_workgroup_info 0
		.amdhsa_system_vgpr_workitem_id 0
		.amdhsa_next_free_vgpr 1
		.amdhsa_next_free_sgpr 0
		.amdhsa_accum_offset 4
		.amdhsa_reserve_vcc 0
		.amdhsa_reserve_flat_scratch 0
		.amdhsa_float_round_mode_32 0
		.amdhsa_float_round_mode_16_64 0
		.amdhsa_float_denorm_mode_32 3
		.amdhsa_float_denorm_mode_16_64 3
		.amdhsa_dx10_clamp 1
		.amdhsa_ieee_mode 1
		.amdhsa_fp16_overflow 0
		.amdhsa_tg_split 0
		.amdhsa_exception_fp_ieee_invalid_op 0
		.amdhsa_exception_fp_denorm_src 0
		.amdhsa_exception_fp_ieee_div_zero 0
		.amdhsa_exception_fp_ieee_overflow 0
		.amdhsa_exception_fp_ieee_underflow 0
		.amdhsa_exception_fp_ieee_inexact 0
		.amdhsa_exception_int_div_zero 0
	.end_amdhsa_kernel
	.section	.text._ZN7rocprim17ROCPRIM_400000_NS6detail17trampoline_kernelINS0_14default_configENS1_21merge_config_selectorIdNS0_10empty_typeEEEZNS1_10merge_implIS3_N6thrust23THRUST_200600_302600_NS6detail15normal_iteratorINS9_10device_ptrIKdEEEESF_NS9_16discard_iteratorINS9_11use_defaultEEEPS5_SJ_SJ_NS9_4lessIdEEEE10hipError_tPvRmT0_T1_T2_T3_T4_T5_mmT6_P12ihipStream_tbEUlT_E_NS1_11comp_targetILNS1_3genE10ELNS1_11target_archE1201ELNS1_3gpuE5ELNS1_3repE0EEENS1_30default_config_static_selectorELNS0_4arch9wavefront6targetE1EEEvSQ_,"axG",@progbits,_ZN7rocprim17ROCPRIM_400000_NS6detail17trampoline_kernelINS0_14default_configENS1_21merge_config_selectorIdNS0_10empty_typeEEEZNS1_10merge_implIS3_N6thrust23THRUST_200600_302600_NS6detail15normal_iteratorINS9_10device_ptrIKdEEEESF_NS9_16discard_iteratorINS9_11use_defaultEEEPS5_SJ_SJ_NS9_4lessIdEEEE10hipError_tPvRmT0_T1_T2_T3_T4_T5_mmT6_P12ihipStream_tbEUlT_E_NS1_11comp_targetILNS1_3genE10ELNS1_11target_archE1201ELNS1_3gpuE5ELNS1_3repE0EEENS1_30default_config_static_selectorELNS0_4arch9wavefront6targetE1EEEvSQ_,comdat
.Lfunc_end322:
	.size	_ZN7rocprim17ROCPRIM_400000_NS6detail17trampoline_kernelINS0_14default_configENS1_21merge_config_selectorIdNS0_10empty_typeEEEZNS1_10merge_implIS3_N6thrust23THRUST_200600_302600_NS6detail15normal_iteratorINS9_10device_ptrIKdEEEESF_NS9_16discard_iteratorINS9_11use_defaultEEEPS5_SJ_SJ_NS9_4lessIdEEEE10hipError_tPvRmT0_T1_T2_T3_T4_T5_mmT6_P12ihipStream_tbEUlT_E_NS1_11comp_targetILNS1_3genE10ELNS1_11target_archE1201ELNS1_3gpuE5ELNS1_3repE0EEENS1_30default_config_static_selectorELNS0_4arch9wavefront6targetE1EEEvSQ_, .Lfunc_end322-_ZN7rocprim17ROCPRIM_400000_NS6detail17trampoline_kernelINS0_14default_configENS1_21merge_config_selectorIdNS0_10empty_typeEEEZNS1_10merge_implIS3_N6thrust23THRUST_200600_302600_NS6detail15normal_iteratorINS9_10device_ptrIKdEEEESF_NS9_16discard_iteratorINS9_11use_defaultEEEPS5_SJ_SJ_NS9_4lessIdEEEE10hipError_tPvRmT0_T1_T2_T3_T4_T5_mmT6_P12ihipStream_tbEUlT_E_NS1_11comp_targetILNS1_3genE10ELNS1_11target_archE1201ELNS1_3gpuE5ELNS1_3repE0EEENS1_30default_config_static_selectorELNS0_4arch9wavefront6targetE1EEEvSQ_
                                        ; -- End function
	.section	.AMDGPU.csdata,"",@progbits
; Kernel info:
; codeLenInByte = 0
; NumSgprs: 4
; NumVgprs: 0
; NumAgprs: 0
; TotalNumVgprs: 0
; ScratchSize: 0
; MemoryBound: 0
; FloatMode: 240
; IeeeMode: 1
; LDSByteSize: 0 bytes/workgroup (compile time only)
; SGPRBlocks: 0
; VGPRBlocks: 0
; NumSGPRsForWavesPerEU: 4
; NumVGPRsForWavesPerEU: 1
; AccumOffset: 4
; Occupancy: 8
; WaveLimiterHint : 0
; COMPUTE_PGM_RSRC2:SCRATCH_EN: 0
; COMPUTE_PGM_RSRC2:USER_SGPR: 6
; COMPUTE_PGM_RSRC2:TRAP_HANDLER: 0
; COMPUTE_PGM_RSRC2:TGID_X_EN: 1
; COMPUTE_PGM_RSRC2:TGID_Y_EN: 0
; COMPUTE_PGM_RSRC2:TGID_Z_EN: 0
; COMPUTE_PGM_RSRC2:TIDIG_COMP_CNT: 0
; COMPUTE_PGM_RSRC3_GFX90A:ACCUM_OFFSET: 0
; COMPUTE_PGM_RSRC3_GFX90A:TG_SPLIT: 0
	.section	.text._ZN7rocprim17ROCPRIM_400000_NS6detail17trampoline_kernelINS0_14default_configENS1_21merge_config_selectorIdNS0_10empty_typeEEEZNS1_10merge_implIS3_N6thrust23THRUST_200600_302600_NS6detail15normal_iteratorINS9_10device_ptrIKdEEEESF_NS9_16discard_iteratorINS9_11use_defaultEEEPS5_SJ_SJ_NS9_4lessIdEEEE10hipError_tPvRmT0_T1_T2_T3_T4_T5_mmT6_P12ihipStream_tbEUlT_E_NS1_11comp_targetILNS1_3genE10ELNS1_11target_archE1200ELNS1_3gpuE4ELNS1_3repE0EEENS1_30default_config_static_selectorELNS0_4arch9wavefront6targetE1EEEvSQ_,"axG",@progbits,_ZN7rocprim17ROCPRIM_400000_NS6detail17trampoline_kernelINS0_14default_configENS1_21merge_config_selectorIdNS0_10empty_typeEEEZNS1_10merge_implIS3_N6thrust23THRUST_200600_302600_NS6detail15normal_iteratorINS9_10device_ptrIKdEEEESF_NS9_16discard_iteratorINS9_11use_defaultEEEPS5_SJ_SJ_NS9_4lessIdEEEE10hipError_tPvRmT0_T1_T2_T3_T4_T5_mmT6_P12ihipStream_tbEUlT_E_NS1_11comp_targetILNS1_3genE10ELNS1_11target_archE1200ELNS1_3gpuE4ELNS1_3repE0EEENS1_30default_config_static_selectorELNS0_4arch9wavefront6targetE1EEEvSQ_,comdat
	.protected	_ZN7rocprim17ROCPRIM_400000_NS6detail17trampoline_kernelINS0_14default_configENS1_21merge_config_selectorIdNS0_10empty_typeEEEZNS1_10merge_implIS3_N6thrust23THRUST_200600_302600_NS6detail15normal_iteratorINS9_10device_ptrIKdEEEESF_NS9_16discard_iteratorINS9_11use_defaultEEEPS5_SJ_SJ_NS9_4lessIdEEEE10hipError_tPvRmT0_T1_T2_T3_T4_T5_mmT6_P12ihipStream_tbEUlT_E_NS1_11comp_targetILNS1_3genE10ELNS1_11target_archE1200ELNS1_3gpuE4ELNS1_3repE0EEENS1_30default_config_static_selectorELNS0_4arch9wavefront6targetE1EEEvSQ_ ; -- Begin function _ZN7rocprim17ROCPRIM_400000_NS6detail17trampoline_kernelINS0_14default_configENS1_21merge_config_selectorIdNS0_10empty_typeEEEZNS1_10merge_implIS3_N6thrust23THRUST_200600_302600_NS6detail15normal_iteratorINS9_10device_ptrIKdEEEESF_NS9_16discard_iteratorINS9_11use_defaultEEEPS5_SJ_SJ_NS9_4lessIdEEEE10hipError_tPvRmT0_T1_T2_T3_T4_T5_mmT6_P12ihipStream_tbEUlT_E_NS1_11comp_targetILNS1_3genE10ELNS1_11target_archE1200ELNS1_3gpuE4ELNS1_3repE0EEENS1_30default_config_static_selectorELNS0_4arch9wavefront6targetE1EEEvSQ_
	.globl	_ZN7rocprim17ROCPRIM_400000_NS6detail17trampoline_kernelINS0_14default_configENS1_21merge_config_selectorIdNS0_10empty_typeEEEZNS1_10merge_implIS3_N6thrust23THRUST_200600_302600_NS6detail15normal_iteratorINS9_10device_ptrIKdEEEESF_NS9_16discard_iteratorINS9_11use_defaultEEEPS5_SJ_SJ_NS9_4lessIdEEEE10hipError_tPvRmT0_T1_T2_T3_T4_T5_mmT6_P12ihipStream_tbEUlT_E_NS1_11comp_targetILNS1_3genE10ELNS1_11target_archE1200ELNS1_3gpuE4ELNS1_3repE0EEENS1_30default_config_static_selectorELNS0_4arch9wavefront6targetE1EEEvSQ_
	.p2align	8
	.type	_ZN7rocprim17ROCPRIM_400000_NS6detail17trampoline_kernelINS0_14default_configENS1_21merge_config_selectorIdNS0_10empty_typeEEEZNS1_10merge_implIS3_N6thrust23THRUST_200600_302600_NS6detail15normal_iteratorINS9_10device_ptrIKdEEEESF_NS9_16discard_iteratorINS9_11use_defaultEEEPS5_SJ_SJ_NS9_4lessIdEEEE10hipError_tPvRmT0_T1_T2_T3_T4_T5_mmT6_P12ihipStream_tbEUlT_E_NS1_11comp_targetILNS1_3genE10ELNS1_11target_archE1200ELNS1_3gpuE4ELNS1_3repE0EEENS1_30default_config_static_selectorELNS0_4arch9wavefront6targetE1EEEvSQ_,@function
_ZN7rocprim17ROCPRIM_400000_NS6detail17trampoline_kernelINS0_14default_configENS1_21merge_config_selectorIdNS0_10empty_typeEEEZNS1_10merge_implIS3_N6thrust23THRUST_200600_302600_NS6detail15normal_iteratorINS9_10device_ptrIKdEEEESF_NS9_16discard_iteratorINS9_11use_defaultEEEPS5_SJ_SJ_NS9_4lessIdEEEE10hipError_tPvRmT0_T1_T2_T3_T4_T5_mmT6_P12ihipStream_tbEUlT_E_NS1_11comp_targetILNS1_3genE10ELNS1_11target_archE1200ELNS1_3gpuE4ELNS1_3repE0EEENS1_30default_config_static_selectorELNS0_4arch9wavefront6targetE1EEEvSQ_: ; @_ZN7rocprim17ROCPRIM_400000_NS6detail17trampoline_kernelINS0_14default_configENS1_21merge_config_selectorIdNS0_10empty_typeEEEZNS1_10merge_implIS3_N6thrust23THRUST_200600_302600_NS6detail15normal_iteratorINS9_10device_ptrIKdEEEESF_NS9_16discard_iteratorINS9_11use_defaultEEEPS5_SJ_SJ_NS9_4lessIdEEEE10hipError_tPvRmT0_T1_T2_T3_T4_T5_mmT6_P12ihipStream_tbEUlT_E_NS1_11comp_targetILNS1_3genE10ELNS1_11target_archE1200ELNS1_3gpuE4ELNS1_3repE0EEENS1_30default_config_static_selectorELNS0_4arch9wavefront6targetE1EEEvSQ_
; %bb.0:
	.section	.rodata,"a",@progbits
	.p2align	6, 0x0
	.amdhsa_kernel _ZN7rocprim17ROCPRIM_400000_NS6detail17trampoline_kernelINS0_14default_configENS1_21merge_config_selectorIdNS0_10empty_typeEEEZNS1_10merge_implIS3_N6thrust23THRUST_200600_302600_NS6detail15normal_iteratorINS9_10device_ptrIKdEEEESF_NS9_16discard_iteratorINS9_11use_defaultEEEPS5_SJ_SJ_NS9_4lessIdEEEE10hipError_tPvRmT0_T1_T2_T3_T4_T5_mmT6_P12ihipStream_tbEUlT_E_NS1_11comp_targetILNS1_3genE10ELNS1_11target_archE1200ELNS1_3gpuE4ELNS1_3repE0EEENS1_30default_config_static_selectorELNS0_4arch9wavefront6targetE1EEEvSQ_
		.amdhsa_group_segment_fixed_size 0
		.amdhsa_private_segment_fixed_size 0
		.amdhsa_kernarg_size 48
		.amdhsa_user_sgpr_count 6
		.amdhsa_user_sgpr_private_segment_buffer 1
		.amdhsa_user_sgpr_dispatch_ptr 0
		.amdhsa_user_sgpr_queue_ptr 0
		.amdhsa_user_sgpr_kernarg_segment_ptr 1
		.amdhsa_user_sgpr_dispatch_id 0
		.amdhsa_user_sgpr_flat_scratch_init 0
		.amdhsa_user_sgpr_kernarg_preload_length 0
		.amdhsa_user_sgpr_kernarg_preload_offset 0
		.amdhsa_user_sgpr_private_segment_size 0
		.amdhsa_uses_dynamic_stack 0
		.amdhsa_system_sgpr_private_segment_wavefront_offset 0
		.amdhsa_system_sgpr_workgroup_id_x 1
		.amdhsa_system_sgpr_workgroup_id_y 0
		.amdhsa_system_sgpr_workgroup_id_z 0
		.amdhsa_system_sgpr_workgroup_info 0
		.amdhsa_system_vgpr_workitem_id 0
		.amdhsa_next_free_vgpr 1
		.amdhsa_next_free_sgpr 0
		.amdhsa_accum_offset 4
		.amdhsa_reserve_vcc 0
		.amdhsa_reserve_flat_scratch 0
		.amdhsa_float_round_mode_32 0
		.amdhsa_float_round_mode_16_64 0
		.amdhsa_float_denorm_mode_32 3
		.amdhsa_float_denorm_mode_16_64 3
		.amdhsa_dx10_clamp 1
		.amdhsa_ieee_mode 1
		.amdhsa_fp16_overflow 0
		.amdhsa_tg_split 0
		.amdhsa_exception_fp_ieee_invalid_op 0
		.amdhsa_exception_fp_denorm_src 0
		.amdhsa_exception_fp_ieee_div_zero 0
		.amdhsa_exception_fp_ieee_overflow 0
		.amdhsa_exception_fp_ieee_underflow 0
		.amdhsa_exception_fp_ieee_inexact 0
		.amdhsa_exception_int_div_zero 0
	.end_amdhsa_kernel
	.section	.text._ZN7rocprim17ROCPRIM_400000_NS6detail17trampoline_kernelINS0_14default_configENS1_21merge_config_selectorIdNS0_10empty_typeEEEZNS1_10merge_implIS3_N6thrust23THRUST_200600_302600_NS6detail15normal_iteratorINS9_10device_ptrIKdEEEESF_NS9_16discard_iteratorINS9_11use_defaultEEEPS5_SJ_SJ_NS9_4lessIdEEEE10hipError_tPvRmT0_T1_T2_T3_T4_T5_mmT6_P12ihipStream_tbEUlT_E_NS1_11comp_targetILNS1_3genE10ELNS1_11target_archE1200ELNS1_3gpuE4ELNS1_3repE0EEENS1_30default_config_static_selectorELNS0_4arch9wavefront6targetE1EEEvSQ_,"axG",@progbits,_ZN7rocprim17ROCPRIM_400000_NS6detail17trampoline_kernelINS0_14default_configENS1_21merge_config_selectorIdNS0_10empty_typeEEEZNS1_10merge_implIS3_N6thrust23THRUST_200600_302600_NS6detail15normal_iteratorINS9_10device_ptrIKdEEEESF_NS9_16discard_iteratorINS9_11use_defaultEEEPS5_SJ_SJ_NS9_4lessIdEEEE10hipError_tPvRmT0_T1_T2_T3_T4_T5_mmT6_P12ihipStream_tbEUlT_E_NS1_11comp_targetILNS1_3genE10ELNS1_11target_archE1200ELNS1_3gpuE4ELNS1_3repE0EEENS1_30default_config_static_selectorELNS0_4arch9wavefront6targetE1EEEvSQ_,comdat
.Lfunc_end323:
	.size	_ZN7rocprim17ROCPRIM_400000_NS6detail17trampoline_kernelINS0_14default_configENS1_21merge_config_selectorIdNS0_10empty_typeEEEZNS1_10merge_implIS3_N6thrust23THRUST_200600_302600_NS6detail15normal_iteratorINS9_10device_ptrIKdEEEESF_NS9_16discard_iteratorINS9_11use_defaultEEEPS5_SJ_SJ_NS9_4lessIdEEEE10hipError_tPvRmT0_T1_T2_T3_T4_T5_mmT6_P12ihipStream_tbEUlT_E_NS1_11comp_targetILNS1_3genE10ELNS1_11target_archE1200ELNS1_3gpuE4ELNS1_3repE0EEENS1_30default_config_static_selectorELNS0_4arch9wavefront6targetE1EEEvSQ_, .Lfunc_end323-_ZN7rocprim17ROCPRIM_400000_NS6detail17trampoline_kernelINS0_14default_configENS1_21merge_config_selectorIdNS0_10empty_typeEEEZNS1_10merge_implIS3_N6thrust23THRUST_200600_302600_NS6detail15normal_iteratorINS9_10device_ptrIKdEEEESF_NS9_16discard_iteratorINS9_11use_defaultEEEPS5_SJ_SJ_NS9_4lessIdEEEE10hipError_tPvRmT0_T1_T2_T3_T4_T5_mmT6_P12ihipStream_tbEUlT_E_NS1_11comp_targetILNS1_3genE10ELNS1_11target_archE1200ELNS1_3gpuE4ELNS1_3repE0EEENS1_30default_config_static_selectorELNS0_4arch9wavefront6targetE1EEEvSQ_
                                        ; -- End function
	.section	.AMDGPU.csdata,"",@progbits
; Kernel info:
; codeLenInByte = 0
; NumSgprs: 4
; NumVgprs: 0
; NumAgprs: 0
; TotalNumVgprs: 0
; ScratchSize: 0
; MemoryBound: 0
; FloatMode: 240
; IeeeMode: 1
; LDSByteSize: 0 bytes/workgroup (compile time only)
; SGPRBlocks: 0
; VGPRBlocks: 0
; NumSGPRsForWavesPerEU: 4
; NumVGPRsForWavesPerEU: 1
; AccumOffset: 4
; Occupancy: 8
; WaveLimiterHint : 0
; COMPUTE_PGM_RSRC2:SCRATCH_EN: 0
; COMPUTE_PGM_RSRC2:USER_SGPR: 6
; COMPUTE_PGM_RSRC2:TRAP_HANDLER: 0
; COMPUTE_PGM_RSRC2:TGID_X_EN: 1
; COMPUTE_PGM_RSRC2:TGID_Y_EN: 0
; COMPUTE_PGM_RSRC2:TGID_Z_EN: 0
; COMPUTE_PGM_RSRC2:TIDIG_COMP_CNT: 0
; COMPUTE_PGM_RSRC3_GFX90A:ACCUM_OFFSET: 0
; COMPUTE_PGM_RSRC3_GFX90A:TG_SPLIT: 0
	.section	.text._ZN7rocprim17ROCPRIM_400000_NS6detail17trampoline_kernelINS0_14default_configENS1_21merge_config_selectorIdNS0_10empty_typeEEEZNS1_10merge_implIS3_N6thrust23THRUST_200600_302600_NS6detail15normal_iteratorINS9_10device_ptrIKdEEEESF_NS9_16discard_iteratorINS9_11use_defaultEEEPS5_SJ_SJ_NS9_4lessIdEEEE10hipError_tPvRmT0_T1_T2_T3_T4_T5_mmT6_P12ihipStream_tbEUlT_E_NS1_11comp_targetILNS1_3genE9ELNS1_11target_archE1100ELNS1_3gpuE3ELNS1_3repE0EEENS1_30default_config_static_selectorELNS0_4arch9wavefront6targetE1EEEvSQ_,"axG",@progbits,_ZN7rocprim17ROCPRIM_400000_NS6detail17trampoline_kernelINS0_14default_configENS1_21merge_config_selectorIdNS0_10empty_typeEEEZNS1_10merge_implIS3_N6thrust23THRUST_200600_302600_NS6detail15normal_iteratorINS9_10device_ptrIKdEEEESF_NS9_16discard_iteratorINS9_11use_defaultEEEPS5_SJ_SJ_NS9_4lessIdEEEE10hipError_tPvRmT0_T1_T2_T3_T4_T5_mmT6_P12ihipStream_tbEUlT_E_NS1_11comp_targetILNS1_3genE9ELNS1_11target_archE1100ELNS1_3gpuE3ELNS1_3repE0EEENS1_30default_config_static_selectorELNS0_4arch9wavefront6targetE1EEEvSQ_,comdat
	.protected	_ZN7rocprim17ROCPRIM_400000_NS6detail17trampoline_kernelINS0_14default_configENS1_21merge_config_selectorIdNS0_10empty_typeEEEZNS1_10merge_implIS3_N6thrust23THRUST_200600_302600_NS6detail15normal_iteratorINS9_10device_ptrIKdEEEESF_NS9_16discard_iteratorINS9_11use_defaultEEEPS5_SJ_SJ_NS9_4lessIdEEEE10hipError_tPvRmT0_T1_T2_T3_T4_T5_mmT6_P12ihipStream_tbEUlT_E_NS1_11comp_targetILNS1_3genE9ELNS1_11target_archE1100ELNS1_3gpuE3ELNS1_3repE0EEENS1_30default_config_static_selectorELNS0_4arch9wavefront6targetE1EEEvSQ_ ; -- Begin function _ZN7rocprim17ROCPRIM_400000_NS6detail17trampoline_kernelINS0_14default_configENS1_21merge_config_selectorIdNS0_10empty_typeEEEZNS1_10merge_implIS3_N6thrust23THRUST_200600_302600_NS6detail15normal_iteratorINS9_10device_ptrIKdEEEESF_NS9_16discard_iteratorINS9_11use_defaultEEEPS5_SJ_SJ_NS9_4lessIdEEEE10hipError_tPvRmT0_T1_T2_T3_T4_T5_mmT6_P12ihipStream_tbEUlT_E_NS1_11comp_targetILNS1_3genE9ELNS1_11target_archE1100ELNS1_3gpuE3ELNS1_3repE0EEENS1_30default_config_static_selectorELNS0_4arch9wavefront6targetE1EEEvSQ_
	.globl	_ZN7rocprim17ROCPRIM_400000_NS6detail17trampoline_kernelINS0_14default_configENS1_21merge_config_selectorIdNS0_10empty_typeEEEZNS1_10merge_implIS3_N6thrust23THRUST_200600_302600_NS6detail15normal_iteratorINS9_10device_ptrIKdEEEESF_NS9_16discard_iteratorINS9_11use_defaultEEEPS5_SJ_SJ_NS9_4lessIdEEEE10hipError_tPvRmT0_T1_T2_T3_T4_T5_mmT6_P12ihipStream_tbEUlT_E_NS1_11comp_targetILNS1_3genE9ELNS1_11target_archE1100ELNS1_3gpuE3ELNS1_3repE0EEENS1_30default_config_static_selectorELNS0_4arch9wavefront6targetE1EEEvSQ_
	.p2align	8
	.type	_ZN7rocprim17ROCPRIM_400000_NS6detail17trampoline_kernelINS0_14default_configENS1_21merge_config_selectorIdNS0_10empty_typeEEEZNS1_10merge_implIS3_N6thrust23THRUST_200600_302600_NS6detail15normal_iteratorINS9_10device_ptrIKdEEEESF_NS9_16discard_iteratorINS9_11use_defaultEEEPS5_SJ_SJ_NS9_4lessIdEEEE10hipError_tPvRmT0_T1_T2_T3_T4_T5_mmT6_P12ihipStream_tbEUlT_E_NS1_11comp_targetILNS1_3genE9ELNS1_11target_archE1100ELNS1_3gpuE3ELNS1_3repE0EEENS1_30default_config_static_selectorELNS0_4arch9wavefront6targetE1EEEvSQ_,@function
_ZN7rocprim17ROCPRIM_400000_NS6detail17trampoline_kernelINS0_14default_configENS1_21merge_config_selectorIdNS0_10empty_typeEEEZNS1_10merge_implIS3_N6thrust23THRUST_200600_302600_NS6detail15normal_iteratorINS9_10device_ptrIKdEEEESF_NS9_16discard_iteratorINS9_11use_defaultEEEPS5_SJ_SJ_NS9_4lessIdEEEE10hipError_tPvRmT0_T1_T2_T3_T4_T5_mmT6_P12ihipStream_tbEUlT_E_NS1_11comp_targetILNS1_3genE9ELNS1_11target_archE1100ELNS1_3gpuE3ELNS1_3repE0EEENS1_30default_config_static_selectorELNS0_4arch9wavefront6targetE1EEEvSQ_: ; @_ZN7rocprim17ROCPRIM_400000_NS6detail17trampoline_kernelINS0_14default_configENS1_21merge_config_selectorIdNS0_10empty_typeEEEZNS1_10merge_implIS3_N6thrust23THRUST_200600_302600_NS6detail15normal_iteratorINS9_10device_ptrIKdEEEESF_NS9_16discard_iteratorINS9_11use_defaultEEEPS5_SJ_SJ_NS9_4lessIdEEEE10hipError_tPvRmT0_T1_T2_T3_T4_T5_mmT6_P12ihipStream_tbEUlT_E_NS1_11comp_targetILNS1_3genE9ELNS1_11target_archE1100ELNS1_3gpuE3ELNS1_3repE0EEENS1_30default_config_static_selectorELNS0_4arch9wavefront6targetE1EEEvSQ_
; %bb.0:
	.section	.rodata,"a",@progbits
	.p2align	6, 0x0
	.amdhsa_kernel _ZN7rocprim17ROCPRIM_400000_NS6detail17trampoline_kernelINS0_14default_configENS1_21merge_config_selectorIdNS0_10empty_typeEEEZNS1_10merge_implIS3_N6thrust23THRUST_200600_302600_NS6detail15normal_iteratorINS9_10device_ptrIKdEEEESF_NS9_16discard_iteratorINS9_11use_defaultEEEPS5_SJ_SJ_NS9_4lessIdEEEE10hipError_tPvRmT0_T1_T2_T3_T4_T5_mmT6_P12ihipStream_tbEUlT_E_NS1_11comp_targetILNS1_3genE9ELNS1_11target_archE1100ELNS1_3gpuE3ELNS1_3repE0EEENS1_30default_config_static_selectorELNS0_4arch9wavefront6targetE1EEEvSQ_
		.amdhsa_group_segment_fixed_size 0
		.amdhsa_private_segment_fixed_size 0
		.amdhsa_kernarg_size 48
		.amdhsa_user_sgpr_count 6
		.amdhsa_user_sgpr_private_segment_buffer 1
		.amdhsa_user_sgpr_dispatch_ptr 0
		.amdhsa_user_sgpr_queue_ptr 0
		.amdhsa_user_sgpr_kernarg_segment_ptr 1
		.amdhsa_user_sgpr_dispatch_id 0
		.amdhsa_user_sgpr_flat_scratch_init 0
		.amdhsa_user_sgpr_kernarg_preload_length 0
		.amdhsa_user_sgpr_kernarg_preload_offset 0
		.amdhsa_user_sgpr_private_segment_size 0
		.amdhsa_uses_dynamic_stack 0
		.amdhsa_system_sgpr_private_segment_wavefront_offset 0
		.amdhsa_system_sgpr_workgroup_id_x 1
		.amdhsa_system_sgpr_workgroup_id_y 0
		.amdhsa_system_sgpr_workgroup_id_z 0
		.amdhsa_system_sgpr_workgroup_info 0
		.amdhsa_system_vgpr_workitem_id 0
		.amdhsa_next_free_vgpr 1
		.amdhsa_next_free_sgpr 0
		.amdhsa_accum_offset 4
		.amdhsa_reserve_vcc 0
		.amdhsa_reserve_flat_scratch 0
		.amdhsa_float_round_mode_32 0
		.amdhsa_float_round_mode_16_64 0
		.amdhsa_float_denorm_mode_32 3
		.amdhsa_float_denorm_mode_16_64 3
		.amdhsa_dx10_clamp 1
		.amdhsa_ieee_mode 1
		.amdhsa_fp16_overflow 0
		.amdhsa_tg_split 0
		.amdhsa_exception_fp_ieee_invalid_op 0
		.amdhsa_exception_fp_denorm_src 0
		.amdhsa_exception_fp_ieee_div_zero 0
		.amdhsa_exception_fp_ieee_overflow 0
		.amdhsa_exception_fp_ieee_underflow 0
		.amdhsa_exception_fp_ieee_inexact 0
		.amdhsa_exception_int_div_zero 0
	.end_amdhsa_kernel
	.section	.text._ZN7rocprim17ROCPRIM_400000_NS6detail17trampoline_kernelINS0_14default_configENS1_21merge_config_selectorIdNS0_10empty_typeEEEZNS1_10merge_implIS3_N6thrust23THRUST_200600_302600_NS6detail15normal_iteratorINS9_10device_ptrIKdEEEESF_NS9_16discard_iteratorINS9_11use_defaultEEEPS5_SJ_SJ_NS9_4lessIdEEEE10hipError_tPvRmT0_T1_T2_T3_T4_T5_mmT6_P12ihipStream_tbEUlT_E_NS1_11comp_targetILNS1_3genE9ELNS1_11target_archE1100ELNS1_3gpuE3ELNS1_3repE0EEENS1_30default_config_static_selectorELNS0_4arch9wavefront6targetE1EEEvSQ_,"axG",@progbits,_ZN7rocprim17ROCPRIM_400000_NS6detail17trampoline_kernelINS0_14default_configENS1_21merge_config_selectorIdNS0_10empty_typeEEEZNS1_10merge_implIS3_N6thrust23THRUST_200600_302600_NS6detail15normal_iteratorINS9_10device_ptrIKdEEEESF_NS9_16discard_iteratorINS9_11use_defaultEEEPS5_SJ_SJ_NS9_4lessIdEEEE10hipError_tPvRmT0_T1_T2_T3_T4_T5_mmT6_P12ihipStream_tbEUlT_E_NS1_11comp_targetILNS1_3genE9ELNS1_11target_archE1100ELNS1_3gpuE3ELNS1_3repE0EEENS1_30default_config_static_selectorELNS0_4arch9wavefront6targetE1EEEvSQ_,comdat
.Lfunc_end324:
	.size	_ZN7rocprim17ROCPRIM_400000_NS6detail17trampoline_kernelINS0_14default_configENS1_21merge_config_selectorIdNS0_10empty_typeEEEZNS1_10merge_implIS3_N6thrust23THRUST_200600_302600_NS6detail15normal_iteratorINS9_10device_ptrIKdEEEESF_NS9_16discard_iteratorINS9_11use_defaultEEEPS5_SJ_SJ_NS9_4lessIdEEEE10hipError_tPvRmT0_T1_T2_T3_T4_T5_mmT6_P12ihipStream_tbEUlT_E_NS1_11comp_targetILNS1_3genE9ELNS1_11target_archE1100ELNS1_3gpuE3ELNS1_3repE0EEENS1_30default_config_static_selectorELNS0_4arch9wavefront6targetE1EEEvSQ_, .Lfunc_end324-_ZN7rocprim17ROCPRIM_400000_NS6detail17trampoline_kernelINS0_14default_configENS1_21merge_config_selectorIdNS0_10empty_typeEEEZNS1_10merge_implIS3_N6thrust23THRUST_200600_302600_NS6detail15normal_iteratorINS9_10device_ptrIKdEEEESF_NS9_16discard_iteratorINS9_11use_defaultEEEPS5_SJ_SJ_NS9_4lessIdEEEE10hipError_tPvRmT0_T1_T2_T3_T4_T5_mmT6_P12ihipStream_tbEUlT_E_NS1_11comp_targetILNS1_3genE9ELNS1_11target_archE1100ELNS1_3gpuE3ELNS1_3repE0EEENS1_30default_config_static_selectorELNS0_4arch9wavefront6targetE1EEEvSQ_
                                        ; -- End function
	.section	.AMDGPU.csdata,"",@progbits
; Kernel info:
; codeLenInByte = 0
; NumSgprs: 4
; NumVgprs: 0
; NumAgprs: 0
; TotalNumVgprs: 0
; ScratchSize: 0
; MemoryBound: 0
; FloatMode: 240
; IeeeMode: 1
; LDSByteSize: 0 bytes/workgroup (compile time only)
; SGPRBlocks: 0
; VGPRBlocks: 0
; NumSGPRsForWavesPerEU: 4
; NumVGPRsForWavesPerEU: 1
; AccumOffset: 4
; Occupancy: 8
; WaveLimiterHint : 0
; COMPUTE_PGM_RSRC2:SCRATCH_EN: 0
; COMPUTE_PGM_RSRC2:USER_SGPR: 6
; COMPUTE_PGM_RSRC2:TRAP_HANDLER: 0
; COMPUTE_PGM_RSRC2:TGID_X_EN: 1
; COMPUTE_PGM_RSRC2:TGID_Y_EN: 0
; COMPUTE_PGM_RSRC2:TGID_Z_EN: 0
; COMPUTE_PGM_RSRC2:TIDIG_COMP_CNT: 0
; COMPUTE_PGM_RSRC3_GFX90A:ACCUM_OFFSET: 0
; COMPUTE_PGM_RSRC3_GFX90A:TG_SPLIT: 0
	.section	.text._ZN7rocprim17ROCPRIM_400000_NS6detail17trampoline_kernelINS0_14default_configENS1_21merge_config_selectorIdNS0_10empty_typeEEEZNS1_10merge_implIS3_N6thrust23THRUST_200600_302600_NS6detail15normal_iteratorINS9_10device_ptrIKdEEEESF_NS9_16discard_iteratorINS9_11use_defaultEEEPS5_SJ_SJ_NS9_4lessIdEEEE10hipError_tPvRmT0_T1_T2_T3_T4_T5_mmT6_P12ihipStream_tbEUlT_E_NS1_11comp_targetILNS1_3genE8ELNS1_11target_archE1030ELNS1_3gpuE2ELNS1_3repE0EEENS1_30default_config_static_selectorELNS0_4arch9wavefront6targetE1EEEvSQ_,"axG",@progbits,_ZN7rocprim17ROCPRIM_400000_NS6detail17trampoline_kernelINS0_14default_configENS1_21merge_config_selectorIdNS0_10empty_typeEEEZNS1_10merge_implIS3_N6thrust23THRUST_200600_302600_NS6detail15normal_iteratorINS9_10device_ptrIKdEEEESF_NS9_16discard_iteratorINS9_11use_defaultEEEPS5_SJ_SJ_NS9_4lessIdEEEE10hipError_tPvRmT0_T1_T2_T3_T4_T5_mmT6_P12ihipStream_tbEUlT_E_NS1_11comp_targetILNS1_3genE8ELNS1_11target_archE1030ELNS1_3gpuE2ELNS1_3repE0EEENS1_30default_config_static_selectorELNS0_4arch9wavefront6targetE1EEEvSQ_,comdat
	.protected	_ZN7rocprim17ROCPRIM_400000_NS6detail17trampoline_kernelINS0_14default_configENS1_21merge_config_selectorIdNS0_10empty_typeEEEZNS1_10merge_implIS3_N6thrust23THRUST_200600_302600_NS6detail15normal_iteratorINS9_10device_ptrIKdEEEESF_NS9_16discard_iteratorINS9_11use_defaultEEEPS5_SJ_SJ_NS9_4lessIdEEEE10hipError_tPvRmT0_T1_T2_T3_T4_T5_mmT6_P12ihipStream_tbEUlT_E_NS1_11comp_targetILNS1_3genE8ELNS1_11target_archE1030ELNS1_3gpuE2ELNS1_3repE0EEENS1_30default_config_static_selectorELNS0_4arch9wavefront6targetE1EEEvSQ_ ; -- Begin function _ZN7rocprim17ROCPRIM_400000_NS6detail17trampoline_kernelINS0_14default_configENS1_21merge_config_selectorIdNS0_10empty_typeEEEZNS1_10merge_implIS3_N6thrust23THRUST_200600_302600_NS6detail15normal_iteratorINS9_10device_ptrIKdEEEESF_NS9_16discard_iteratorINS9_11use_defaultEEEPS5_SJ_SJ_NS9_4lessIdEEEE10hipError_tPvRmT0_T1_T2_T3_T4_T5_mmT6_P12ihipStream_tbEUlT_E_NS1_11comp_targetILNS1_3genE8ELNS1_11target_archE1030ELNS1_3gpuE2ELNS1_3repE0EEENS1_30default_config_static_selectorELNS0_4arch9wavefront6targetE1EEEvSQ_
	.globl	_ZN7rocprim17ROCPRIM_400000_NS6detail17trampoline_kernelINS0_14default_configENS1_21merge_config_selectorIdNS0_10empty_typeEEEZNS1_10merge_implIS3_N6thrust23THRUST_200600_302600_NS6detail15normal_iteratorINS9_10device_ptrIKdEEEESF_NS9_16discard_iteratorINS9_11use_defaultEEEPS5_SJ_SJ_NS9_4lessIdEEEE10hipError_tPvRmT0_T1_T2_T3_T4_T5_mmT6_P12ihipStream_tbEUlT_E_NS1_11comp_targetILNS1_3genE8ELNS1_11target_archE1030ELNS1_3gpuE2ELNS1_3repE0EEENS1_30default_config_static_selectorELNS0_4arch9wavefront6targetE1EEEvSQ_
	.p2align	8
	.type	_ZN7rocprim17ROCPRIM_400000_NS6detail17trampoline_kernelINS0_14default_configENS1_21merge_config_selectorIdNS0_10empty_typeEEEZNS1_10merge_implIS3_N6thrust23THRUST_200600_302600_NS6detail15normal_iteratorINS9_10device_ptrIKdEEEESF_NS9_16discard_iteratorINS9_11use_defaultEEEPS5_SJ_SJ_NS9_4lessIdEEEE10hipError_tPvRmT0_T1_T2_T3_T4_T5_mmT6_P12ihipStream_tbEUlT_E_NS1_11comp_targetILNS1_3genE8ELNS1_11target_archE1030ELNS1_3gpuE2ELNS1_3repE0EEENS1_30default_config_static_selectorELNS0_4arch9wavefront6targetE1EEEvSQ_,@function
_ZN7rocprim17ROCPRIM_400000_NS6detail17trampoline_kernelINS0_14default_configENS1_21merge_config_selectorIdNS0_10empty_typeEEEZNS1_10merge_implIS3_N6thrust23THRUST_200600_302600_NS6detail15normal_iteratorINS9_10device_ptrIKdEEEESF_NS9_16discard_iteratorINS9_11use_defaultEEEPS5_SJ_SJ_NS9_4lessIdEEEE10hipError_tPvRmT0_T1_T2_T3_T4_T5_mmT6_P12ihipStream_tbEUlT_E_NS1_11comp_targetILNS1_3genE8ELNS1_11target_archE1030ELNS1_3gpuE2ELNS1_3repE0EEENS1_30default_config_static_selectorELNS0_4arch9wavefront6targetE1EEEvSQ_: ; @_ZN7rocprim17ROCPRIM_400000_NS6detail17trampoline_kernelINS0_14default_configENS1_21merge_config_selectorIdNS0_10empty_typeEEEZNS1_10merge_implIS3_N6thrust23THRUST_200600_302600_NS6detail15normal_iteratorINS9_10device_ptrIKdEEEESF_NS9_16discard_iteratorINS9_11use_defaultEEEPS5_SJ_SJ_NS9_4lessIdEEEE10hipError_tPvRmT0_T1_T2_T3_T4_T5_mmT6_P12ihipStream_tbEUlT_E_NS1_11comp_targetILNS1_3genE8ELNS1_11target_archE1030ELNS1_3gpuE2ELNS1_3repE0EEENS1_30default_config_static_selectorELNS0_4arch9wavefront6targetE1EEEvSQ_
; %bb.0:
	.section	.rodata,"a",@progbits
	.p2align	6, 0x0
	.amdhsa_kernel _ZN7rocprim17ROCPRIM_400000_NS6detail17trampoline_kernelINS0_14default_configENS1_21merge_config_selectorIdNS0_10empty_typeEEEZNS1_10merge_implIS3_N6thrust23THRUST_200600_302600_NS6detail15normal_iteratorINS9_10device_ptrIKdEEEESF_NS9_16discard_iteratorINS9_11use_defaultEEEPS5_SJ_SJ_NS9_4lessIdEEEE10hipError_tPvRmT0_T1_T2_T3_T4_T5_mmT6_P12ihipStream_tbEUlT_E_NS1_11comp_targetILNS1_3genE8ELNS1_11target_archE1030ELNS1_3gpuE2ELNS1_3repE0EEENS1_30default_config_static_selectorELNS0_4arch9wavefront6targetE1EEEvSQ_
		.amdhsa_group_segment_fixed_size 0
		.amdhsa_private_segment_fixed_size 0
		.amdhsa_kernarg_size 48
		.amdhsa_user_sgpr_count 6
		.amdhsa_user_sgpr_private_segment_buffer 1
		.amdhsa_user_sgpr_dispatch_ptr 0
		.amdhsa_user_sgpr_queue_ptr 0
		.amdhsa_user_sgpr_kernarg_segment_ptr 1
		.amdhsa_user_sgpr_dispatch_id 0
		.amdhsa_user_sgpr_flat_scratch_init 0
		.amdhsa_user_sgpr_kernarg_preload_length 0
		.amdhsa_user_sgpr_kernarg_preload_offset 0
		.amdhsa_user_sgpr_private_segment_size 0
		.amdhsa_uses_dynamic_stack 0
		.amdhsa_system_sgpr_private_segment_wavefront_offset 0
		.amdhsa_system_sgpr_workgroup_id_x 1
		.amdhsa_system_sgpr_workgroup_id_y 0
		.amdhsa_system_sgpr_workgroup_id_z 0
		.amdhsa_system_sgpr_workgroup_info 0
		.amdhsa_system_vgpr_workitem_id 0
		.amdhsa_next_free_vgpr 1
		.amdhsa_next_free_sgpr 0
		.amdhsa_accum_offset 4
		.amdhsa_reserve_vcc 0
		.amdhsa_reserve_flat_scratch 0
		.amdhsa_float_round_mode_32 0
		.amdhsa_float_round_mode_16_64 0
		.amdhsa_float_denorm_mode_32 3
		.amdhsa_float_denorm_mode_16_64 3
		.amdhsa_dx10_clamp 1
		.amdhsa_ieee_mode 1
		.amdhsa_fp16_overflow 0
		.amdhsa_tg_split 0
		.amdhsa_exception_fp_ieee_invalid_op 0
		.amdhsa_exception_fp_denorm_src 0
		.amdhsa_exception_fp_ieee_div_zero 0
		.amdhsa_exception_fp_ieee_overflow 0
		.amdhsa_exception_fp_ieee_underflow 0
		.amdhsa_exception_fp_ieee_inexact 0
		.amdhsa_exception_int_div_zero 0
	.end_amdhsa_kernel
	.section	.text._ZN7rocprim17ROCPRIM_400000_NS6detail17trampoline_kernelINS0_14default_configENS1_21merge_config_selectorIdNS0_10empty_typeEEEZNS1_10merge_implIS3_N6thrust23THRUST_200600_302600_NS6detail15normal_iteratorINS9_10device_ptrIKdEEEESF_NS9_16discard_iteratorINS9_11use_defaultEEEPS5_SJ_SJ_NS9_4lessIdEEEE10hipError_tPvRmT0_T1_T2_T3_T4_T5_mmT6_P12ihipStream_tbEUlT_E_NS1_11comp_targetILNS1_3genE8ELNS1_11target_archE1030ELNS1_3gpuE2ELNS1_3repE0EEENS1_30default_config_static_selectorELNS0_4arch9wavefront6targetE1EEEvSQ_,"axG",@progbits,_ZN7rocprim17ROCPRIM_400000_NS6detail17trampoline_kernelINS0_14default_configENS1_21merge_config_selectorIdNS0_10empty_typeEEEZNS1_10merge_implIS3_N6thrust23THRUST_200600_302600_NS6detail15normal_iteratorINS9_10device_ptrIKdEEEESF_NS9_16discard_iteratorINS9_11use_defaultEEEPS5_SJ_SJ_NS9_4lessIdEEEE10hipError_tPvRmT0_T1_T2_T3_T4_T5_mmT6_P12ihipStream_tbEUlT_E_NS1_11comp_targetILNS1_3genE8ELNS1_11target_archE1030ELNS1_3gpuE2ELNS1_3repE0EEENS1_30default_config_static_selectorELNS0_4arch9wavefront6targetE1EEEvSQ_,comdat
.Lfunc_end325:
	.size	_ZN7rocprim17ROCPRIM_400000_NS6detail17trampoline_kernelINS0_14default_configENS1_21merge_config_selectorIdNS0_10empty_typeEEEZNS1_10merge_implIS3_N6thrust23THRUST_200600_302600_NS6detail15normal_iteratorINS9_10device_ptrIKdEEEESF_NS9_16discard_iteratorINS9_11use_defaultEEEPS5_SJ_SJ_NS9_4lessIdEEEE10hipError_tPvRmT0_T1_T2_T3_T4_T5_mmT6_P12ihipStream_tbEUlT_E_NS1_11comp_targetILNS1_3genE8ELNS1_11target_archE1030ELNS1_3gpuE2ELNS1_3repE0EEENS1_30default_config_static_selectorELNS0_4arch9wavefront6targetE1EEEvSQ_, .Lfunc_end325-_ZN7rocprim17ROCPRIM_400000_NS6detail17trampoline_kernelINS0_14default_configENS1_21merge_config_selectorIdNS0_10empty_typeEEEZNS1_10merge_implIS3_N6thrust23THRUST_200600_302600_NS6detail15normal_iteratorINS9_10device_ptrIKdEEEESF_NS9_16discard_iteratorINS9_11use_defaultEEEPS5_SJ_SJ_NS9_4lessIdEEEE10hipError_tPvRmT0_T1_T2_T3_T4_T5_mmT6_P12ihipStream_tbEUlT_E_NS1_11comp_targetILNS1_3genE8ELNS1_11target_archE1030ELNS1_3gpuE2ELNS1_3repE0EEENS1_30default_config_static_selectorELNS0_4arch9wavefront6targetE1EEEvSQ_
                                        ; -- End function
	.section	.AMDGPU.csdata,"",@progbits
; Kernel info:
; codeLenInByte = 0
; NumSgprs: 4
; NumVgprs: 0
; NumAgprs: 0
; TotalNumVgprs: 0
; ScratchSize: 0
; MemoryBound: 0
; FloatMode: 240
; IeeeMode: 1
; LDSByteSize: 0 bytes/workgroup (compile time only)
; SGPRBlocks: 0
; VGPRBlocks: 0
; NumSGPRsForWavesPerEU: 4
; NumVGPRsForWavesPerEU: 1
; AccumOffset: 4
; Occupancy: 8
; WaveLimiterHint : 0
; COMPUTE_PGM_RSRC2:SCRATCH_EN: 0
; COMPUTE_PGM_RSRC2:USER_SGPR: 6
; COMPUTE_PGM_RSRC2:TRAP_HANDLER: 0
; COMPUTE_PGM_RSRC2:TGID_X_EN: 1
; COMPUTE_PGM_RSRC2:TGID_Y_EN: 0
; COMPUTE_PGM_RSRC2:TGID_Z_EN: 0
; COMPUTE_PGM_RSRC2:TIDIG_COMP_CNT: 0
; COMPUTE_PGM_RSRC3_GFX90A:ACCUM_OFFSET: 0
; COMPUTE_PGM_RSRC3_GFX90A:TG_SPLIT: 0
	.section	.text._ZN7rocprim17ROCPRIM_400000_NS6detail17trampoline_kernelINS0_14default_configENS1_21merge_config_selectorIdNS0_10empty_typeEEEZNS1_10merge_implIS3_N6thrust23THRUST_200600_302600_NS6detail15normal_iteratorINS9_10device_ptrIKdEEEESF_NS9_16discard_iteratorINS9_11use_defaultEEEPS5_SJ_SJ_NS9_4lessIdEEEE10hipError_tPvRmT0_T1_T2_T3_T4_T5_mmT6_P12ihipStream_tbEUlT_E0_NS1_11comp_targetILNS1_3genE0ELNS1_11target_archE4294967295ELNS1_3gpuE0ELNS1_3repE0EEENS1_30default_config_static_selectorELNS0_4arch9wavefront6targetE1EEEvSQ_,"axG",@progbits,_ZN7rocprim17ROCPRIM_400000_NS6detail17trampoline_kernelINS0_14default_configENS1_21merge_config_selectorIdNS0_10empty_typeEEEZNS1_10merge_implIS3_N6thrust23THRUST_200600_302600_NS6detail15normal_iteratorINS9_10device_ptrIKdEEEESF_NS9_16discard_iteratorINS9_11use_defaultEEEPS5_SJ_SJ_NS9_4lessIdEEEE10hipError_tPvRmT0_T1_T2_T3_T4_T5_mmT6_P12ihipStream_tbEUlT_E0_NS1_11comp_targetILNS1_3genE0ELNS1_11target_archE4294967295ELNS1_3gpuE0ELNS1_3repE0EEENS1_30default_config_static_selectorELNS0_4arch9wavefront6targetE1EEEvSQ_,comdat
	.protected	_ZN7rocprim17ROCPRIM_400000_NS6detail17trampoline_kernelINS0_14default_configENS1_21merge_config_selectorIdNS0_10empty_typeEEEZNS1_10merge_implIS3_N6thrust23THRUST_200600_302600_NS6detail15normal_iteratorINS9_10device_ptrIKdEEEESF_NS9_16discard_iteratorINS9_11use_defaultEEEPS5_SJ_SJ_NS9_4lessIdEEEE10hipError_tPvRmT0_T1_T2_T3_T4_T5_mmT6_P12ihipStream_tbEUlT_E0_NS1_11comp_targetILNS1_3genE0ELNS1_11target_archE4294967295ELNS1_3gpuE0ELNS1_3repE0EEENS1_30default_config_static_selectorELNS0_4arch9wavefront6targetE1EEEvSQ_ ; -- Begin function _ZN7rocprim17ROCPRIM_400000_NS6detail17trampoline_kernelINS0_14default_configENS1_21merge_config_selectorIdNS0_10empty_typeEEEZNS1_10merge_implIS3_N6thrust23THRUST_200600_302600_NS6detail15normal_iteratorINS9_10device_ptrIKdEEEESF_NS9_16discard_iteratorINS9_11use_defaultEEEPS5_SJ_SJ_NS9_4lessIdEEEE10hipError_tPvRmT0_T1_T2_T3_T4_T5_mmT6_P12ihipStream_tbEUlT_E0_NS1_11comp_targetILNS1_3genE0ELNS1_11target_archE4294967295ELNS1_3gpuE0ELNS1_3repE0EEENS1_30default_config_static_selectorELNS0_4arch9wavefront6targetE1EEEvSQ_
	.globl	_ZN7rocprim17ROCPRIM_400000_NS6detail17trampoline_kernelINS0_14default_configENS1_21merge_config_selectorIdNS0_10empty_typeEEEZNS1_10merge_implIS3_N6thrust23THRUST_200600_302600_NS6detail15normal_iteratorINS9_10device_ptrIKdEEEESF_NS9_16discard_iteratorINS9_11use_defaultEEEPS5_SJ_SJ_NS9_4lessIdEEEE10hipError_tPvRmT0_T1_T2_T3_T4_T5_mmT6_P12ihipStream_tbEUlT_E0_NS1_11comp_targetILNS1_3genE0ELNS1_11target_archE4294967295ELNS1_3gpuE0ELNS1_3repE0EEENS1_30default_config_static_selectorELNS0_4arch9wavefront6targetE1EEEvSQ_
	.p2align	8
	.type	_ZN7rocprim17ROCPRIM_400000_NS6detail17trampoline_kernelINS0_14default_configENS1_21merge_config_selectorIdNS0_10empty_typeEEEZNS1_10merge_implIS3_N6thrust23THRUST_200600_302600_NS6detail15normal_iteratorINS9_10device_ptrIKdEEEESF_NS9_16discard_iteratorINS9_11use_defaultEEEPS5_SJ_SJ_NS9_4lessIdEEEE10hipError_tPvRmT0_T1_T2_T3_T4_T5_mmT6_P12ihipStream_tbEUlT_E0_NS1_11comp_targetILNS1_3genE0ELNS1_11target_archE4294967295ELNS1_3gpuE0ELNS1_3repE0EEENS1_30default_config_static_selectorELNS0_4arch9wavefront6targetE1EEEvSQ_,@function
_ZN7rocprim17ROCPRIM_400000_NS6detail17trampoline_kernelINS0_14default_configENS1_21merge_config_selectorIdNS0_10empty_typeEEEZNS1_10merge_implIS3_N6thrust23THRUST_200600_302600_NS6detail15normal_iteratorINS9_10device_ptrIKdEEEESF_NS9_16discard_iteratorINS9_11use_defaultEEEPS5_SJ_SJ_NS9_4lessIdEEEE10hipError_tPvRmT0_T1_T2_T3_T4_T5_mmT6_P12ihipStream_tbEUlT_E0_NS1_11comp_targetILNS1_3genE0ELNS1_11target_archE4294967295ELNS1_3gpuE0ELNS1_3repE0EEENS1_30default_config_static_selectorELNS0_4arch9wavefront6targetE1EEEvSQ_: ; @_ZN7rocprim17ROCPRIM_400000_NS6detail17trampoline_kernelINS0_14default_configENS1_21merge_config_selectorIdNS0_10empty_typeEEEZNS1_10merge_implIS3_N6thrust23THRUST_200600_302600_NS6detail15normal_iteratorINS9_10device_ptrIKdEEEESF_NS9_16discard_iteratorINS9_11use_defaultEEEPS5_SJ_SJ_NS9_4lessIdEEEE10hipError_tPvRmT0_T1_T2_T3_T4_T5_mmT6_P12ihipStream_tbEUlT_E0_NS1_11comp_targetILNS1_3genE0ELNS1_11target_archE4294967295ELNS1_3gpuE0ELNS1_3repE0EEENS1_30default_config_static_selectorELNS0_4arch9wavefront6targetE1EEEvSQ_
; %bb.0:
	.section	.rodata,"a",@progbits
	.p2align	6, 0x0
	.amdhsa_kernel _ZN7rocprim17ROCPRIM_400000_NS6detail17trampoline_kernelINS0_14default_configENS1_21merge_config_selectorIdNS0_10empty_typeEEEZNS1_10merge_implIS3_N6thrust23THRUST_200600_302600_NS6detail15normal_iteratorINS9_10device_ptrIKdEEEESF_NS9_16discard_iteratorINS9_11use_defaultEEEPS5_SJ_SJ_NS9_4lessIdEEEE10hipError_tPvRmT0_T1_T2_T3_T4_T5_mmT6_P12ihipStream_tbEUlT_E0_NS1_11comp_targetILNS1_3genE0ELNS1_11target_archE4294967295ELNS1_3gpuE0ELNS1_3repE0EEENS1_30default_config_static_selectorELNS0_4arch9wavefront6targetE1EEEvSQ_
		.amdhsa_group_segment_fixed_size 0
		.amdhsa_private_segment_fixed_size 0
		.amdhsa_kernarg_size 96
		.amdhsa_user_sgpr_count 6
		.amdhsa_user_sgpr_private_segment_buffer 1
		.amdhsa_user_sgpr_dispatch_ptr 0
		.amdhsa_user_sgpr_queue_ptr 0
		.amdhsa_user_sgpr_kernarg_segment_ptr 1
		.amdhsa_user_sgpr_dispatch_id 0
		.amdhsa_user_sgpr_flat_scratch_init 0
		.amdhsa_user_sgpr_kernarg_preload_length 0
		.amdhsa_user_sgpr_kernarg_preload_offset 0
		.amdhsa_user_sgpr_private_segment_size 0
		.amdhsa_uses_dynamic_stack 0
		.amdhsa_system_sgpr_private_segment_wavefront_offset 0
		.amdhsa_system_sgpr_workgroup_id_x 1
		.amdhsa_system_sgpr_workgroup_id_y 0
		.amdhsa_system_sgpr_workgroup_id_z 0
		.amdhsa_system_sgpr_workgroup_info 0
		.amdhsa_system_vgpr_workitem_id 0
		.amdhsa_next_free_vgpr 1
		.amdhsa_next_free_sgpr 0
		.amdhsa_accum_offset 4
		.amdhsa_reserve_vcc 0
		.amdhsa_reserve_flat_scratch 0
		.amdhsa_float_round_mode_32 0
		.amdhsa_float_round_mode_16_64 0
		.amdhsa_float_denorm_mode_32 3
		.amdhsa_float_denorm_mode_16_64 3
		.amdhsa_dx10_clamp 1
		.amdhsa_ieee_mode 1
		.amdhsa_fp16_overflow 0
		.amdhsa_tg_split 0
		.amdhsa_exception_fp_ieee_invalid_op 0
		.amdhsa_exception_fp_denorm_src 0
		.amdhsa_exception_fp_ieee_div_zero 0
		.amdhsa_exception_fp_ieee_overflow 0
		.amdhsa_exception_fp_ieee_underflow 0
		.amdhsa_exception_fp_ieee_inexact 0
		.amdhsa_exception_int_div_zero 0
	.end_amdhsa_kernel
	.section	.text._ZN7rocprim17ROCPRIM_400000_NS6detail17trampoline_kernelINS0_14default_configENS1_21merge_config_selectorIdNS0_10empty_typeEEEZNS1_10merge_implIS3_N6thrust23THRUST_200600_302600_NS6detail15normal_iteratorINS9_10device_ptrIKdEEEESF_NS9_16discard_iteratorINS9_11use_defaultEEEPS5_SJ_SJ_NS9_4lessIdEEEE10hipError_tPvRmT0_T1_T2_T3_T4_T5_mmT6_P12ihipStream_tbEUlT_E0_NS1_11comp_targetILNS1_3genE0ELNS1_11target_archE4294967295ELNS1_3gpuE0ELNS1_3repE0EEENS1_30default_config_static_selectorELNS0_4arch9wavefront6targetE1EEEvSQ_,"axG",@progbits,_ZN7rocprim17ROCPRIM_400000_NS6detail17trampoline_kernelINS0_14default_configENS1_21merge_config_selectorIdNS0_10empty_typeEEEZNS1_10merge_implIS3_N6thrust23THRUST_200600_302600_NS6detail15normal_iteratorINS9_10device_ptrIKdEEEESF_NS9_16discard_iteratorINS9_11use_defaultEEEPS5_SJ_SJ_NS9_4lessIdEEEE10hipError_tPvRmT0_T1_T2_T3_T4_T5_mmT6_P12ihipStream_tbEUlT_E0_NS1_11comp_targetILNS1_3genE0ELNS1_11target_archE4294967295ELNS1_3gpuE0ELNS1_3repE0EEENS1_30default_config_static_selectorELNS0_4arch9wavefront6targetE1EEEvSQ_,comdat
.Lfunc_end326:
	.size	_ZN7rocprim17ROCPRIM_400000_NS6detail17trampoline_kernelINS0_14default_configENS1_21merge_config_selectorIdNS0_10empty_typeEEEZNS1_10merge_implIS3_N6thrust23THRUST_200600_302600_NS6detail15normal_iteratorINS9_10device_ptrIKdEEEESF_NS9_16discard_iteratorINS9_11use_defaultEEEPS5_SJ_SJ_NS9_4lessIdEEEE10hipError_tPvRmT0_T1_T2_T3_T4_T5_mmT6_P12ihipStream_tbEUlT_E0_NS1_11comp_targetILNS1_3genE0ELNS1_11target_archE4294967295ELNS1_3gpuE0ELNS1_3repE0EEENS1_30default_config_static_selectorELNS0_4arch9wavefront6targetE1EEEvSQ_, .Lfunc_end326-_ZN7rocprim17ROCPRIM_400000_NS6detail17trampoline_kernelINS0_14default_configENS1_21merge_config_selectorIdNS0_10empty_typeEEEZNS1_10merge_implIS3_N6thrust23THRUST_200600_302600_NS6detail15normal_iteratorINS9_10device_ptrIKdEEEESF_NS9_16discard_iteratorINS9_11use_defaultEEEPS5_SJ_SJ_NS9_4lessIdEEEE10hipError_tPvRmT0_T1_T2_T3_T4_T5_mmT6_P12ihipStream_tbEUlT_E0_NS1_11comp_targetILNS1_3genE0ELNS1_11target_archE4294967295ELNS1_3gpuE0ELNS1_3repE0EEENS1_30default_config_static_selectorELNS0_4arch9wavefront6targetE1EEEvSQ_
                                        ; -- End function
	.section	.AMDGPU.csdata,"",@progbits
; Kernel info:
; codeLenInByte = 0
; NumSgprs: 4
; NumVgprs: 0
; NumAgprs: 0
; TotalNumVgprs: 0
; ScratchSize: 0
; MemoryBound: 0
; FloatMode: 240
; IeeeMode: 1
; LDSByteSize: 0 bytes/workgroup (compile time only)
; SGPRBlocks: 0
; VGPRBlocks: 0
; NumSGPRsForWavesPerEU: 4
; NumVGPRsForWavesPerEU: 1
; AccumOffset: 4
; Occupancy: 8
; WaveLimiterHint : 0
; COMPUTE_PGM_RSRC2:SCRATCH_EN: 0
; COMPUTE_PGM_RSRC2:USER_SGPR: 6
; COMPUTE_PGM_RSRC2:TRAP_HANDLER: 0
; COMPUTE_PGM_RSRC2:TGID_X_EN: 1
; COMPUTE_PGM_RSRC2:TGID_Y_EN: 0
; COMPUTE_PGM_RSRC2:TGID_Z_EN: 0
; COMPUTE_PGM_RSRC2:TIDIG_COMP_CNT: 0
; COMPUTE_PGM_RSRC3_GFX90A:ACCUM_OFFSET: 0
; COMPUTE_PGM_RSRC3_GFX90A:TG_SPLIT: 0
	.section	.text._ZN7rocprim17ROCPRIM_400000_NS6detail17trampoline_kernelINS0_14default_configENS1_21merge_config_selectorIdNS0_10empty_typeEEEZNS1_10merge_implIS3_N6thrust23THRUST_200600_302600_NS6detail15normal_iteratorINS9_10device_ptrIKdEEEESF_NS9_16discard_iteratorINS9_11use_defaultEEEPS5_SJ_SJ_NS9_4lessIdEEEE10hipError_tPvRmT0_T1_T2_T3_T4_T5_mmT6_P12ihipStream_tbEUlT_E0_NS1_11comp_targetILNS1_3genE5ELNS1_11target_archE942ELNS1_3gpuE9ELNS1_3repE0EEENS1_30default_config_static_selectorELNS0_4arch9wavefront6targetE1EEEvSQ_,"axG",@progbits,_ZN7rocprim17ROCPRIM_400000_NS6detail17trampoline_kernelINS0_14default_configENS1_21merge_config_selectorIdNS0_10empty_typeEEEZNS1_10merge_implIS3_N6thrust23THRUST_200600_302600_NS6detail15normal_iteratorINS9_10device_ptrIKdEEEESF_NS9_16discard_iteratorINS9_11use_defaultEEEPS5_SJ_SJ_NS9_4lessIdEEEE10hipError_tPvRmT0_T1_T2_T3_T4_T5_mmT6_P12ihipStream_tbEUlT_E0_NS1_11comp_targetILNS1_3genE5ELNS1_11target_archE942ELNS1_3gpuE9ELNS1_3repE0EEENS1_30default_config_static_selectorELNS0_4arch9wavefront6targetE1EEEvSQ_,comdat
	.protected	_ZN7rocprim17ROCPRIM_400000_NS6detail17trampoline_kernelINS0_14default_configENS1_21merge_config_selectorIdNS0_10empty_typeEEEZNS1_10merge_implIS3_N6thrust23THRUST_200600_302600_NS6detail15normal_iteratorINS9_10device_ptrIKdEEEESF_NS9_16discard_iteratorINS9_11use_defaultEEEPS5_SJ_SJ_NS9_4lessIdEEEE10hipError_tPvRmT0_T1_T2_T3_T4_T5_mmT6_P12ihipStream_tbEUlT_E0_NS1_11comp_targetILNS1_3genE5ELNS1_11target_archE942ELNS1_3gpuE9ELNS1_3repE0EEENS1_30default_config_static_selectorELNS0_4arch9wavefront6targetE1EEEvSQ_ ; -- Begin function _ZN7rocprim17ROCPRIM_400000_NS6detail17trampoline_kernelINS0_14default_configENS1_21merge_config_selectorIdNS0_10empty_typeEEEZNS1_10merge_implIS3_N6thrust23THRUST_200600_302600_NS6detail15normal_iteratorINS9_10device_ptrIKdEEEESF_NS9_16discard_iteratorINS9_11use_defaultEEEPS5_SJ_SJ_NS9_4lessIdEEEE10hipError_tPvRmT0_T1_T2_T3_T4_T5_mmT6_P12ihipStream_tbEUlT_E0_NS1_11comp_targetILNS1_3genE5ELNS1_11target_archE942ELNS1_3gpuE9ELNS1_3repE0EEENS1_30default_config_static_selectorELNS0_4arch9wavefront6targetE1EEEvSQ_
	.globl	_ZN7rocprim17ROCPRIM_400000_NS6detail17trampoline_kernelINS0_14default_configENS1_21merge_config_selectorIdNS0_10empty_typeEEEZNS1_10merge_implIS3_N6thrust23THRUST_200600_302600_NS6detail15normal_iteratorINS9_10device_ptrIKdEEEESF_NS9_16discard_iteratorINS9_11use_defaultEEEPS5_SJ_SJ_NS9_4lessIdEEEE10hipError_tPvRmT0_T1_T2_T3_T4_T5_mmT6_P12ihipStream_tbEUlT_E0_NS1_11comp_targetILNS1_3genE5ELNS1_11target_archE942ELNS1_3gpuE9ELNS1_3repE0EEENS1_30default_config_static_selectorELNS0_4arch9wavefront6targetE1EEEvSQ_
	.p2align	8
	.type	_ZN7rocprim17ROCPRIM_400000_NS6detail17trampoline_kernelINS0_14default_configENS1_21merge_config_selectorIdNS0_10empty_typeEEEZNS1_10merge_implIS3_N6thrust23THRUST_200600_302600_NS6detail15normal_iteratorINS9_10device_ptrIKdEEEESF_NS9_16discard_iteratorINS9_11use_defaultEEEPS5_SJ_SJ_NS9_4lessIdEEEE10hipError_tPvRmT0_T1_T2_T3_T4_T5_mmT6_P12ihipStream_tbEUlT_E0_NS1_11comp_targetILNS1_3genE5ELNS1_11target_archE942ELNS1_3gpuE9ELNS1_3repE0EEENS1_30default_config_static_selectorELNS0_4arch9wavefront6targetE1EEEvSQ_,@function
_ZN7rocprim17ROCPRIM_400000_NS6detail17trampoline_kernelINS0_14default_configENS1_21merge_config_selectorIdNS0_10empty_typeEEEZNS1_10merge_implIS3_N6thrust23THRUST_200600_302600_NS6detail15normal_iteratorINS9_10device_ptrIKdEEEESF_NS9_16discard_iteratorINS9_11use_defaultEEEPS5_SJ_SJ_NS9_4lessIdEEEE10hipError_tPvRmT0_T1_T2_T3_T4_T5_mmT6_P12ihipStream_tbEUlT_E0_NS1_11comp_targetILNS1_3genE5ELNS1_11target_archE942ELNS1_3gpuE9ELNS1_3repE0EEENS1_30default_config_static_selectorELNS0_4arch9wavefront6targetE1EEEvSQ_: ; @_ZN7rocprim17ROCPRIM_400000_NS6detail17trampoline_kernelINS0_14default_configENS1_21merge_config_selectorIdNS0_10empty_typeEEEZNS1_10merge_implIS3_N6thrust23THRUST_200600_302600_NS6detail15normal_iteratorINS9_10device_ptrIKdEEEESF_NS9_16discard_iteratorINS9_11use_defaultEEEPS5_SJ_SJ_NS9_4lessIdEEEE10hipError_tPvRmT0_T1_T2_T3_T4_T5_mmT6_P12ihipStream_tbEUlT_E0_NS1_11comp_targetILNS1_3genE5ELNS1_11target_archE942ELNS1_3gpuE9ELNS1_3repE0EEENS1_30default_config_static_selectorELNS0_4arch9wavefront6targetE1EEEvSQ_
; %bb.0:
	.section	.rodata,"a",@progbits
	.p2align	6, 0x0
	.amdhsa_kernel _ZN7rocprim17ROCPRIM_400000_NS6detail17trampoline_kernelINS0_14default_configENS1_21merge_config_selectorIdNS0_10empty_typeEEEZNS1_10merge_implIS3_N6thrust23THRUST_200600_302600_NS6detail15normal_iteratorINS9_10device_ptrIKdEEEESF_NS9_16discard_iteratorINS9_11use_defaultEEEPS5_SJ_SJ_NS9_4lessIdEEEE10hipError_tPvRmT0_T1_T2_T3_T4_T5_mmT6_P12ihipStream_tbEUlT_E0_NS1_11comp_targetILNS1_3genE5ELNS1_11target_archE942ELNS1_3gpuE9ELNS1_3repE0EEENS1_30default_config_static_selectorELNS0_4arch9wavefront6targetE1EEEvSQ_
		.amdhsa_group_segment_fixed_size 0
		.amdhsa_private_segment_fixed_size 0
		.amdhsa_kernarg_size 96
		.amdhsa_user_sgpr_count 6
		.amdhsa_user_sgpr_private_segment_buffer 1
		.amdhsa_user_sgpr_dispatch_ptr 0
		.amdhsa_user_sgpr_queue_ptr 0
		.amdhsa_user_sgpr_kernarg_segment_ptr 1
		.amdhsa_user_sgpr_dispatch_id 0
		.amdhsa_user_sgpr_flat_scratch_init 0
		.amdhsa_user_sgpr_kernarg_preload_length 0
		.amdhsa_user_sgpr_kernarg_preload_offset 0
		.amdhsa_user_sgpr_private_segment_size 0
		.amdhsa_uses_dynamic_stack 0
		.amdhsa_system_sgpr_private_segment_wavefront_offset 0
		.amdhsa_system_sgpr_workgroup_id_x 1
		.amdhsa_system_sgpr_workgroup_id_y 0
		.amdhsa_system_sgpr_workgroup_id_z 0
		.amdhsa_system_sgpr_workgroup_info 0
		.amdhsa_system_vgpr_workitem_id 0
		.amdhsa_next_free_vgpr 1
		.amdhsa_next_free_sgpr 0
		.amdhsa_accum_offset 4
		.amdhsa_reserve_vcc 0
		.amdhsa_reserve_flat_scratch 0
		.amdhsa_float_round_mode_32 0
		.amdhsa_float_round_mode_16_64 0
		.amdhsa_float_denorm_mode_32 3
		.amdhsa_float_denorm_mode_16_64 3
		.amdhsa_dx10_clamp 1
		.amdhsa_ieee_mode 1
		.amdhsa_fp16_overflow 0
		.amdhsa_tg_split 0
		.amdhsa_exception_fp_ieee_invalid_op 0
		.amdhsa_exception_fp_denorm_src 0
		.amdhsa_exception_fp_ieee_div_zero 0
		.amdhsa_exception_fp_ieee_overflow 0
		.amdhsa_exception_fp_ieee_underflow 0
		.amdhsa_exception_fp_ieee_inexact 0
		.amdhsa_exception_int_div_zero 0
	.end_amdhsa_kernel
	.section	.text._ZN7rocprim17ROCPRIM_400000_NS6detail17trampoline_kernelINS0_14default_configENS1_21merge_config_selectorIdNS0_10empty_typeEEEZNS1_10merge_implIS3_N6thrust23THRUST_200600_302600_NS6detail15normal_iteratorINS9_10device_ptrIKdEEEESF_NS9_16discard_iteratorINS9_11use_defaultEEEPS5_SJ_SJ_NS9_4lessIdEEEE10hipError_tPvRmT0_T1_T2_T3_T4_T5_mmT6_P12ihipStream_tbEUlT_E0_NS1_11comp_targetILNS1_3genE5ELNS1_11target_archE942ELNS1_3gpuE9ELNS1_3repE0EEENS1_30default_config_static_selectorELNS0_4arch9wavefront6targetE1EEEvSQ_,"axG",@progbits,_ZN7rocprim17ROCPRIM_400000_NS6detail17trampoline_kernelINS0_14default_configENS1_21merge_config_selectorIdNS0_10empty_typeEEEZNS1_10merge_implIS3_N6thrust23THRUST_200600_302600_NS6detail15normal_iteratorINS9_10device_ptrIKdEEEESF_NS9_16discard_iteratorINS9_11use_defaultEEEPS5_SJ_SJ_NS9_4lessIdEEEE10hipError_tPvRmT0_T1_T2_T3_T4_T5_mmT6_P12ihipStream_tbEUlT_E0_NS1_11comp_targetILNS1_3genE5ELNS1_11target_archE942ELNS1_3gpuE9ELNS1_3repE0EEENS1_30default_config_static_selectorELNS0_4arch9wavefront6targetE1EEEvSQ_,comdat
.Lfunc_end327:
	.size	_ZN7rocprim17ROCPRIM_400000_NS6detail17trampoline_kernelINS0_14default_configENS1_21merge_config_selectorIdNS0_10empty_typeEEEZNS1_10merge_implIS3_N6thrust23THRUST_200600_302600_NS6detail15normal_iteratorINS9_10device_ptrIKdEEEESF_NS9_16discard_iteratorINS9_11use_defaultEEEPS5_SJ_SJ_NS9_4lessIdEEEE10hipError_tPvRmT0_T1_T2_T3_T4_T5_mmT6_P12ihipStream_tbEUlT_E0_NS1_11comp_targetILNS1_3genE5ELNS1_11target_archE942ELNS1_3gpuE9ELNS1_3repE0EEENS1_30default_config_static_selectorELNS0_4arch9wavefront6targetE1EEEvSQ_, .Lfunc_end327-_ZN7rocprim17ROCPRIM_400000_NS6detail17trampoline_kernelINS0_14default_configENS1_21merge_config_selectorIdNS0_10empty_typeEEEZNS1_10merge_implIS3_N6thrust23THRUST_200600_302600_NS6detail15normal_iteratorINS9_10device_ptrIKdEEEESF_NS9_16discard_iteratorINS9_11use_defaultEEEPS5_SJ_SJ_NS9_4lessIdEEEE10hipError_tPvRmT0_T1_T2_T3_T4_T5_mmT6_P12ihipStream_tbEUlT_E0_NS1_11comp_targetILNS1_3genE5ELNS1_11target_archE942ELNS1_3gpuE9ELNS1_3repE0EEENS1_30default_config_static_selectorELNS0_4arch9wavefront6targetE1EEEvSQ_
                                        ; -- End function
	.section	.AMDGPU.csdata,"",@progbits
; Kernel info:
; codeLenInByte = 0
; NumSgprs: 4
; NumVgprs: 0
; NumAgprs: 0
; TotalNumVgprs: 0
; ScratchSize: 0
; MemoryBound: 0
; FloatMode: 240
; IeeeMode: 1
; LDSByteSize: 0 bytes/workgroup (compile time only)
; SGPRBlocks: 0
; VGPRBlocks: 0
; NumSGPRsForWavesPerEU: 4
; NumVGPRsForWavesPerEU: 1
; AccumOffset: 4
; Occupancy: 8
; WaveLimiterHint : 0
; COMPUTE_PGM_RSRC2:SCRATCH_EN: 0
; COMPUTE_PGM_RSRC2:USER_SGPR: 6
; COMPUTE_PGM_RSRC2:TRAP_HANDLER: 0
; COMPUTE_PGM_RSRC2:TGID_X_EN: 1
; COMPUTE_PGM_RSRC2:TGID_Y_EN: 0
; COMPUTE_PGM_RSRC2:TGID_Z_EN: 0
; COMPUTE_PGM_RSRC2:TIDIG_COMP_CNT: 0
; COMPUTE_PGM_RSRC3_GFX90A:ACCUM_OFFSET: 0
; COMPUTE_PGM_RSRC3_GFX90A:TG_SPLIT: 0
	.section	.text._ZN7rocprim17ROCPRIM_400000_NS6detail17trampoline_kernelINS0_14default_configENS1_21merge_config_selectorIdNS0_10empty_typeEEEZNS1_10merge_implIS3_N6thrust23THRUST_200600_302600_NS6detail15normal_iteratorINS9_10device_ptrIKdEEEESF_NS9_16discard_iteratorINS9_11use_defaultEEEPS5_SJ_SJ_NS9_4lessIdEEEE10hipError_tPvRmT0_T1_T2_T3_T4_T5_mmT6_P12ihipStream_tbEUlT_E0_NS1_11comp_targetILNS1_3genE4ELNS1_11target_archE910ELNS1_3gpuE8ELNS1_3repE0EEENS1_30default_config_static_selectorELNS0_4arch9wavefront6targetE1EEEvSQ_,"axG",@progbits,_ZN7rocprim17ROCPRIM_400000_NS6detail17trampoline_kernelINS0_14default_configENS1_21merge_config_selectorIdNS0_10empty_typeEEEZNS1_10merge_implIS3_N6thrust23THRUST_200600_302600_NS6detail15normal_iteratorINS9_10device_ptrIKdEEEESF_NS9_16discard_iteratorINS9_11use_defaultEEEPS5_SJ_SJ_NS9_4lessIdEEEE10hipError_tPvRmT0_T1_T2_T3_T4_T5_mmT6_P12ihipStream_tbEUlT_E0_NS1_11comp_targetILNS1_3genE4ELNS1_11target_archE910ELNS1_3gpuE8ELNS1_3repE0EEENS1_30default_config_static_selectorELNS0_4arch9wavefront6targetE1EEEvSQ_,comdat
	.protected	_ZN7rocprim17ROCPRIM_400000_NS6detail17trampoline_kernelINS0_14default_configENS1_21merge_config_selectorIdNS0_10empty_typeEEEZNS1_10merge_implIS3_N6thrust23THRUST_200600_302600_NS6detail15normal_iteratorINS9_10device_ptrIKdEEEESF_NS9_16discard_iteratorINS9_11use_defaultEEEPS5_SJ_SJ_NS9_4lessIdEEEE10hipError_tPvRmT0_T1_T2_T3_T4_T5_mmT6_P12ihipStream_tbEUlT_E0_NS1_11comp_targetILNS1_3genE4ELNS1_11target_archE910ELNS1_3gpuE8ELNS1_3repE0EEENS1_30default_config_static_selectorELNS0_4arch9wavefront6targetE1EEEvSQ_ ; -- Begin function _ZN7rocprim17ROCPRIM_400000_NS6detail17trampoline_kernelINS0_14default_configENS1_21merge_config_selectorIdNS0_10empty_typeEEEZNS1_10merge_implIS3_N6thrust23THRUST_200600_302600_NS6detail15normal_iteratorINS9_10device_ptrIKdEEEESF_NS9_16discard_iteratorINS9_11use_defaultEEEPS5_SJ_SJ_NS9_4lessIdEEEE10hipError_tPvRmT0_T1_T2_T3_T4_T5_mmT6_P12ihipStream_tbEUlT_E0_NS1_11comp_targetILNS1_3genE4ELNS1_11target_archE910ELNS1_3gpuE8ELNS1_3repE0EEENS1_30default_config_static_selectorELNS0_4arch9wavefront6targetE1EEEvSQ_
	.globl	_ZN7rocprim17ROCPRIM_400000_NS6detail17trampoline_kernelINS0_14default_configENS1_21merge_config_selectorIdNS0_10empty_typeEEEZNS1_10merge_implIS3_N6thrust23THRUST_200600_302600_NS6detail15normal_iteratorINS9_10device_ptrIKdEEEESF_NS9_16discard_iteratorINS9_11use_defaultEEEPS5_SJ_SJ_NS9_4lessIdEEEE10hipError_tPvRmT0_T1_T2_T3_T4_T5_mmT6_P12ihipStream_tbEUlT_E0_NS1_11comp_targetILNS1_3genE4ELNS1_11target_archE910ELNS1_3gpuE8ELNS1_3repE0EEENS1_30default_config_static_selectorELNS0_4arch9wavefront6targetE1EEEvSQ_
	.p2align	8
	.type	_ZN7rocprim17ROCPRIM_400000_NS6detail17trampoline_kernelINS0_14default_configENS1_21merge_config_selectorIdNS0_10empty_typeEEEZNS1_10merge_implIS3_N6thrust23THRUST_200600_302600_NS6detail15normal_iteratorINS9_10device_ptrIKdEEEESF_NS9_16discard_iteratorINS9_11use_defaultEEEPS5_SJ_SJ_NS9_4lessIdEEEE10hipError_tPvRmT0_T1_T2_T3_T4_T5_mmT6_P12ihipStream_tbEUlT_E0_NS1_11comp_targetILNS1_3genE4ELNS1_11target_archE910ELNS1_3gpuE8ELNS1_3repE0EEENS1_30default_config_static_selectorELNS0_4arch9wavefront6targetE1EEEvSQ_,@function
_ZN7rocprim17ROCPRIM_400000_NS6detail17trampoline_kernelINS0_14default_configENS1_21merge_config_selectorIdNS0_10empty_typeEEEZNS1_10merge_implIS3_N6thrust23THRUST_200600_302600_NS6detail15normal_iteratorINS9_10device_ptrIKdEEEESF_NS9_16discard_iteratorINS9_11use_defaultEEEPS5_SJ_SJ_NS9_4lessIdEEEE10hipError_tPvRmT0_T1_T2_T3_T4_T5_mmT6_P12ihipStream_tbEUlT_E0_NS1_11comp_targetILNS1_3genE4ELNS1_11target_archE910ELNS1_3gpuE8ELNS1_3repE0EEENS1_30default_config_static_selectorELNS0_4arch9wavefront6targetE1EEEvSQ_: ; @_ZN7rocprim17ROCPRIM_400000_NS6detail17trampoline_kernelINS0_14default_configENS1_21merge_config_selectorIdNS0_10empty_typeEEEZNS1_10merge_implIS3_N6thrust23THRUST_200600_302600_NS6detail15normal_iteratorINS9_10device_ptrIKdEEEESF_NS9_16discard_iteratorINS9_11use_defaultEEEPS5_SJ_SJ_NS9_4lessIdEEEE10hipError_tPvRmT0_T1_T2_T3_T4_T5_mmT6_P12ihipStream_tbEUlT_E0_NS1_11comp_targetILNS1_3genE4ELNS1_11target_archE910ELNS1_3gpuE8ELNS1_3repE0EEENS1_30default_config_static_selectorELNS0_4arch9wavefront6targetE1EEEvSQ_
; %bb.0:
	s_load_dwordx4 s[0:3], s[4:5], 0x48
	s_load_dwordx4 s[12:15], s[4:5], 0x8
	s_load_dwordx2 s[8:9], s[4:5], 0x18
	s_lshl_b32 s10, s6, 10
	s_mov_b32 s7, 0
	s_waitcnt lgkmcnt(0)
	s_add_i32 s11, s2, s0
	s_add_i32 s0, s11, 0x3ff
	s_lshr_b32 s0, s0, 10
	s_min_u32 s1, s6, s0
	s_lshl_b32 s1, s1, 2
	s_add_i32 s6, s6, 1
	s_min_u32 s0, s6, s0
	s_load_dword s6, s[12:13], s1 offset:0x0
	s_lshl_b32 s0, s0, 2
	s_load_dword s12, s[12:13], s0 offset:0x0
	s_add_i32 s0, s10, 0x400
	s_min_u32 s16, s11, s0
	s_waitcnt lgkmcnt(0)
	s_sub_i32 s2, s10, s6
	s_lshl_b64 s[0:1], s[6:7], 3
	s_add_u32 s0, s14, s0
	s_mov_b32 s3, s7
	s_addc_u32 s1, s15, s1
	s_lshl_b64 s[4:5], s[2:3], 3
	s_add_u32 s13, s8, s4
	s_addc_u32 s14, s9, s5
	s_add_i32 s2, s2, s12
	s_sub_i32 s6, s12, s6
	s_sub_i32 s12, s16, s2
	s_add_u32 s2, s12, s6
	s_addc_u32 s3, 0, 0
	v_mov_b32_e32 v1, 0
	v_cmp_le_u32_e32 vcc, s6, v0
	s_and_saveexec_b64 s[4:5], vcc
	s_xor_b64 s[4:5], exec, s[4:5]
	s_cbranch_execz .LBB328_4
; %bb.1:
	v_cmp_gt_u64_e32 vcc, s[2:3], v[0:1]
	s_and_saveexec_b64 s[8:9], vcc
	s_cbranch_execz .LBB328_3
; %bb.2:
	v_mov_b32_e32 v1, s7
	v_subrev_co_u32_e32 v2, vcc, s6, v0
	v_subb_co_u32_e32 v3, vcc, 0, v1, vcc
	v_lshlrev_b64 v[2:3], 3, v[2:3]
	v_mov_b32_e32 v1, s14
	v_add_co_u32_e32 v2, vcc, s13, v2
	v_addc_co_u32_e32 v3, vcc, v1, v3, vcc
	global_load_dwordx2 v[2:3], v[2:3], off
	v_lshlrev_b32_e32 v1, 3, v0
	s_waitcnt vmcnt(0)
	ds_write_b64 v1, v[2:3]
.LBB328_3:
	s_or_b64 exec, exec, s[8:9]
.LBB328_4:
	s_or_saveexec_b64 s[4:5], s[4:5]
	v_lshlrev_b32_e32 v1, 3, v0
	s_xor_b64 exec, exec, s[4:5]
	s_cbranch_execz .LBB328_6
; %bb.5:
	global_load_dwordx2 v[2:3], v1, s[0:1]
	s_waitcnt vmcnt(0)
	ds_write_b64 v1, v[2:3]
.LBB328_6:
	s_or_b64 exec, exec, s[4:5]
	v_or_b32_e32 v2, 0x100, v0
	v_cmp_le_u32_e32 vcc, s6, v2
	s_and_saveexec_b64 s[4:5], vcc
	s_xor_b64 s[4:5], exec, s[4:5]
	s_cbranch_execz .LBB328_10
; %bb.7:
	v_mov_b32_e32 v3, 0
	v_cmp_gt_u64_e32 vcc, s[2:3], v[2:3]
	s_and_saveexec_b64 s[8:9], vcc
	s_cbranch_execz .LBB328_9
; %bb.8:
	v_mov_b32_e32 v3, s7
	v_subrev_co_u32_e32 v2, vcc, s6, v0
	v_subb_co_u32_e32 v3, vcc, 0, v3, vcc
	v_lshlrev_b64 v[2:3], 3, v[2:3]
	v_mov_b32_e32 v4, s14
	v_add_co_u32_e32 v2, vcc, s13, v2
	v_addc_co_u32_e32 v3, vcc, v4, v3, vcc
	global_load_dwordx2 v[2:3], v[2:3], off offset:2048
	s_waitcnt vmcnt(0)
	ds_write_b64 v1, v[2:3] offset:2048
.LBB328_9:
	s_or_b64 exec, exec, s[8:9]
.LBB328_10:
	s_andn2_saveexec_b64 s[4:5], s[4:5]
	s_cbranch_execz .LBB328_12
; %bb.11:
	global_load_dwordx2 v[2:3], v1, s[0:1] offset:2048
	s_waitcnt vmcnt(0)
	ds_write_b64 v1, v[2:3] offset:2048
.LBB328_12:
	s_or_b64 exec, exec, s[4:5]
	v_or_b32_e32 v2, 0x200, v0
	v_mov_b32_e32 v3, 0
	v_cmp_le_u32_e32 vcc, s6, v2
	s_and_saveexec_b64 s[4:5], vcc
	s_xor_b64 s[4:5], exec, s[4:5]
	s_cbranch_execz .LBB328_16
; %bb.13:
	v_cmp_gt_u64_e32 vcc, s[2:3], v[2:3]
	s_and_saveexec_b64 s[8:9], vcc
	s_cbranch_execz .LBB328_15
; %bb.14:
	v_mov_b32_e32 v3, s7
	v_subrev_co_u32_e32 v2, vcc, s6, v2
	v_subb_co_u32_e32 v3, vcc, 0, v3, vcc
	v_lshlrev_b64 v[2:3], 3, v[2:3]
	v_mov_b32_e32 v4, s14
	v_add_co_u32_e32 v2, vcc, s13, v2
	v_addc_co_u32_e32 v3, vcc, v4, v3, vcc
	global_load_dwordx2 v[2:3], v[2:3], off
	s_waitcnt vmcnt(0)
	ds_write_b64 v1, v[2:3] offset:4096
.LBB328_15:
	s_or_b64 exec, exec, s[8:9]
                                        ; implicit-def: $vgpr2_vgpr3
.LBB328_16:
	s_andn2_saveexec_b64 s[4:5], s[4:5]
	s_cbranch_execz .LBB328_18
; %bb.17:
	v_lshlrev_b32_e32 v2, 3, v2
	global_load_dwordx2 v[2:3], v2, s[0:1]
	s_waitcnt vmcnt(0)
	ds_write_b64 v1, v[2:3] offset:4096
.LBB328_18:
	s_or_b64 exec, exec, s[4:5]
	v_or_b32_e32 v2, 0x300, v0
	v_mov_b32_e32 v3, 0
	v_cmp_le_u32_e32 vcc, s6, v2
	s_and_saveexec_b64 s[4:5], vcc
	s_xor_b64 s[4:5], exec, s[4:5]
	s_cbranch_execz .LBB328_22
; %bb.19:
	v_cmp_gt_u64_e32 vcc, s[2:3], v[2:3]
	s_and_saveexec_b64 s[2:3], vcc
	s_cbranch_execz .LBB328_21
; %bb.20:
	v_mov_b32_e32 v3, s7
	v_subrev_co_u32_e32 v2, vcc, s6, v2
	v_subb_co_u32_e32 v3, vcc, 0, v3, vcc
	v_lshlrev_b64 v[2:3], 3, v[2:3]
	v_mov_b32_e32 v4, s14
	v_add_co_u32_e32 v2, vcc, s13, v2
	v_addc_co_u32_e32 v3, vcc, v4, v3, vcc
	global_load_dwordx2 v[2:3], v[2:3], off
	s_waitcnt vmcnt(0)
	ds_write_b64 v1, v[2:3] offset:6144
.LBB328_21:
	s_or_b64 exec, exec, s[2:3]
                                        ; implicit-def: $vgpr2_vgpr3
                                        ; implicit-def: $vgpr1
.LBB328_22:
	s_andn2_saveexec_b64 s[2:3], s[4:5]
	s_cbranch_execz .LBB328_24
; %bb.23:
	v_lshlrev_b32_e32 v2, 3, v2
	global_load_dwordx2 v[2:3], v2, s[0:1]
	s_waitcnt vmcnt(0)
	ds_write_b64 v1, v[2:3] offset:6144
.LBB328_24:
	s_or_b64 exec, exec, s[2:3]
	v_lshlrev_b32_e32 v1, 2, v0
	v_sub_u32_e64 v14, v1, s12 clamp
	v_min_u32_e32 v2, s6, v1
	v_cmp_lt_u32_e32 vcc, v14, v2
	s_waitcnt lgkmcnt(0)
	s_barrier
	s_and_saveexec_b64 s[0:1], vcc
	s_cbranch_execz .LBB328_28
; %bb.25:
	v_lshlrev_b32_e32 v3, 3, v1
	v_lshl_add_u32 v3, s6, 3, v3
	s_mov_b64 s[2:3], 0
.LBB328_26:                             ; =>This Inner Loop Header: Depth=1
	v_add_u32_e32 v4, v2, v14
	v_lshrrev_b32_e32 v8, 1, v4
	v_not_b32_e32 v4, v8
	v_lshlrev_b32_e32 v5, 3, v8
	v_lshl_add_u32 v6, v4, 3, v3
	ds_read_b64 v[4:5], v5
	ds_read_b64 v[6:7], v6
	v_add_u32_e32 v9, 1, v8
	s_waitcnt lgkmcnt(0)
	v_cmp_lt_f64_e32 vcc, v[6:7], v[4:5]
	v_cndmask_b32_e32 v2, v2, v8, vcc
	v_cndmask_b32_e32 v14, v9, v14, vcc
	v_cmp_ge_u32_e32 vcc, v14, v2
	s_or_b64 s[2:3], vcc, s[2:3]
	s_andn2_b64 exec, exec, s[2:3]
	s_cbranch_execnz .LBB328_26
; %bb.27:
	s_or_b64 exec, exec, s[2:3]
.LBB328_28:
	s_or_b64 exec, exec, s[0:1]
	v_add_u32_e32 v2, s6, v1
	s_add_i32 s7, s12, s6
	v_sub_u32_e32 v15, v2, v14
	v_cmp_ge_u32_e32 vcc, s6, v14
	v_cmp_ge_u32_e64 s[0:1], s7, v15
	s_or_b64 s[0:1], vcc, s[0:1]
                                        ; implicit-def: $vgpr12_vgpr13
                                        ; implicit-def: $vgpr10_vgpr11
	s_and_saveexec_b64 s[8:9], s[0:1]
                                        ; implicit-def: $vgpr6_vgpr7_vgpr8_vgpr9
                                        ; implicit-def: $vgpr2_vgpr3_vgpr4_vgpr5
	s_cbranch_execz .LBB328_34
; %bb.29:
	v_cmp_gt_u32_e32 vcc, s6, v14
                                        ; implicit-def: $vgpr2_vgpr3
	s_and_saveexec_b64 s[0:1], vcc
	s_cbranch_execz .LBB328_31
; %bb.30:
	v_lshlrev_b32_e32 v2, 3, v14
	ds_read_b64 v[2:3], v2
.LBB328_31:
	s_or_b64 exec, exec, s[0:1]
	v_cmp_le_u32_e64 s[0:1], s7, v15
	v_cmp_gt_u32_e64 s[2:3], s7, v15
                                        ; implicit-def: $vgpr4_vgpr5
	s_and_saveexec_b64 s[4:5], s[2:3]
	s_cbranch_execz .LBB328_33
; %bb.32:
	v_lshlrev_b32_e32 v4, 3, v15
	ds_read_b64 v[4:5], v4
.LBB328_33:
	s_or_b64 exec, exec, s[4:5]
	s_waitcnt lgkmcnt(0)
	v_cmp_nlt_f64_e64 s[2:3], v[4:5], v[2:3]
	s_and_b64 s[2:3], vcc, s[2:3]
	s_or_b64 vcc, s[0:1], s[2:3]
	v_mov_b32_e32 v16, s7
	v_mov_b32_e32 v17, s6
	v_cndmask_b32_e32 v6, v15, v14, vcc
	v_cndmask_b32_e32 v7, v16, v17, vcc
	v_add_u32_e32 v10, 1, v6
	v_add_u32_e32 v6, -1, v7
	v_min_u32_e32 v6, v10, v6
	v_lshlrev_b32_e32 v6, 3, v6
	ds_read_b64 v[6:7], v6
	v_cndmask_b32_e32 v14, v14, v10, vcc
	v_cndmask_b32_e32 v15, v10, v15, vcc
	v_cmp_gt_u32_e64 s[2:3], s6, v14
	v_cmp_le_u32_e64 s[0:1], s7, v15
	s_waitcnt lgkmcnt(0)
	v_cndmask_b32_e32 v9, v7, v5, vcc
	v_cndmask_b32_e32 v8, v6, v4, vcc
	;; [unrolled: 1-line block ×4, first 2 shown]
	v_cmp_nlt_f64_e64 s[4:5], v[8:9], v[6:7]
	s_and_b64 s[2:3], s[2:3], s[4:5]
	s_or_b64 s[0:1], s[0:1], s[2:3]
	v_cndmask_b32_e64 v10, v15, v14, s[0:1]
	v_cndmask_b32_e64 v11, v16, v17, s[0:1]
	v_add_u32_e32 v18, 1, v10
	v_add_u32_e32 v10, -1, v11
	v_min_u32_e32 v10, v18, v10
	v_lshlrev_b32_e32 v10, 3, v10
	ds_read_b64 v[10:11], v10
	v_cndmask_b32_e32 v3, v5, v3, vcc
	v_cndmask_b32_e32 v2, v4, v2, vcc
	v_cndmask_b32_e64 v19, v18, v15, s[0:1]
	v_cndmask_b32_e64 v18, v14, v18, s[0:1]
	s_waitcnt lgkmcnt(0)
	v_cndmask_b32_e64 v5, v11, v9, s[0:1]
	v_cndmask_b32_e64 v4, v10, v8, s[0:1]
	;; [unrolled: 1-line block ×4, first 2 shown]
	v_cmp_gt_u32_e64 s[2:3], s6, v18
	v_cmp_nlt_f64_e64 s[4:5], v[4:5], v[12:13]
	v_cmp_le_u32_e32 vcc, s7, v19
	s_and_b64 s[2:3], s[2:3], s[4:5]
	s_or_b64 vcc, vcc, s[2:3]
	v_cndmask_b32_e32 v10, v19, v18, vcc
	v_cndmask_b32_e32 v11, v16, v17, vcc
	v_add_u32_e32 v16, 1, v10
	v_add_u32_e32 v10, -1, v11
	v_min_u32_e32 v10, v16, v10
	v_lshlrev_b32_e32 v10, 3, v10
	ds_read_b64 v[14:15], v10
	v_cndmask_b32_e64 v11, v9, v7, s[0:1]
	v_cndmask_b32_e64 v10, v8, v6, s[0:1]
	v_cndmask_b32_e32 v7, v5, v13, vcc
	v_cndmask_b32_e32 v6, v4, v12, vcc
	s_waitcnt lgkmcnt(0)
	v_cndmask_b32_e32 v5, v15, v5, vcc
	v_cndmask_b32_e32 v4, v14, v4, vcc
	;; [unrolled: 1-line block ×6, first 2 shown]
	v_cmp_gt_u32_e64 s[0:1], s6, v13
	v_cmp_nlt_f64_e64 s[2:3], v[4:5], v[8:9]
	v_cmp_le_u32_e32 vcc, s7, v12
	s_and_b64 s[0:1], s[0:1], s[2:3]
	s_or_b64 vcc, vcc, s[0:1]
	v_cndmask_b32_e32 v13, v5, v9, vcc
	v_cndmask_b32_e32 v12, v4, v8, vcc
.LBB328_34:
	s_or_b64 exec, exec, s[8:9]
	s_sub_i32 s0, s11, s10
	v_and_b32_e32 v0, 0xf8, v0
	s_cmpk_gt_u32 s0, 0x3ff
	v_lshl_add_u32 v0, v1, 3, v0
	s_mov_b64 s[0:1], -1
	s_barrier
	ds_write2_b64 v0, v[2:3], v[10:11] offset1:1
	ds_write2_b64 v0, v[6:7], v[12:13] offset0:2 offset1:3
	s_waitcnt lgkmcnt(0)
	s_cbranch_scc1 .LBB328_37
; %bb.35:
	s_andn2_b64 vcc, exec, s[0:1]
	s_cbranch_vccz .LBB328_38
.LBB328_36:
	s_endpgm
.LBB328_37:
	s_barrier
	s_cbranch_execnz .LBB328_36
.LBB328_38:
	s_barrier
	s_endpgm
	.section	.rodata,"a",@progbits
	.p2align	6, 0x0
	.amdhsa_kernel _ZN7rocprim17ROCPRIM_400000_NS6detail17trampoline_kernelINS0_14default_configENS1_21merge_config_selectorIdNS0_10empty_typeEEEZNS1_10merge_implIS3_N6thrust23THRUST_200600_302600_NS6detail15normal_iteratorINS9_10device_ptrIKdEEEESF_NS9_16discard_iteratorINS9_11use_defaultEEEPS5_SJ_SJ_NS9_4lessIdEEEE10hipError_tPvRmT0_T1_T2_T3_T4_T5_mmT6_P12ihipStream_tbEUlT_E0_NS1_11comp_targetILNS1_3genE4ELNS1_11target_archE910ELNS1_3gpuE8ELNS1_3repE0EEENS1_30default_config_static_selectorELNS0_4arch9wavefront6targetE1EEEvSQ_
		.amdhsa_group_segment_fixed_size 8448
		.amdhsa_private_segment_fixed_size 0
		.amdhsa_kernarg_size 96
		.amdhsa_user_sgpr_count 6
		.amdhsa_user_sgpr_private_segment_buffer 1
		.amdhsa_user_sgpr_dispatch_ptr 0
		.amdhsa_user_sgpr_queue_ptr 0
		.amdhsa_user_sgpr_kernarg_segment_ptr 1
		.amdhsa_user_sgpr_dispatch_id 0
		.amdhsa_user_sgpr_flat_scratch_init 0
		.amdhsa_user_sgpr_kernarg_preload_length 0
		.amdhsa_user_sgpr_kernarg_preload_offset 0
		.amdhsa_user_sgpr_private_segment_size 0
		.amdhsa_uses_dynamic_stack 0
		.amdhsa_system_sgpr_private_segment_wavefront_offset 0
		.amdhsa_system_sgpr_workgroup_id_x 1
		.amdhsa_system_sgpr_workgroup_id_y 0
		.amdhsa_system_sgpr_workgroup_id_z 0
		.amdhsa_system_sgpr_workgroup_info 0
		.amdhsa_system_vgpr_workitem_id 0
		.amdhsa_next_free_vgpr 20
		.amdhsa_next_free_sgpr 17
		.amdhsa_accum_offset 20
		.amdhsa_reserve_vcc 1
		.amdhsa_reserve_flat_scratch 0
		.amdhsa_float_round_mode_32 0
		.amdhsa_float_round_mode_16_64 0
		.amdhsa_float_denorm_mode_32 3
		.amdhsa_float_denorm_mode_16_64 3
		.amdhsa_dx10_clamp 1
		.amdhsa_ieee_mode 1
		.amdhsa_fp16_overflow 0
		.amdhsa_tg_split 0
		.amdhsa_exception_fp_ieee_invalid_op 0
		.amdhsa_exception_fp_denorm_src 0
		.amdhsa_exception_fp_ieee_div_zero 0
		.amdhsa_exception_fp_ieee_overflow 0
		.amdhsa_exception_fp_ieee_underflow 0
		.amdhsa_exception_fp_ieee_inexact 0
		.amdhsa_exception_int_div_zero 0
	.end_amdhsa_kernel
	.section	.text._ZN7rocprim17ROCPRIM_400000_NS6detail17trampoline_kernelINS0_14default_configENS1_21merge_config_selectorIdNS0_10empty_typeEEEZNS1_10merge_implIS3_N6thrust23THRUST_200600_302600_NS6detail15normal_iteratorINS9_10device_ptrIKdEEEESF_NS9_16discard_iteratorINS9_11use_defaultEEEPS5_SJ_SJ_NS9_4lessIdEEEE10hipError_tPvRmT0_T1_T2_T3_T4_T5_mmT6_P12ihipStream_tbEUlT_E0_NS1_11comp_targetILNS1_3genE4ELNS1_11target_archE910ELNS1_3gpuE8ELNS1_3repE0EEENS1_30default_config_static_selectorELNS0_4arch9wavefront6targetE1EEEvSQ_,"axG",@progbits,_ZN7rocprim17ROCPRIM_400000_NS6detail17trampoline_kernelINS0_14default_configENS1_21merge_config_selectorIdNS0_10empty_typeEEEZNS1_10merge_implIS3_N6thrust23THRUST_200600_302600_NS6detail15normal_iteratorINS9_10device_ptrIKdEEEESF_NS9_16discard_iteratorINS9_11use_defaultEEEPS5_SJ_SJ_NS9_4lessIdEEEE10hipError_tPvRmT0_T1_T2_T3_T4_T5_mmT6_P12ihipStream_tbEUlT_E0_NS1_11comp_targetILNS1_3genE4ELNS1_11target_archE910ELNS1_3gpuE8ELNS1_3repE0EEENS1_30default_config_static_selectorELNS0_4arch9wavefront6targetE1EEEvSQ_,comdat
.Lfunc_end328:
	.size	_ZN7rocprim17ROCPRIM_400000_NS6detail17trampoline_kernelINS0_14default_configENS1_21merge_config_selectorIdNS0_10empty_typeEEEZNS1_10merge_implIS3_N6thrust23THRUST_200600_302600_NS6detail15normal_iteratorINS9_10device_ptrIKdEEEESF_NS9_16discard_iteratorINS9_11use_defaultEEEPS5_SJ_SJ_NS9_4lessIdEEEE10hipError_tPvRmT0_T1_T2_T3_T4_T5_mmT6_P12ihipStream_tbEUlT_E0_NS1_11comp_targetILNS1_3genE4ELNS1_11target_archE910ELNS1_3gpuE8ELNS1_3repE0EEENS1_30default_config_static_selectorELNS0_4arch9wavefront6targetE1EEEvSQ_, .Lfunc_end328-_ZN7rocprim17ROCPRIM_400000_NS6detail17trampoline_kernelINS0_14default_configENS1_21merge_config_selectorIdNS0_10empty_typeEEEZNS1_10merge_implIS3_N6thrust23THRUST_200600_302600_NS6detail15normal_iteratorINS9_10device_ptrIKdEEEESF_NS9_16discard_iteratorINS9_11use_defaultEEEPS5_SJ_SJ_NS9_4lessIdEEEE10hipError_tPvRmT0_T1_T2_T3_T4_T5_mmT6_P12ihipStream_tbEUlT_E0_NS1_11comp_targetILNS1_3genE4ELNS1_11target_archE910ELNS1_3gpuE8ELNS1_3repE0EEENS1_30default_config_static_selectorELNS0_4arch9wavefront6targetE1EEEvSQ_
                                        ; -- End function
	.section	.AMDGPU.csdata,"",@progbits
; Kernel info:
; codeLenInByte = 1376
; NumSgprs: 21
; NumVgprs: 20
; NumAgprs: 0
; TotalNumVgprs: 20
; ScratchSize: 0
; MemoryBound: 0
; FloatMode: 240
; IeeeMode: 1
; LDSByteSize: 8448 bytes/workgroup (compile time only)
; SGPRBlocks: 2
; VGPRBlocks: 2
; NumSGPRsForWavesPerEU: 21
; NumVGPRsForWavesPerEU: 20
; AccumOffset: 20
; Occupancy: 7
; WaveLimiterHint : 1
; COMPUTE_PGM_RSRC2:SCRATCH_EN: 0
; COMPUTE_PGM_RSRC2:USER_SGPR: 6
; COMPUTE_PGM_RSRC2:TRAP_HANDLER: 0
; COMPUTE_PGM_RSRC2:TGID_X_EN: 1
; COMPUTE_PGM_RSRC2:TGID_Y_EN: 0
; COMPUTE_PGM_RSRC2:TGID_Z_EN: 0
; COMPUTE_PGM_RSRC2:TIDIG_COMP_CNT: 0
; COMPUTE_PGM_RSRC3_GFX90A:ACCUM_OFFSET: 4
; COMPUTE_PGM_RSRC3_GFX90A:TG_SPLIT: 0
	.section	.text._ZN7rocprim17ROCPRIM_400000_NS6detail17trampoline_kernelINS0_14default_configENS1_21merge_config_selectorIdNS0_10empty_typeEEEZNS1_10merge_implIS3_N6thrust23THRUST_200600_302600_NS6detail15normal_iteratorINS9_10device_ptrIKdEEEESF_NS9_16discard_iteratorINS9_11use_defaultEEEPS5_SJ_SJ_NS9_4lessIdEEEE10hipError_tPvRmT0_T1_T2_T3_T4_T5_mmT6_P12ihipStream_tbEUlT_E0_NS1_11comp_targetILNS1_3genE3ELNS1_11target_archE908ELNS1_3gpuE7ELNS1_3repE0EEENS1_30default_config_static_selectorELNS0_4arch9wavefront6targetE1EEEvSQ_,"axG",@progbits,_ZN7rocprim17ROCPRIM_400000_NS6detail17trampoline_kernelINS0_14default_configENS1_21merge_config_selectorIdNS0_10empty_typeEEEZNS1_10merge_implIS3_N6thrust23THRUST_200600_302600_NS6detail15normal_iteratorINS9_10device_ptrIKdEEEESF_NS9_16discard_iteratorINS9_11use_defaultEEEPS5_SJ_SJ_NS9_4lessIdEEEE10hipError_tPvRmT0_T1_T2_T3_T4_T5_mmT6_P12ihipStream_tbEUlT_E0_NS1_11comp_targetILNS1_3genE3ELNS1_11target_archE908ELNS1_3gpuE7ELNS1_3repE0EEENS1_30default_config_static_selectorELNS0_4arch9wavefront6targetE1EEEvSQ_,comdat
	.protected	_ZN7rocprim17ROCPRIM_400000_NS6detail17trampoline_kernelINS0_14default_configENS1_21merge_config_selectorIdNS0_10empty_typeEEEZNS1_10merge_implIS3_N6thrust23THRUST_200600_302600_NS6detail15normal_iteratorINS9_10device_ptrIKdEEEESF_NS9_16discard_iteratorINS9_11use_defaultEEEPS5_SJ_SJ_NS9_4lessIdEEEE10hipError_tPvRmT0_T1_T2_T3_T4_T5_mmT6_P12ihipStream_tbEUlT_E0_NS1_11comp_targetILNS1_3genE3ELNS1_11target_archE908ELNS1_3gpuE7ELNS1_3repE0EEENS1_30default_config_static_selectorELNS0_4arch9wavefront6targetE1EEEvSQ_ ; -- Begin function _ZN7rocprim17ROCPRIM_400000_NS6detail17trampoline_kernelINS0_14default_configENS1_21merge_config_selectorIdNS0_10empty_typeEEEZNS1_10merge_implIS3_N6thrust23THRUST_200600_302600_NS6detail15normal_iteratorINS9_10device_ptrIKdEEEESF_NS9_16discard_iteratorINS9_11use_defaultEEEPS5_SJ_SJ_NS9_4lessIdEEEE10hipError_tPvRmT0_T1_T2_T3_T4_T5_mmT6_P12ihipStream_tbEUlT_E0_NS1_11comp_targetILNS1_3genE3ELNS1_11target_archE908ELNS1_3gpuE7ELNS1_3repE0EEENS1_30default_config_static_selectorELNS0_4arch9wavefront6targetE1EEEvSQ_
	.globl	_ZN7rocprim17ROCPRIM_400000_NS6detail17trampoline_kernelINS0_14default_configENS1_21merge_config_selectorIdNS0_10empty_typeEEEZNS1_10merge_implIS3_N6thrust23THRUST_200600_302600_NS6detail15normal_iteratorINS9_10device_ptrIKdEEEESF_NS9_16discard_iteratorINS9_11use_defaultEEEPS5_SJ_SJ_NS9_4lessIdEEEE10hipError_tPvRmT0_T1_T2_T3_T4_T5_mmT6_P12ihipStream_tbEUlT_E0_NS1_11comp_targetILNS1_3genE3ELNS1_11target_archE908ELNS1_3gpuE7ELNS1_3repE0EEENS1_30default_config_static_selectorELNS0_4arch9wavefront6targetE1EEEvSQ_
	.p2align	8
	.type	_ZN7rocprim17ROCPRIM_400000_NS6detail17trampoline_kernelINS0_14default_configENS1_21merge_config_selectorIdNS0_10empty_typeEEEZNS1_10merge_implIS3_N6thrust23THRUST_200600_302600_NS6detail15normal_iteratorINS9_10device_ptrIKdEEEESF_NS9_16discard_iteratorINS9_11use_defaultEEEPS5_SJ_SJ_NS9_4lessIdEEEE10hipError_tPvRmT0_T1_T2_T3_T4_T5_mmT6_P12ihipStream_tbEUlT_E0_NS1_11comp_targetILNS1_3genE3ELNS1_11target_archE908ELNS1_3gpuE7ELNS1_3repE0EEENS1_30default_config_static_selectorELNS0_4arch9wavefront6targetE1EEEvSQ_,@function
_ZN7rocprim17ROCPRIM_400000_NS6detail17trampoline_kernelINS0_14default_configENS1_21merge_config_selectorIdNS0_10empty_typeEEEZNS1_10merge_implIS3_N6thrust23THRUST_200600_302600_NS6detail15normal_iteratorINS9_10device_ptrIKdEEEESF_NS9_16discard_iteratorINS9_11use_defaultEEEPS5_SJ_SJ_NS9_4lessIdEEEE10hipError_tPvRmT0_T1_T2_T3_T4_T5_mmT6_P12ihipStream_tbEUlT_E0_NS1_11comp_targetILNS1_3genE3ELNS1_11target_archE908ELNS1_3gpuE7ELNS1_3repE0EEENS1_30default_config_static_selectorELNS0_4arch9wavefront6targetE1EEEvSQ_: ; @_ZN7rocprim17ROCPRIM_400000_NS6detail17trampoline_kernelINS0_14default_configENS1_21merge_config_selectorIdNS0_10empty_typeEEEZNS1_10merge_implIS3_N6thrust23THRUST_200600_302600_NS6detail15normal_iteratorINS9_10device_ptrIKdEEEESF_NS9_16discard_iteratorINS9_11use_defaultEEEPS5_SJ_SJ_NS9_4lessIdEEEE10hipError_tPvRmT0_T1_T2_T3_T4_T5_mmT6_P12ihipStream_tbEUlT_E0_NS1_11comp_targetILNS1_3genE3ELNS1_11target_archE908ELNS1_3gpuE7ELNS1_3repE0EEENS1_30default_config_static_selectorELNS0_4arch9wavefront6targetE1EEEvSQ_
; %bb.0:
	.section	.rodata,"a",@progbits
	.p2align	6, 0x0
	.amdhsa_kernel _ZN7rocprim17ROCPRIM_400000_NS6detail17trampoline_kernelINS0_14default_configENS1_21merge_config_selectorIdNS0_10empty_typeEEEZNS1_10merge_implIS3_N6thrust23THRUST_200600_302600_NS6detail15normal_iteratorINS9_10device_ptrIKdEEEESF_NS9_16discard_iteratorINS9_11use_defaultEEEPS5_SJ_SJ_NS9_4lessIdEEEE10hipError_tPvRmT0_T1_T2_T3_T4_T5_mmT6_P12ihipStream_tbEUlT_E0_NS1_11comp_targetILNS1_3genE3ELNS1_11target_archE908ELNS1_3gpuE7ELNS1_3repE0EEENS1_30default_config_static_selectorELNS0_4arch9wavefront6targetE1EEEvSQ_
		.amdhsa_group_segment_fixed_size 0
		.amdhsa_private_segment_fixed_size 0
		.amdhsa_kernarg_size 96
		.amdhsa_user_sgpr_count 6
		.amdhsa_user_sgpr_private_segment_buffer 1
		.amdhsa_user_sgpr_dispatch_ptr 0
		.amdhsa_user_sgpr_queue_ptr 0
		.amdhsa_user_sgpr_kernarg_segment_ptr 1
		.amdhsa_user_sgpr_dispatch_id 0
		.amdhsa_user_sgpr_flat_scratch_init 0
		.amdhsa_user_sgpr_kernarg_preload_length 0
		.amdhsa_user_sgpr_kernarg_preload_offset 0
		.amdhsa_user_sgpr_private_segment_size 0
		.amdhsa_uses_dynamic_stack 0
		.amdhsa_system_sgpr_private_segment_wavefront_offset 0
		.amdhsa_system_sgpr_workgroup_id_x 1
		.amdhsa_system_sgpr_workgroup_id_y 0
		.amdhsa_system_sgpr_workgroup_id_z 0
		.amdhsa_system_sgpr_workgroup_info 0
		.amdhsa_system_vgpr_workitem_id 0
		.amdhsa_next_free_vgpr 1
		.amdhsa_next_free_sgpr 0
		.amdhsa_accum_offset 4
		.amdhsa_reserve_vcc 0
		.amdhsa_reserve_flat_scratch 0
		.amdhsa_float_round_mode_32 0
		.amdhsa_float_round_mode_16_64 0
		.amdhsa_float_denorm_mode_32 3
		.amdhsa_float_denorm_mode_16_64 3
		.amdhsa_dx10_clamp 1
		.amdhsa_ieee_mode 1
		.amdhsa_fp16_overflow 0
		.amdhsa_tg_split 0
		.amdhsa_exception_fp_ieee_invalid_op 0
		.amdhsa_exception_fp_denorm_src 0
		.amdhsa_exception_fp_ieee_div_zero 0
		.amdhsa_exception_fp_ieee_overflow 0
		.amdhsa_exception_fp_ieee_underflow 0
		.amdhsa_exception_fp_ieee_inexact 0
		.amdhsa_exception_int_div_zero 0
	.end_amdhsa_kernel
	.section	.text._ZN7rocprim17ROCPRIM_400000_NS6detail17trampoline_kernelINS0_14default_configENS1_21merge_config_selectorIdNS0_10empty_typeEEEZNS1_10merge_implIS3_N6thrust23THRUST_200600_302600_NS6detail15normal_iteratorINS9_10device_ptrIKdEEEESF_NS9_16discard_iteratorINS9_11use_defaultEEEPS5_SJ_SJ_NS9_4lessIdEEEE10hipError_tPvRmT0_T1_T2_T3_T4_T5_mmT6_P12ihipStream_tbEUlT_E0_NS1_11comp_targetILNS1_3genE3ELNS1_11target_archE908ELNS1_3gpuE7ELNS1_3repE0EEENS1_30default_config_static_selectorELNS0_4arch9wavefront6targetE1EEEvSQ_,"axG",@progbits,_ZN7rocprim17ROCPRIM_400000_NS6detail17trampoline_kernelINS0_14default_configENS1_21merge_config_selectorIdNS0_10empty_typeEEEZNS1_10merge_implIS3_N6thrust23THRUST_200600_302600_NS6detail15normal_iteratorINS9_10device_ptrIKdEEEESF_NS9_16discard_iteratorINS9_11use_defaultEEEPS5_SJ_SJ_NS9_4lessIdEEEE10hipError_tPvRmT0_T1_T2_T3_T4_T5_mmT6_P12ihipStream_tbEUlT_E0_NS1_11comp_targetILNS1_3genE3ELNS1_11target_archE908ELNS1_3gpuE7ELNS1_3repE0EEENS1_30default_config_static_selectorELNS0_4arch9wavefront6targetE1EEEvSQ_,comdat
.Lfunc_end329:
	.size	_ZN7rocprim17ROCPRIM_400000_NS6detail17trampoline_kernelINS0_14default_configENS1_21merge_config_selectorIdNS0_10empty_typeEEEZNS1_10merge_implIS3_N6thrust23THRUST_200600_302600_NS6detail15normal_iteratorINS9_10device_ptrIKdEEEESF_NS9_16discard_iteratorINS9_11use_defaultEEEPS5_SJ_SJ_NS9_4lessIdEEEE10hipError_tPvRmT0_T1_T2_T3_T4_T5_mmT6_P12ihipStream_tbEUlT_E0_NS1_11comp_targetILNS1_3genE3ELNS1_11target_archE908ELNS1_3gpuE7ELNS1_3repE0EEENS1_30default_config_static_selectorELNS0_4arch9wavefront6targetE1EEEvSQ_, .Lfunc_end329-_ZN7rocprim17ROCPRIM_400000_NS6detail17trampoline_kernelINS0_14default_configENS1_21merge_config_selectorIdNS0_10empty_typeEEEZNS1_10merge_implIS3_N6thrust23THRUST_200600_302600_NS6detail15normal_iteratorINS9_10device_ptrIKdEEEESF_NS9_16discard_iteratorINS9_11use_defaultEEEPS5_SJ_SJ_NS9_4lessIdEEEE10hipError_tPvRmT0_T1_T2_T3_T4_T5_mmT6_P12ihipStream_tbEUlT_E0_NS1_11comp_targetILNS1_3genE3ELNS1_11target_archE908ELNS1_3gpuE7ELNS1_3repE0EEENS1_30default_config_static_selectorELNS0_4arch9wavefront6targetE1EEEvSQ_
                                        ; -- End function
	.section	.AMDGPU.csdata,"",@progbits
; Kernel info:
; codeLenInByte = 0
; NumSgprs: 4
; NumVgprs: 0
; NumAgprs: 0
; TotalNumVgprs: 0
; ScratchSize: 0
; MemoryBound: 0
; FloatMode: 240
; IeeeMode: 1
; LDSByteSize: 0 bytes/workgroup (compile time only)
; SGPRBlocks: 0
; VGPRBlocks: 0
; NumSGPRsForWavesPerEU: 4
; NumVGPRsForWavesPerEU: 1
; AccumOffset: 4
; Occupancy: 8
; WaveLimiterHint : 0
; COMPUTE_PGM_RSRC2:SCRATCH_EN: 0
; COMPUTE_PGM_RSRC2:USER_SGPR: 6
; COMPUTE_PGM_RSRC2:TRAP_HANDLER: 0
; COMPUTE_PGM_RSRC2:TGID_X_EN: 1
; COMPUTE_PGM_RSRC2:TGID_Y_EN: 0
; COMPUTE_PGM_RSRC2:TGID_Z_EN: 0
; COMPUTE_PGM_RSRC2:TIDIG_COMP_CNT: 0
; COMPUTE_PGM_RSRC3_GFX90A:ACCUM_OFFSET: 0
; COMPUTE_PGM_RSRC3_GFX90A:TG_SPLIT: 0
	.section	.text._ZN7rocprim17ROCPRIM_400000_NS6detail17trampoline_kernelINS0_14default_configENS1_21merge_config_selectorIdNS0_10empty_typeEEEZNS1_10merge_implIS3_N6thrust23THRUST_200600_302600_NS6detail15normal_iteratorINS9_10device_ptrIKdEEEESF_NS9_16discard_iteratorINS9_11use_defaultEEEPS5_SJ_SJ_NS9_4lessIdEEEE10hipError_tPvRmT0_T1_T2_T3_T4_T5_mmT6_P12ihipStream_tbEUlT_E0_NS1_11comp_targetILNS1_3genE2ELNS1_11target_archE906ELNS1_3gpuE6ELNS1_3repE0EEENS1_30default_config_static_selectorELNS0_4arch9wavefront6targetE1EEEvSQ_,"axG",@progbits,_ZN7rocprim17ROCPRIM_400000_NS6detail17trampoline_kernelINS0_14default_configENS1_21merge_config_selectorIdNS0_10empty_typeEEEZNS1_10merge_implIS3_N6thrust23THRUST_200600_302600_NS6detail15normal_iteratorINS9_10device_ptrIKdEEEESF_NS9_16discard_iteratorINS9_11use_defaultEEEPS5_SJ_SJ_NS9_4lessIdEEEE10hipError_tPvRmT0_T1_T2_T3_T4_T5_mmT6_P12ihipStream_tbEUlT_E0_NS1_11comp_targetILNS1_3genE2ELNS1_11target_archE906ELNS1_3gpuE6ELNS1_3repE0EEENS1_30default_config_static_selectorELNS0_4arch9wavefront6targetE1EEEvSQ_,comdat
	.protected	_ZN7rocprim17ROCPRIM_400000_NS6detail17trampoline_kernelINS0_14default_configENS1_21merge_config_selectorIdNS0_10empty_typeEEEZNS1_10merge_implIS3_N6thrust23THRUST_200600_302600_NS6detail15normal_iteratorINS9_10device_ptrIKdEEEESF_NS9_16discard_iteratorINS9_11use_defaultEEEPS5_SJ_SJ_NS9_4lessIdEEEE10hipError_tPvRmT0_T1_T2_T3_T4_T5_mmT6_P12ihipStream_tbEUlT_E0_NS1_11comp_targetILNS1_3genE2ELNS1_11target_archE906ELNS1_3gpuE6ELNS1_3repE0EEENS1_30default_config_static_selectorELNS0_4arch9wavefront6targetE1EEEvSQ_ ; -- Begin function _ZN7rocprim17ROCPRIM_400000_NS6detail17trampoline_kernelINS0_14default_configENS1_21merge_config_selectorIdNS0_10empty_typeEEEZNS1_10merge_implIS3_N6thrust23THRUST_200600_302600_NS6detail15normal_iteratorINS9_10device_ptrIKdEEEESF_NS9_16discard_iteratorINS9_11use_defaultEEEPS5_SJ_SJ_NS9_4lessIdEEEE10hipError_tPvRmT0_T1_T2_T3_T4_T5_mmT6_P12ihipStream_tbEUlT_E0_NS1_11comp_targetILNS1_3genE2ELNS1_11target_archE906ELNS1_3gpuE6ELNS1_3repE0EEENS1_30default_config_static_selectorELNS0_4arch9wavefront6targetE1EEEvSQ_
	.globl	_ZN7rocprim17ROCPRIM_400000_NS6detail17trampoline_kernelINS0_14default_configENS1_21merge_config_selectorIdNS0_10empty_typeEEEZNS1_10merge_implIS3_N6thrust23THRUST_200600_302600_NS6detail15normal_iteratorINS9_10device_ptrIKdEEEESF_NS9_16discard_iteratorINS9_11use_defaultEEEPS5_SJ_SJ_NS9_4lessIdEEEE10hipError_tPvRmT0_T1_T2_T3_T4_T5_mmT6_P12ihipStream_tbEUlT_E0_NS1_11comp_targetILNS1_3genE2ELNS1_11target_archE906ELNS1_3gpuE6ELNS1_3repE0EEENS1_30default_config_static_selectorELNS0_4arch9wavefront6targetE1EEEvSQ_
	.p2align	8
	.type	_ZN7rocprim17ROCPRIM_400000_NS6detail17trampoline_kernelINS0_14default_configENS1_21merge_config_selectorIdNS0_10empty_typeEEEZNS1_10merge_implIS3_N6thrust23THRUST_200600_302600_NS6detail15normal_iteratorINS9_10device_ptrIKdEEEESF_NS9_16discard_iteratorINS9_11use_defaultEEEPS5_SJ_SJ_NS9_4lessIdEEEE10hipError_tPvRmT0_T1_T2_T3_T4_T5_mmT6_P12ihipStream_tbEUlT_E0_NS1_11comp_targetILNS1_3genE2ELNS1_11target_archE906ELNS1_3gpuE6ELNS1_3repE0EEENS1_30default_config_static_selectorELNS0_4arch9wavefront6targetE1EEEvSQ_,@function
_ZN7rocprim17ROCPRIM_400000_NS6detail17trampoline_kernelINS0_14default_configENS1_21merge_config_selectorIdNS0_10empty_typeEEEZNS1_10merge_implIS3_N6thrust23THRUST_200600_302600_NS6detail15normal_iteratorINS9_10device_ptrIKdEEEESF_NS9_16discard_iteratorINS9_11use_defaultEEEPS5_SJ_SJ_NS9_4lessIdEEEE10hipError_tPvRmT0_T1_T2_T3_T4_T5_mmT6_P12ihipStream_tbEUlT_E0_NS1_11comp_targetILNS1_3genE2ELNS1_11target_archE906ELNS1_3gpuE6ELNS1_3repE0EEENS1_30default_config_static_selectorELNS0_4arch9wavefront6targetE1EEEvSQ_: ; @_ZN7rocprim17ROCPRIM_400000_NS6detail17trampoline_kernelINS0_14default_configENS1_21merge_config_selectorIdNS0_10empty_typeEEEZNS1_10merge_implIS3_N6thrust23THRUST_200600_302600_NS6detail15normal_iteratorINS9_10device_ptrIKdEEEESF_NS9_16discard_iteratorINS9_11use_defaultEEEPS5_SJ_SJ_NS9_4lessIdEEEE10hipError_tPvRmT0_T1_T2_T3_T4_T5_mmT6_P12ihipStream_tbEUlT_E0_NS1_11comp_targetILNS1_3genE2ELNS1_11target_archE906ELNS1_3gpuE6ELNS1_3repE0EEENS1_30default_config_static_selectorELNS0_4arch9wavefront6targetE1EEEvSQ_
; %bb.0:
	.section	.rodata,"a",@progbits
	.p2align	6, 0x0
	.amdhsa_kernel _ZN7rocprim17ROCPRIM_400000_NS6detail17trampoline_kernelINS0_14default_configENS1_21merge_config_selectorIdNS0_10empty_typeEEEZNS1_10merge_implIS3_N6thrust23THRUST_200600_302600_NS6detail15normal_iteratorINS9_10device_ptrIKdEEEESF_NS9_16discard_iteratorINS9_11use_defaultEEEPS5_SJ_SJ_NS9_4lessIdEEEE10hipError_tPvRmT0_T1_T2_T3_T4_T5_mmT6_P12ihipStream_tbEUlT_E0_NS1_11comp_targetILNS1_3genE2ELNS1_11target_archE906ELNS1_3gpuE6ELNS1_3repE0EEENS1_30default_config_static_selectorELNS0_4arch9wavefront6targetE1EEEvSQ_
		.amdhsa_group_segment_fixed_size 0
		.amdhsa_private_segment_fixed_size 0
		.amdhsa_kernarg_size 96
		.amdhsa_user_sgpr_count 6
		.amdhsa_user_sgpr_private_segment_buffer 1
		.amdhsa_user_sgpr_dispatch_ptr 0
		.amdhsa_user_sgpr_queue_ptr 0
		.amdhsa_user_sgpr_kernarg_segment_ptr 1
		.amdhsa_user_sgpr_dispatch_id 0
		.amdhsa_user_sgpr_flat_scratch_init 0
		.amdhsa_user_sgpr_kernarg_preload_length 0
		.amdhsa_user_sgpr_kernarg_preload_offset 0
		.amdhsa_user_sgpr_private_segment_size 0
		.amdhsa_uses_dynamic_stack 0
		.amdhsa_system_sgpr_private_segment_wavefront_offset 0
		.amdhsa_system_sgpr_workgroup_id_x 1
		.amdhsa_system_sgpr_workgroup_id_y 0
		.amdhsa_system_sgpr_workgroup_id_z 0
		.amdhsa_system_sgpr_workgroup_info 0
		.amdhsa_system_vgpr_workitem_id 0
		.amdhsa_next_free_vgpr 1
		.amdhsa_next_free_sgpr 0
		.amdhsa_accum_offset 4
		.amdhsa_reserve_vcc 0
		.amdhsa_reserve_flat_scratch 0
		.amdhsa_float_round_mode_32 0
		.amdhsa_float_round_mode_16_64 0
		.amdhsa_float_denorm_mode_32 3
		.amdhsa_float_denorm_mode_16_64 3
		.amdhsa_dx10_clamp 1
		.amdhsa_ieee_mode 1
		.amdhsa_fp16_overflow 0
		.amdhsa_tg_split 0
		.amdhsa_exception_fp_ieee_invalid_op 0
		.amdhsa_exception_fp_denorm_src 0
		.amdhsa_exception_fp_ieee_div_zero 0
		.amdhsa_exception_fp_ieee_overflow 0
		.amdhsa_exception_fp_ieee_underflow 0
		.amdhsa_exception_fp_ieee_inexact 0
		.amdhsa_exception_int_div_zero 0
	.end_amdhsa_kernel
	.section	.text._ZN7rocprim17ROCPRIM_400000_NS6detail17trampoline_kernelINS0_14default_configENS1_21merge_config_selectorIdNS0_10empty_typeEEEZNS1_10merge_implIS3_N6thrust23THRUST_200600_302600_NS6detail15normal_iteratorINS9_10device_ptrIKdEEEESF_NS9_16discard_iteratorINS9_11use_defaultEEEPS5_SJ_SJ_NS9_4lessIdEEEE10hipError_tPvRmT0_T1_T2_T3_T4_T5_mmT6_P12ihipStream_tbEUlT_E0_NS1_11comp_targetILNS1_3genE2ELNS1_11target_archE906ELNS1_3gpuE6ELNS1_3repE0EEENS1_30default_config_static_selectorELNS0_4arch9wavefront6targetE1EEEvSQ_,"axG",@progbits,_ZN7rocprim17ROCPRIM_400000_NS6detail17trampoline_kernelINS0_14default_configENS1_21merge_config_selectorIdNS0_10empty_typeEEEZNS1_10merge_implIS3_N6thrust23THRUST_200600_302600_NS6detail15normal_iteratorINS9_10device_ptrIKdEEEESF_NS9_16discard_iteratorINS9_11use_defaultEEEPS5_SJ_SJ_NS9_4lessIdEEEE10hipError_tPvRmT0_T1_T2_T3_T4_T5_mmT6_P12ihipStream_tbEUlT_E0_NS1_11comp_targetILNS1_3genE2ELNS1_11target_archE906ELNS1_3gpuE6ELNS1_3repE0EEENS1_30default_config_static_selectorELNS0_4arch9wavefront6targetE1EEEvSQ_,comdat
.Lfunc_end330:
	.size	_ZN7rocprim17ROCPRIM_400000_NS6detail17trampoline_kernelINS0_14default_configENS1_21merge_config_selectorIdNS0_10empty_typeEEEZNS1_10merge_implIS3_N6thrust23THRUST_200600_302600_NS6detail15normal_iteratorINS9_10device_ptrIKdEEEESF_NS9_16discard_iteratorINS9_11use_defaultEEEPS5_SJ_SJ_NS9_4lessIdEEEE10hipError_tPvRmT0_T1_T2_T3_T4_T5_mmT6_P12ihipStream_tbEUlT_E0_NS1_11comp_targetILNS1_3genE2ELNS1_11target_archE906ELNS1_3gpuE6ELNS1_3repE0EEENS1_30default_config_static_selectorELNS0_4arch9wavefront6targetE1EEEvSQ_, .Lfunc_end330-_ZN7rocprim17ROCPRIM_400000_NS6detail17trampoline_kernelINS0_14default_configENS1_21merge_config_selectorIdNS0_10empty_typeEEEZNS1_10merge_implIS3_N6thrust23THRUST_200600_302600_NS6detail15normal_iteratorINS9_10device_ptrIKdEEEESF_NS9_16discard_iteratorINS9_11use_defaultEEEPS5_SJ_SJ_NS9_4lessIdEEEE10hipError_tPvRmT0_T1_T2_T3_T4_T5_mmT6_P12ihipStream_tbEUlT_E0_NS1_11comp_targetILNS1_3genE2ELNS1_11target_archE906ELNS1_3gpuE6ELNS1_3repE0EEENS1_30default_config_static_selectorELNS0_4arch9wavefront6targetE1EEEvSQ_
                                        ; -- End function
	.section	.AMDGPU.csdata,"",@progbits
; Kernel info:
; codeLenInByte = 0
; NumSgprs: 4
; NumVgprs: 0
; NumAgprs: 0
; TotalNumVgprs: 0
; ScratchSize: 0
; MemoryBound: 0
; FloatMode: 240
; IeeeMode: 1
; LDSByteSize: 0 bytes/workgroup (compile time only)
; SGPRBlocks: 0
; VGPRBlocks: 0
; NumSGPRsForWavesPerEU: 4
; NumVGPRsForWavesPerEU: 1
; AccumOffset: 4
; Occupancy: 8
; WaveLimiterHint : 0
; COMPUTE_PGM_RSRC2:SCRATCH_EN: 0
; COMPUTE_PGM_RSRC2:USER_SGPR: 6
; COMPUTE_PGM_RSRC2:TRAP_HANDLER: 0
; COMPUTE_PGM_RSRC2:TGID_X_EN: 1
; COMPUTE_PGM_RSRC2:TGID_Y_EN: 0
; COMPUTE_PGM_RSRC2:TGID_Z_EN: 0
; COMPUTE_PGM_RSRC2:TIDIG_COMP_CNT: 0
; COMPUTE_PGM_RSRC3_GFX90A:ACCUM_OFFSET: 0
; COMPUTE_PGM_RSRC3_GFX90A:TG_SPLIT: 0
	.section	.text._ZN7rocprim17ROCPRIM_400000_NS6detail17trampoline_kernelINS0_14default_configENS1_21merge_config_selectorIdNS0_10empty_typeEEEZNS1_10merge_implIS3_N6thrust23THRUST_200600_302600_NS6detail15normal_iteratorINS9_10device_ptrIKdEEEESF_NS9_16discard_iteratorINS9_11use_defaultEEEPS5_SJ_SJ_NS9_4lessIdEEEE10hipError_tPvRmT0_T1_T2_T3_T4_T5_mmT6_P12ihipStream_tbEUlT_E0_NS1_11comp_targetILNS1_3genE10ELNS1_11target_archE1201ELNS1_3gpuE5ELNS1_3repE0EEENS1_30default_config_static_selectorELNS0_4arch9wavefront6targetE1EEEvSQ_,"axG",@progbits,_ZN7rocprim17ROCPRIM_400000_NS6detail17trampoline_kernelINS0_14default_configENS1_21merge_config_selectorIdNS0_10empty_typeEEEZNS1_10merge_implIS3_N6thrust23THRUST_200600_302600_NS6detail15normal_iteratorINS9_10device_ptrIKdEEEESF_NS9_16discard_iteratorINS9_11use_defaultEEEPS5_SJ_SJ_NS9_4lessIdEEEE10hipError_tPvRmT0_T1_T2_T3_T4_T5_mmT6_P12ihipStream_tbEUlT_E0_NS1_11comp_targetILNS1_3genE10ELNS1_11target_archE1201ELNS1_3gpuE5ELNS1_3repE0EEENS1_30default_config_static_selectorELNS0_4arch9wavefront6targetE1EEEvSQ_,comdat
	.protected	_ZN7rocprim17ROCPRIM_400000_NS6detail17trampoline_kernelINS0_14default_configENS1_21merge_config_selectorIdNS0_10empty_typeEEEZNS1_10merge_implIS3_N6thrust23THRUST_200600_302600_NS6detail15normal_iteratorINS9_10device_ptrIKdEEEESF_NS9_16discard_iteratorINS9_11use_defaultEEEPS5_SJ_SJ_NS9_4lessIdEEEE10hipError_tPvRmT0_T1_T2_T3_T4_T5_mmT6_P12ihipStream_tbEUlT_E0_NS1_11comp_targetILNS1_3genE10ELNS1_11target_archE1201ELNS1_3gpuE5ELNS1_3repE0EEENS1_30default_config_static_selectorELNS0_4arch9wavefront6targetE1EEEvSQ_ ; -- Begin function _ZN7rocprim17ROCPRIM_400000_NS6detail17trampoline_kernelINS0_14default_configENS1_21merge_config_selectorIdNS0_10empty_typeEEEZNS1_10merge_implIS3_N6thrust23THRUST_200600_302600_NS6detail15normal_iteratorINS9_10device_ptrIKdEEEESF_NS9_16discard_iteratorINS9_11use_defaultEEEPS5_SJ_SJ_NS9_4lessIdEEEE10hipError_tPvRmT0_T1_T2_T3_T4_T5_mmT6_P12ihipStream_tbEUlT_E0_NS1_11comp_targetILNS1_3genE10ELNS1_11target_archE1201ELNS1_3gpuE5ELNS1_3repE0EEENS1_30default_config_static_selectorELNS0_4arch9wavefront6targetE1EEEvSQ_
	.globl	_ZN7rocprim17ROCPRIM_400000_NS6detail17trampoline_kernelINS0_14default_configENS1_21merge_config_selectorIdNS0_10empty_typeEEEZNS1_10merge_implIS3_N6thrust23THRUST_200600_302600_NS6detail15normal_iteratorINS9_10device_ptrIKdEEEESF_NS9_16discard_iteratorINS9_11use_defaultEEEPS5_SJ_SJ_NS9_4lessIdEEEE10hipError_tPvRmT0_T1_T2_T3_T4_T5_mmT6_P12ihipStream_tbEUlT_E0_NS1_11comp_targetILNS1_3genE10ELNS1_11target_archE1201ELNS1_3gpuE5ELNS1_3repE0EEENS1_30default_config_static_selectorELNS0_4arch9wavefront6targetE1EEEvSQ_
	.p2align	8
	.type	_ZN7rocprim17ROCPRIM_400000_NS6detail17trampoline_kernelINS0_14default_configENS1_21merge_config_selectorIdNS0_10empty_typeEEEZNS1_10merge_implIS3_N6thrust23THRUST_200600_302600_NS6detail15normal_iteratorINS9_10device_ptrIKdEEEESF_NS9_16discard_iteratorINS9_11use_defaultEEEPS5_SJ_SJ_NS9_4lessIdEEEE10hipError_tPvRmT0_T1_T2_T3_T4_T5_mmT6_P12ihipStream_tbEUlT_E0_NS1_11comp_targetILNS1_3genE10ELNS1_11target_archE1201ELNS1_3gpuE5ELNS1_3repE0EEENS1_30default_config_static_selectorELNS0_4arch9wavefront6targetE1EEEvSQ_,@function
_ZN7rocprim17ROCPRIM_400000_NS6detail17trampoline_kernelINS0_14default_configENS1_21merge_config_selectorIdNS0_10empty_typeEEEZNS1_10merge_implIS3_N6thrust23THRUST_200600_302600_NS6detail15normal_iteratorINS9_10device_ptrIKdEEEESF_NS9_16discard_iteratorINS9_11use_defaultEEEPS5_SJ_SJ_NS9_4lessIdEEEE10hipError_tPvRmT0_T1_T2_T3_T4_T5_mmT6_P12ihipStream_tbEUlT_E0_NS1_11comp_targetILNS1_3genE10ELNS1_11target_archE1201ELNS1_3gpuE5ELNS1_3repE0EEENS1_30default_config_static_selectorELNS0_4arch9wavefront6targetE1EEEvSQ_: ; @_ZN7rocprim17ROCPRIM_400000_NS6detail17trampoline_kernelINS0_14default_configENS1_21merge_config_selectorIdNS0_10empty_typeEEEZNS1_10merge_implIS3_N6thrust23THRUST_200600_302600_NS6detail15normal_iteratorINS9_10device_ptrIKdEEEESF_NS9_16discard_iteratorINS9_11use_defaultEEEPS5_SJ_SJ_NS9_4lessIdEEEE10hipError_tPvRmT0_T1_T2_T3_T4_T5_mmT6_P12ihipStream_tbEUlT_E0_NS1_11comp_targetILNS1_3genE10ELNS1_11target_archE1201ELNS1_3gpuE5ELNS1_3repE0EEENS1_30default_config_static_selectorELNS0_4arch9wavefront6targetE1EEEvSQ_
; %bb.0:
	.section	.rodata,"a",@progbits
	.p2align	6, 0x0
	.amdhsa_kernel _ZN7rocprim17ROCPRIM_400000_NS6detail17trampoline_kernelINS0_14default_configENS1_21merge_config_selectorIdNS0_10empty_typeEEEZNS1_10merge_implIS3_N6thrust23THRUST_200600_302600_NS6detail15normal_iteratorINS9_10device_ptrIKdEEEESF_NS9_16discard_iteratorINS9_11use_defaultEEEPS5_SJ_SJ_NS9_4lessIdEEEE10hipError_tPvRmT0_T1_T2_T3_T4_T5_mmT6_P12ihipStream_tbEUlT_E0_NS1_11comp_targetILNS1_3genE10ELNS1_11target_archE1201ELNS1_3gpuE5ELNS1_3repE0EEENS1_30default_config_static_selectorELNS0_4arch9wavefront6targetE1EEEvSQ_
		.amdhsa_group_segment_fixed_size 0
		.amdhsa_private_segment_fixed_size 0
		.amdhsa_kernarg_size 96
		.amdhsa_user_sgpr_count 6
		.amdhsa_user_sgpr_private_segment_buffer 1
		.amdhsa_user_sgpr_dispatch_ptr 0
		.amdhsa_user_sgpr_queue_ptr 0
		.amdhsa_user_sgpr_kernarg_segment_ptr 1
		.amdhsa_user_sgpr_dispatch_id 0
		.amdhsa_user_sgpr_flat_scratch_init 0
		.amdhsa_user_sgpr_kernarg_preload_length 0
		.amdhsa_user_sgpr_kernarg_preload_offset 0
		.amdhsa_user_sgpr_private_segment_size 0
		.amdhsa_uses_dynamic_stack 0
		.amdhsa_system_sgpr_private_segment_wavefront_offset 0
		.amdhsa_system_sgpr_workgroup_id_x 1
		.amdhsa_system_sgpr_workgroup_id_y 0
		.amdhsa_system_sgpr_workgroup_id_z 0
		.amdhsa_system_sgpr_workgroup_info 0
		.amdhsa_system_vgpr_workitem_id 0
		.amdhsa_next_free_vgpr 1
		.amdhsa_next_free_sgpr 0
		.amdhsa_accum_offset 4
		.amdhsa_reserve_vcc 0
		.amdhsa_reserve_flat_scratch 0
		.amdhsa_float_round_mode_32 0
		.amdhsa_float_round_mode_16_64 0
		.amdhsa_float_denorm_mode_32 3
		.amdhsa_float_denorm_mode_16_64 3
		.amdhsa_dx10_clamp 1
		.amdhsa_ieee_mode 1
		.amdhsa_fp16_overflow 0
		.amdhsa_tg_split 0
		.amdhsa_exception_fp_ieee_invalid_op 0
		.amdhsa_exception_fp_denorm_src 0
		.amdhsa_exception_fp_ieee_div_zero 0
		.amdhsa_exception_fp_ieee_overflow 0
		.amdhsa_exception_fp_ieee_underflow 0
		.amdhsa_exception_fp_ieee_inexact 0
		.amdhsa_exception_int_div_zero 0
	.end_amdhsa_kernel
	.section	.text._ZN7rocprim17ROCPRIM_400000_NS6detail17trampoline_kernelINS0_14default_configENS1_21merge_config_selectorIdNS0_10empty_typeEEEZNS1_10merge_implIS3_N6thrust23THRUST_200600_302600_NS6detail15normal_iteratorINS9_10device_ptrIKdEEEESF_NS9_16discard_iteratorINS9_11use_defaultEEEPS5_SJ_SJ_NS9_4lessIdEEEE10hipError_tPvRmT0_T1_T2_T3_T4_T5_mmT6_P12ihipStream_tbEUlT_E0_NS1_11comp_targetILNS1_3genE10ELNS1_11target_archE1201ELNS1_3gpuE5ELNS1_3repE0EEENS1_30default_config_static_selectorELNS0_4arch9wavefront6targetE1EEEvSQ_,"axG",@progbits,_ZN7rocprim17ROCPRIM_400000_NS6detail17trampoline_kernelINS0_14default_configENS1_21merge_config_selectorIdNS0_10empty_typeEEEZNS1_10merge_implIS3_N6thrust23THRUST_200600_302600_NS6detail15normal_iteratorINS9_10device_ptrIKdEEEESF_NS9_16discard_iteratorINS9_11use_defaultEEEPS5_SJ_SJ_NS9_4lessIdEEEE10hipError_tPvRmT0_T1_T2_T3_T4_T5_mmT6_P12ihipStream_tbEUlT_E0_NS1_11comp_targetILNS1_3genE10ELNS1_11target_archE1201ELNS1_3gpuE5ELNS1_3repE0EEENS1_30default_config_static_selectorELNS0_4arch9wavefront6targetE1EEEvSQ_,comdat
.Lfunc_end331:
	.size	_ZN7rocprim17ROCPRIM_400000_NS6detail17trampoline_kernelINS0_14default_configENS1_21merge_config_selectorIdNS0_10empty_typeEEEZNS1_10merge_implIS3_N6thrust23THRUST_200600_302600_NS6detail15normal_iteratorINS9_10device_ptrIKdEEEESF_NS9_16discard_iteratorINS9_11use_defaultEEEPS5_SJ_SJ_NS9_4lessIdEEEE10hipError_tPvRmT0_T1_T2_T3_T4_T5_mmT6_P12ihipStream_tbEUlT_E0_NS1_11comp_targetILNS1_3genE10ELNS1_11target_archE1201ELNS1_3gpuE5ELNS1_3repE0EEENS1_30default_config_static_selectorELNS0_4arch9wavefront6targetE1EEEvSQ_, .Lfunc_end331-_ZN7rocprim17ROCPRIM_400000_NS6detail17trampoline_kernelINS0_14default_configENS1_21merge_config_selectorIdNS0_10empty_typeEEEZNS1_10merge_implIS3_N6thrust23THRUST_200600_302600_NS6detail15normal_iteratorINS9_10device_ptrIKdEEEESF_NS9_16discard_iteratorINS9_11use_defaultEEEPS5_SJ_SJ_NS9_4lessIdEEEE10hipError_tPvRmT0_T1_T2_T3_T4_T5_mmT6_P12ihipStream_tbEUlT_E0_NS1_11comp_targetILNS1_3genE10ELNS1_11target_archE1201ELNS1_3gpuE5ELNS1_3repE0EEENS1_30default_config_static_selectorELNS0_4arch9wavefront6targetE1EEEvSQ_
                                        ; -- End function
	.section	.AMDGPU.csdata,"",@progbits
; Kernel info:
; codeLenInByte = 0
; NumSgprs: 4
; NumVgprs: 0
; NumAgprs: 0
; TotalNumVgprs: 0
; ScratchSize: 0
; MemoryBound: 0
; FloatMode: 240
; IeeeMode: 1
; LDSByteSize: 0 bytes/workgroup (compile time only)
; SGPRBlocks: 0
; VGPRBlocks: 0
; NumSGPRsForWavesPerEU: 4
; NumVGPRsForWavesPerEU: 1
; AccumOffset: 4
; Occupancy: 8
; WaveLimiterHint : 0
; COMPUTE_PGM_RSRC2:SCRATCH_EN: 0
; COMPUTE_PGM_RSRC2:USER_SGPR: 6
; COMPUTE_PGM_RSRC2:TRAP_HANDLER: 0
; COMPUTE_PGM_RSRC2:TGID_X_EN: 1
; COMPUTE_PGM_RSRC2:TGID_Y_EN: 0
; COMPUTE_PGM_RSRC2:TGID_Z_EN: 0
; COMPUTE_PGM_RSRC2:TIDIG_COMP_CNT: 0
; COMPUTE_PGM_RSRC3_GFX90A:ACCUM_OFFSET: 0
; COMPUTE_PGM_RSRC3_GFX90A:TG_SPLIT: 0
	.section	.text._ZN7rocprim17ROCPRIM_400000_NS6detail17trampoline_kernelINS0_14default_configENS1_21merge_config_selectorIdNS0_10empty_typeEEEZNS1_10merge_implIS3_N6thrust23THRUST_200600_302600_NS6detail15normal_iteratorINS9_10device_ptrIKdEEEESF_NS9_16discard_iteratorINS9_11use_defaultEEEPS5_SJ_SJ_NS9_4lessIdEEEE10hipError_tPvRmT0_T1_T2_T3_T4_T5_mmT6_P12ihipStream_tbEUlT_E0_NS1_11comp_targetILNS1_3genE10ELNS1_11target_archE1200ELNS1_3gpuE4ELNS1_3repE0EEENS1_30default_config_static_selectorELNS0_4arch9wavefront6targetE1EEEvSQ_,"axG",@progbits,_ZN7rocprim17ROCPRIM_400000_NS6detail17trampoline_kernelINS0_14default_configENS1_21merge_config_selectorIdNS0_10empty_typeEEEZNS1_10merge_implIS3_N6thrust23THRUST_200600_302600_NS6detail15normal_iteratorINS9_10device_ptrIKdEEEESF_NS9_16discard_iteratorINS9_11use_defaultEEEPS5_SJ_SJ_NS9_4lessIdEEEE10hipError_tPvRmT0_T1_T2_T3_T4_T5_mmT6_P12ihipStream_tbEUlT_E0_NS1_11comp_targetILNS1_3genE10ELNS1_11target_archE1200ELNS1_3gpuE4ELNS1_3repE0EEENS1_30default_config_static_selectorELNS0_4arch9wavefront6targetE1EEEvSQ_,comdat
	.protected	_ZN7rocprim17ROCPRIM_400000_NS6detail17trampoline_kernelINS0_14default_configENS1_21merge_config_selectorIdNS0_10empty_typeEEEZNS1_10merge_implIS3_N6thrust23THRUST_200600_302600_NS6detail15normal_iteratorINS9_10device_ptrIKdEEEESF_NS9_16discard_iteratorINS9_11use_defaultEEEPS5_SJ_SJ_NS9_4lessIdEEEE10hipError_tPvRmT0_T1_T2_T3_T4_T5_mmT6_P12ihipStream_tbEUlT_E0_NS1_11comp_targetILNS1_3genE10ELNS1_11target_archE1200ELNS1_3gpuE4ELNS1_3repE0EEENS1_30default_config_static_selectorELNS0_4arch9wavefront6targetE1EEEvSQ_ ; -- Begin function _ZN7rocprim17ROCPRIM_400000_NS6detail17trampoline_kernelINS0_14default_configENS1_21merge_config_selectorIdNS0_10empty_typeEEEZNS1_10merge_implIS3_N6thrust23THRUST_200600_302600_NS6detail15normal_iteratorINS9_10device_ptrIKdEEEESF_NS9_16discard_iteratorINS9_11use_defaultEEEPS5_SJ_SJ_NS9_4lessIdEEEE10hipError_tPvRmT0_T1_T2_T3_T4_T5_mmT6_P12ihipStream_tbEUlT_E0_NS1_11comp_targetILNS1_3genE10ELNS1_11target_archE1200ELNS1_3gpuE4ELNS1_3repE0EEENS1_30default_config_static_selectorELNS0_4arch9wavefront6targetE1EEEvSQ_
	.globl	_ZN7rocprim17ROCPRIM_400000_NS6detail17trampoline_kernelINS0_14default_configENS1_21merge_config_selectorIdNS0_10empty_typeEEEZNS1_10merge_implIS3_N6thrust23THRUST_200600_302600_NS6detail15normal_iteratorINS9_10device_ptrIKdEEEESF_NS9_16discard_iteratorINS9_11use_defaultEEEPS5_SJ_SJ_NS9_4lessIdEEEE10hipError_tPvRmT0_T1_T2_T3_T4_T5_mmT6_P12ihipStream_tbEUlT_E0_NS1_11comp_targetILNS1_3genE10ELNS1_11target_archE1200ELNS1_3gpuE4ELNS1_3repE0EEENS1_30default_config_static_selectorELNS0_4arch9wavefront6targetE1EEEvSQ_
	.p2align	8
	.type	_ZN7rocprim17ROCPRIM_400000_NS6detail17trampoline_kernelINS0_14default_configENS1_21merge_config_selectorIdNS0_10empty_typeEEEZNS1_10merge_implIS3_N6thrust23THRUST_200600_302600_NS6detail15normal_iteratorINS9_10device_ptrIKdEEEESF_NS9_16discard_iteratorINS9_11use_defaultEEEPS5_SJ_SJ_NS9_4lessIdEEEE10hipError_tPvRmT0_T1_T2_T3_T4_T5_mmT6_P12ihipStream_tbEUlT_E0_NS1_11comp_targetILNS1_3genE10ELNS1_11target_archE1200ELNS1_3gpuE4ELNS1_3repE0EEENS1_30default_config_static_selectorELNS0_4arch9wavefront6targetE1EEEvSQ_,@function
_ZN7rocprim17ROCPRIM_400000_NS6detail17trampoline_kernelINS0_14default_configENS1_21merge_config_selectorIdNS0_10empty_typeEEEZNS1_10merge_implIS3_N6thrust23THRUST_200600_302600_NS6detail15normal_iteratorINS9_10device_ptrIKdEEEESF_NS9_16discard_iteratorINS9_11use_defaultEEEPS5_SJ_SJ_NS9_4lessIdEEEE10hipError_tPvRmT0_T1_T2_T3_T4_T5_mmT6_P12ihipStream_tbEUlT_E0_NS1_11comp_targetILNS1_3genE10ELNS1_11target_archE1200ELNS1_3gpuE4ELNS1_3repE0EEENS1_30default_config_static_selectorELNS0_4arch9wavefront6targetE1EEEvSQ_: ; @_ZN7rocprim17ROCPRIM_400000_NS6detail17trampoline_kernelINS0_14default_configENS1_21merge_config_selectorIdNS0_10empty_typeEEEZNS1_10merge_implIS3_N6thrust23THRUST_200600_302600_NS6detail15normal_iteratorINS9_10device_ptrIKdEEEESF_NS9_16discard_iteratorINS9_11use_defaultEEEPS5_SJ_SJ_NS9_4lessIdEEEE10hipError_tPvRmT0_T1_T2_T3_T4_T5_mmT6_P12ihipStream_tbEUlT_E0_NS1_11comp_targetILNS1_3genE10ELNS1_11target_archE1200ELNS1_3gpuE4ELNS1_3repE0EEENS1_30default_config_static_selectorELNS0_4arch9wavefront6targetE1EEEvSQ_
; %bb.0:
	.section	.rodata,"a",@progbits
	.p2align	6, 0x0
	.amdhsa_kernel _ZN7rocprim17ROCPRIM_400000_NS6detail17trampoline_kernelINS0_14default_configENS1_21merge_config_selectorIdNS0_10empty_typeEEEZNS1_10merge_implIS3_N6thrust23THRUST_200600_302600_NS6detail15normal_iteratorINS9_10device_ptrIKdEEEESF_NS9_16discard_iteratorINS9_11use_defaultEEEPS5_SJ_SJ_NS9_4lessIdEEEE10hipError_tPvRmT0_T1_T2_T3_T4_T5_mmT6_P12ihipStream_tbEUlT_E0_NS1_11comp_targetILNS1_3genE10ELNS1_11target_archE1200ELNS1_3gpuE4ELNS1_3repE0EEENS1_30default_config_static_selectorELNS0_4arch9wavefront6targetE1EEEvSQ_
		.amdhsa_group_segment_fixed_size 0
		.amdhsa_private_segment_fixed_size 0
		.amdhsa_kernarg_size 96
		.amdhsa_user_sgpr_count 6
		.amdhsa_user_sgpr_private_segment_buffer 1
		.amdhsa_user_sgpr_dispatch_ptr 0
		.amdhsa_user_sgpr_queue_ptr 0
		.amdhsa_user_sgpr_kernarg_segment_ptr 1
		.amdhsa_user_sgpr_dispatch_id 0
		.amdhsa_user_sgpr_flat_scratch_init 0
		.amdhsa_user_sgpr_kernarg_preload_length 0
		.amdhsa_user_sgpr_kernarg_preload_offset 0
		.amdhsa_user_sgpr_private_segment_size 0
		.amdhsa_uses_dynamic_stack 0
		.amdhsa_system_sgpr_private_segment_wavefront_offset 0
		.amdhsa_system_sgpr_workgroup_id_x 1
		.amdhsa_system_sgpr_workgroup_id_y 0
		.amdhsa_system_sgpr_workgroup_id_z 0
		.amdhsa_system_sgpr_workgroup_info 0
		.amdhsa_system_vgpr_workitem_id 0
		.amdhsa_next_free_vgpr 1
		.amdhsa_next_free_sgpr 0
		.amdhsa_accum_offset 4
		.amdhsa_reserve_vcc 0
		.amdhsa_reserve_flat_scratch 0
		.amdhsa_float_round_mode_32 0
		.amdhsa_float_round_mode_16_64 0
		.amdhsa_float_denorm_mode_32 3
		.amdhsa_float_denorm_mode_16_64 3
		.amdhsa_dx10_clamp 1
		.amdhsa_ieee_mode 1
		.amdhsa_fp16_overflow 0
		.amdhsa_tg_split 0
		.amdhsa_exception_fp_ieee_invalid_op 0
		.amdhsa_exception_fp_denorm_src 0
		.amdhsa_exception_fp_ieee_div_zero 0
		.amdhsa_exception_fp_ieee_overflow 0
		.amdhsa_exception_fp_ieee_underflow 0
		.amdhsa_exception_fp_ieee_inexact 0
		.amdhsa_exception_int_div_zero 0
	.end_amdhsa_kernel
	.section	.text._ZN7rocprim17ROCPRIM_400000_NS6detail17trampoline_kernelINS0_14default_configENS1_21merge_config_selectorIdNS0_10empty_typeEEEZNS1_10merge_implIS3_N6thrust23THRUST_200600_302600_NS6detail15normal_iteratorINS9_10device_ptrIKdEEEESF_NS9_16discard_iteratorINS9_11use_defaultEEEPS5_SJ_SJ_NS9_4lessIdEEEE10hipError_tPvRmT0_T1_T2_T3_T4_T5_mmT6_P12ihipStream_tbEUlT_E0_NS1_11comp_targetILNS1_3genE10ELNS1_11target_archE1200ELNS1_3gpuE4ELNS1_3repE0EEENS1_30default_config_static_selectorELNS0_4arch9wavefront6targetE1EEEvSQ_,"axG",@progbits,_ZN7rocprim17ROCPRIM_400000_NS6detail17trampoline_kernelINS0_14default_configENS1_21merge_config_selectorIdNS0_10empty_typeEEEZNS1_10merge_implIS3_N6thrust23THRUST_200600_302600_NS6detail15normal_iteratorINS9_10device_ptrIKdEEEESF_NS9_16discard_iteratorINS9_11use_defaultEEEPS5_SJ_SJ_NS9_4lessIdEEEE10hipError_tPvRmT0_T1_T2_T3_T4_T5_mmT6_P12ihipStream_tbEUlT_E0_NS1_11comp_targetILNS1_3genE10ELNS1_11target_archE1200ELNS1_3gpuE4ELNS1_3repE0EEENS1_30default_config_static_selectorELNS0_4arch9wavefront6targetE1EEEvSQ_,comdat
.Lfunc_end332:
	.size	_ZN7rocprim17ROCPRIM_400000_NS6detail17trampoline_kernelINS0_14default_configENS1_21merge_config_selectorIdNS0_10empty_typeEEEZNS1_10merge_implIS3_N6thrust23THRUST_200600_302600_NS6detail15normal_iteratorINS9_10device_ptrIKdEEEESF_NS9_16discard_iteratorINS9_11use_defaultEEEPS5_SJ_SJ_NS9_4lessIdEEEE10hipError_tPvRmT0_T1_T2_T3_T4_T5_mmT6_P12ihipStream_tbEUlT_E0_NS1_11comp_targetILNS1_3genE10ELNS1_11target_archE1200ELNS1_3gpuE4ELNS1_3repE0EEENS1_30default_config_static_selectorELNS0_4arch9wavefront6targetE1EEEvSQ_, .Lfunc_end332-_ZN7rocprim17ROCPRIM_400000_NS6detail17trampoline_kernelINS0_14default_configENS1_21merge_config_selectorIdNS0_10empty_typeEEEZNS1_10merge_implIS3_N6thrust23THRUST_200600_302600_NS6detail15normal_iteratorINS9_10device_ptrIKdEEEESF_NS9_16discard_iteratorINS9_11use_defaultEEEPS5_SJ_SJ_NS9_4lessIdEEEE10hipError_tPvRmT0_T1_T2_T3_T4_T5_mmT6_P12ihipStream_tbEUlT_E0_NS1_11comp_targetILNS1_3genE10ELNS1_11target_archE1200ELNS1_3gpuE4ELNS1_3repE0EEENS1_30default_config_static_selectorELNS0_4arch9wavefront6targetE1EEEvSQ_
                                        ; -- End function
	.section	.AMDGPU.csdata,"",@progbits
; Kernel info:
; codeLenInByte = 0
; NumSgprs: 4
; NumVgprs: 0
; NumAgprs: 0
; TotalNumVgprs: 0
; ScratchSize: 0
; MemoryBound: 0
; FloatMode: 240
; IeeeMode: 1
; LDSByteSize: 0 bytes/workgroup (compile time only)
; SGPRBlocks: 0
; VGPRBlocks: 0
; NumSGPRsForWavesPerEU: 4
; NumVGPRsForWavesPerEU: 1
; AccumOffset: 4
; Occupancy: 8
; WaveLimiterHint : 0
; COMPUTE_PGM_RSRC2:SCRATCH_EN: 0
; COMPUTE_PGM_RSRC2:USER_SGPR: 6
; COMPUTE_PGM_RSRC2:TRAP_HANDLER: 0
; COMPUTE_PGM_RSRC2:TGID_X_EN: 1
; COMPUTE_PGM_RSRC2:TGID_Y_EN: 0
; COMPUTE_PGM_RSRC2:TGID_Z_EN: 0
; COMPUTE_PGM_RSRC2:TIDIG_COMP_CNT: 0
; COMPUTE_PGM_RSRC3_GFX90A:ACCUM_OFFSET: 0
; COMPUTE_PGM_RSRC3_GFX90A:TG_SPLIT: 0
	.section	.text._ZN7rocprim17ROCPRIM_400000_NS6detail17trampoline_kernelINS0_14default_configENS1_21merge_config_selectorIdNS0_10empty_typeEEEZNS1_10merge_implIS3_N6thrust23THRUST_200600_302600_NS6detail15normal_iteratorINS9_10device_ptrIKdEEEESF_NS9_16discard_iteratorINS9_11use_defaultEEEPS5_SJ_SJ_NS9_4lessIdEEEE10hipError_tPvRmT0_T1_T2_T3_T4_T5_mmT6_P12ihipStream_tbEUlT_E0_NS1_11comp_targetILNS1_3genE9ELNS1_11target_archE1100ELNS1_3gpuE3ELNS1_3repE0EEENS1_30default_config_static_selectorELNS0_4arch9wavefront6targetE1EEEvSQ_,"axG",@progbits,_ZN7rocprim17ROCPRIM_400000_NS6detail17trampoline_kernelINS0_14default_configENS1_21merge_config_selectorIdNS0_10empty_typeEEEZNS1_10merge_implIS3_N6thrust23THRUST_200600_302600_NS6detail15normal_iteratorINS9_10device_ptrIKdEEEESF_NS9_16discard_iteratorINS9_11use_defaultEEEPS5_SJ_SJ_NS9_4lessIdEEEE10hipError_tPvRmT0_T1_T2_T3_T4_T5_mmT6_P12ihipStream_tbEUlT_E0_NS1_11comp_targetILNS1_3genE9ELNS1_11target_archE1100ELNS1_3gpuE3ELNS1_3repE0EEENS1_30default_config_static_selectorELNS0_4arch9wavefront6targetE1EEEvSQ_,comdat
	.protected	_ZN7rocprim17ROCPRIM_400000_NS6detail17trampoline_kernelINS0_14default_configENS1_21merge_config_selectorIdNS0_10empty_typeEEEZNS1_10merge_implIS3_N6thrust23THRUST_200600_302600_NS6detail15normal_iteratorINS9_10device_ptrIKdEEEESF_NS9_16discard_iteratorINS9_11use_defaultEEEPS5_SJ_SJ_NS9_4lessIdEEEE10hipError_tPvRmT0_T1_T2_T3_T4_T5_mmT6_P12ihipStream_tbEUlT_E0_NS1_11comp_targetILNS1_3genE9ELNS1_11target_archE1100ELNS1_3gpuE3ELNS1_3repE0EEENS1_30default_config_static_selectorELNS0_4arch9wavefront6targetE1EEEvSQ_ ; -- Begin function _ZN7rocprim17ROCPRIM_400000_NS6detail17trampoline_kernelINS0_14default_configENS1_21merge_config_selectorIdNS0_10empty_typeEEEZNS1_10merge_implIS3_N6thrust23THRUST_200600_302600_NS6detail15normal_iteratorINS9_10device_ptrIKdEEEESF_NS9_16discard_iteratorINS9_11use_defaultEEEPS5_SJ_SJ_NS9_4lessIdEEEE10hipError_tPvRmT0_T1_T2_T3_T4_T5_mmT6_P12ihipStream_tbEUlT_E0_NS1_11comp_targetILNS1_3genE9ELNS1_11target_archE1100ELNS1_3gpuE3ELNS1_3repE0EEENS1_30default_config_static_selectorELNS0_4arch9wavefront6targetE1EEEvSQ_
	.globl	_ZN7rocprim17ROCPRIM_400000_NS6detail17trampoline_kernelINS0_14default_configENS1_21merge_config_selectorIdNS0_10empty_typeEEEZNS1_10merge_implIS3_N6thrust23THRUST_200600_302600_NS6detail15normal_iteratorINS9_10device_ptrIKdEEEESF_NS9_16discard_iteratorINS9_11use_defaultEEEPS5_SJ_SJ_NS9_4lessIdEEEE10hipError_tPvRmT0_T1_T2_T3_T4_T5_mmT6_P12ihipStream_tbEUlT_E0_NS1_11comp_targetILNS1_3genE9ELNS1_11target_archE1100ELNS1_3gpuE3ELNS1_3repE0EEENS1_30default_config_static_selectorELNS0_4arch9wavefront6targetE1EEEvSQ_
	.p2align	8
	.type	_ZN7rocprim17ROCPRIM_400000_NS6detail17trampoline_kernelINS0_14default_configENS1_21merge_config_selectorIdNS0_10empty_typeEEEZNS1_10merge_implIS3_N6thrust23THRUST_200600_302600_NS6detail15normal_iteratorINS9_10device_ptrIKdEEEESF_NS9_16discard_iteratorINS9_11use_defaultEEEPS5_SJ_SJ_NS9_4lessIdEEEE10hipError_tPvRmT0_T1_T2_T3_T4_T5_mmT6_P12ihipStream_tbEUlT_E0_NS1_11comp_targetILNS1_3genE9ELNS1_11target_archE1100ELNS1_3gpuE3ELNS1_3repE0EEENS1_30default_config_static_selectorELNS0_4arch9wavefront6targetE1EEEvSQ_,@function
_ZN7rocprim17ROCPRIM_400000_NS6detail17trampoline_kernelINS0_14default_configENS1_21merge_config_selectorIdNS0_10empty_typeEEEZNS1_10merge_implIS3_N6thrust23THRUST_200600_302600_NS6detail15normal_iteratorINS9_10device_ptrIKdEEEESF_NS9_16discard_iteratorINS9_11use_defaultEEEPS5_SJ_SJ_NS9_4lessIdEEEE10hipError_tPvRmT0_T1_T2_T3_T4_T5_mmT6_P12ihipStream_tbEUlT_E0_NS1_11comp_targetILNS1_3genE9ELNS1_11target_archE1100ELNS1_3gpuE3ELNS1_3repE0EEENS1_30default_config_static_selectorELNS0_4arch9wavefront6targetE1EEEvSQ_: ; @_ZN7rocprim17ROCPRIM_400000_NS6detail17trampoline_kernelINS0_14default_configENS1_21merge_config_selectorIdNS0_10empty_typeEEEZNS1_10merge_implIS3_N6thrust23THRUST_200600_302600_NS6detail15normal_iteratorINS9_10device_ptrIKdEEEESF_NS9_16discard_iteratorINS9_11use_defaultEEEPS5_SJ_SJ_NS9_4lessIdEEEE10hipError_tPvRmT0_T1_T2_T3_T4_T5_mmT6_P12ihipStream_tbEUlT_E0_NS1_11comp_targetILNS1_3genE9ELNS1_11target_archE1100ELNS1_3gpuE3ELNS1_3repE0EEENS1_30default_config_static_selectorELNS0_4arch9wavefront6targetE1EEEvSQ_
; %bb.0:
	.section	.rodata,"a",@progbits
	.p2align	6, 0x0
	.amdhsa_kernel _ZN7rocprim17ROCPRIM_400000_NS6detail17trampoline_kernelINS0_14default_configENS1_21merge_config_selectorIdNS0_10empty_typeEEEZNS1_10merge_implIS3_N6thrust23THRUST_200600_302600_NS6detail15normal_iteratorINS9_10device_ptrIKdEEEESF_NS9_16discard_iteratorINS9_11use_defaultEEEPS5_SJ_SJ_NS9_4lessIdEEEE10hipError_tPvRmT0_T1_T2_T3_T4_T5_mmT6_P12ihipStream_tbEUlT_E0_NS1_11comp_targetILNS1_3genE9ELNS1_11target_archE1100ELNS1_3gpuE3ELNS1_3repE0EEENS1_30default_config_static_selectorELNS0_4arch9wavefront6targetE1EEEvSQ_
		.amdhsa_group_segment_fixed_size 0
		.amdhsa_private_segment_fixed_size 0
		.amdhsa_kernarg_size 96
		.amdhsa_user_sgpr_count 6
		.amdhsa_user_sgpr_private_segment_buffer 1
		.amdhsa_user_sgpr_dispatch_ptr 0
		.amdhsa_user_sgpr_queue_ptr 0
		.amdhsa_user_sgpr_kernarg_segment_ptr 1
		.amdhsa_user_sgpr_dispatch_id 0
		.amdhsa_user_sgpr_flat_scratch_init 0
		.amdhsa_user_sgpr_kernarg_preload_length 0
		.amdhsa_user_sgpr_kernarg_preload_offset 0
		.amdhsa_user_sgpr_private_segment_size 0
		.amdhsa_uses_dynamic_stack 0
		.amdhsa_system_sgpr_private_segment_wavefront_offset 0
		.amdhsa_system_sgpr_workgroup_id_x 1
		.amdhsa_system_sgpr_workgroup_id_y 0
		.amdhsa_system_sgpr_workgroup_id_z 0
		.amdhsa_system_sgpr_workgroup_info 0
		.amdhsa_system_vgpr_workitem_id 0
		.amdhsa_next_free_vgpr 1
		.amdhsa_next_free_sgpr 0
		.amdhsa_accum_offset 4
		.amdhsa_reserve_vcc 0
		.amdhsa_reserve_flat_scratch 0
		.amdhsa_float_round_mode_32 0
		.amdhsa_float_round_mode_16_64 0
		.amdhsa_float_denorm_mode_32 3
		.amdhsa_float_denorm_mode_16_64 3
		.amdhsa_dx10_clamp 1
		.amdhsa_ieee_mode 1
		.amdhsa_fp16_overflow 0
		.amdhsa_tg_split 0
		.amdhsa_exception_fp_ieee_invalid_op 0
		.amdhsa_exception_fp_denorm_src 0
		.amdhsa_exception_fp_ieee_div_zero 0
		.amdhsa_exception_fp_ieee_overflow 0
		.amdhsa_exception_fp_ieee_underflow 0
		.amdhsa_exception_fp_ieee_inexact 0
		.amdhsa_exception_int_div_zero 0
	.end_amdhsa_kernel
	.section	.text._ZN7rocprim17ROCPRIM_400000_NS6detail17trampoline_kernelINS0_14default_configENS1_21merge_config_selectorIdNS0_10empty_typeEEEZNS1_10merge_implIS3_N6thrust23THRUST_200600_302600_NS6detail15normal_iteratorINS9_10device_ptrIKdEEEESF_NS9_16discard_iteratorINS9_11use_defaultEEEPS5_SJ_SJ_NS9_4lessIdEEEE10hipError_tPvRmT0_T1_T2_T3_T4_T5_mmT6_P12ihipStream_tbEUlT_E0_NS1_11comp_targetILNS1_3genE9ELNS1_11target_archE1100ELNS1_3gpuE3ELNS1_3repE0EEENS1_30default_config_static_selectorELNS0_4arch9wavefront6targetE1EEEvSQ_,"axG",@progbits,_ZN7rocprim17ROCPRIM_400000_NS6detail17trampoline_kernelINS0_14default_configENS1_21merge_config_selectorIdNS0_10empty_typeEEEZNS1_10merge_implIS3_N6thrust23THRUST_200600_302600_NS6detail15normal_iteratorINS9_10device_ptrIKdEEEESF_NS9_16discard_iteratorINS9_11use_defaultEEEPS5_SJ_SJ_NS9_4lessIdEEEE10hipError_tPvRmT0_T1_T2_T3_T4_T5_mmT6_P12ihipStream_tbEUlT_E0_NS1_11comp_targetILNS1_3genE9ELNS1_11target_archE1100ELNS1_3gpuE3ELNS1_3repE0EEENS1_30default_config_static_selectorELNS0_4arch9wavefront6targetE1EEEvSQ_,comdat
.Lfunc_end333:
	.size	_ZN7rocprim17ROCPRIM_400000_NS6detail17trampoline_kernelINS0_14default_configENS1_21merge_config_selectorIdNS0_10empty_typeEEEZNS1_10merge_implIS3_N6thrust23THRUST_200600_302600_NS6detail15normal_iteratorINS9_10device_ptrIKdEEEESF_NS9_16discard_iteratorINS9_11use_defaultEEEPS5_SJ_SJ_NS9_4lessIdEEEE10hipError_tPvRmT0_T1_T2_T3_T4_T5_mmT6_P12ihipStream_tbEUlT_E0_NS1_11comp_targetILNS1_3genE9ELNS1_11target_archE1100ELNS1_3gpuE3ELNS1_3repE0EEENS1_30default_config_static_selectorELNS0_4arch9wavefront6targetE1EEEvSQ_, .Lfunc_end333-_ZN7rocprim17ROCPRIM_400000_NS6detail17trampoline_kernelINS0_14default_configENS1_21merge_config_selectorIdNS0_10empty_typeEEEZNS1_10merge_implIS3_N6thrust23THRUST_200600_302600_NS6detail15normal_iteratorINS9_10device_ptrIKdEEEESF_NS9_16discard_iteratorINS9_11use_defaultEEEPS5_SJ_SJ_NS9_4lessIdEEEE10hipError_tPvRmT0_T1_T2_T3_T4_T5_mmT6_P12ihipStream_tbEUlT_E0_NS1_11comp_targetILNS1_3genE9ELNS1_11target_archE1100ELNS1_3gpuE3ELNS1_3repE0EEENS1_30default_config_static_selectorELNS0_4arch9wavefront6targetE1EEEvSQ_
                                        ; -- End function
	.section	.AMDGPU.csdata,"",@progbits
; Kernel info:
; codeLenInByte = 0
; NumSgprs: 4
; NumVgprs: 0
; NumAgprs: 0
; TotalNumVgprs: 0
; ScratchSize: 0
; MemoryBound: 0
; FloatMode: 240
; IeeeMode: 1
; LDSByteSize: 0 bytes/workgroup (compile time only)
; SGPRBlocks: 0
; VGPRBlocks: 0
; NumSGPRsForWavesPerEU: 4
; NumVGPRsForWavesPerEU: 1
; AccumOffset: 4
; Occupancy: 8
; WaveLimiterHint : 0
; COMPUTE_PGM_RSRC2:SCRATCH_EN: 0
; COMPUTE_PGM_RSRC2:USER_SGPR: 6
; COMPUTE_PGM_RSRC2:TRAP_HANDLER: 0
; COMPUTE_PGM_RSRC2:TGID_X_EN: 1
; COMPUTE_PGM_RSRC2:TGID_Y_EN: 0
; COMPUTE_PGM_RSRC2:TGID_Z_EN: 0
; COMPUTE_PGM_RSRC2:TIDIG_COMP_CNT: 0
; COMPUTE_PGM_RSRC3_GFX90A:ACCUM_OFFSET: 0
; COMPUTE_PGM_RSRC3_GFX90A:TG_SPLIT: 0
	.section	.text._ZN7rocprim17ROCPRIM_400000_NS6detail17trampoline_kernelINS0_14default_configENS1_21merge_config_selectorIdNS0_10empty_typeEEEZNS1_10merge_implIS3_N6thrust23THRUST_200600_302600_NS6detail15normal_iteratorINS9_10device_ptrIKdEEEESF_NS9_16discard_iteratorINS9_11use_defaultEEEPS5_SJ_SJ_NS9_4lessIdEEEE10hipError_tPvRmT0_T1_T2_T3_T4_T5_mmT6_P12ihipStream_tbEUlT_E0_NS1_11comp_targetILNS1_3genE8ELNS1_11target_archE1030ELNS1_3gpuE2ELNS1_3repE0EEENS1_30default_config_static_selectorELNS0_4arch9wavefront6targetE1EEEvSQ_,"axG",@progbits,_ZN7rocprim17ROCPRIM_400000_NS6detail17trampoline_kernelINS0_14default_configENS1_21merge_config_selectorIdNS0_10empty_typeEEEZNS1_10merge_implIS3_N6thrust23THRUST_200600_302600_NS6detail15normal_iteratorINS9_10device_ptrIKdEEEESF_NS9_16discard_iteratorINS9_11use_defaultEEEPS5_SJ_SJ_NS9_4lessIdEEEE10hipError_tPvRmT0_T1_T2_T3_T4_T5_mmT6_P12ihipStream_tbEUlT_E0_NS1_11comp_targetILNS1_3genE8ELNS1_11target_archE1030ELNS1_3gpuE2ELNS1_3repE0EEENS1_30default_config_static_selectorELNS0_4arch9wavefront6targetE1EEEvSQ_,comdat
	.protected	_ZN7rocprim17ROCPRIM_400000_NS6detail17trampoline_kernelINS0_14default_configENS1_21merge_config_selectorIdNS0_10empty_typeEEEZNS1_10merge_implIS3_N6thrust23THRUST_200600_302600_NS6detail15normal_iteratorINS9_10device_ptrIKdEEEESF_NS9_16discard_iteratorINS9_11use_defaultEEEPS5_SJ_SJ_NS9_4lessIdEEEE10hipError_tPvRmT0_T1_T2_T3_T4_T5_mmT6_P12ihipStream_tbEUlT_E0_NS1_11comp_targetILNS1_3genE8ELNS1_11target_archE1030ELNS1_3gpuE2ELNS1_3repE0EEENS1_30default_config_static_selectorELNS0_4arch9wavefront6targetE1EEEvSQ_ ; -- Begin function _ZN7rocprim17ROCPRIM_400000_NS6detail17trampoline_kernelINS0_14default_configENS1_21merge_config_selectorIdNS0_10empty_typeEEEZNS1_10merge_implIS3_N6thrust23THRUST_200600_302600_NS6detail15normal_iteratorINS9_10device_ptrIKdEEEESF_NS9_16discard_iteratorINS9_11use_defaultEEEPS5_SJ_SJ_NS9_4lessIdEEEE10hipError_tPvRmT0_T1_T2_T3_T4_T5_mmT6_P12ihipStream_tbEUlT_E0_NS1_11comp_targetILNS1_3genE8ELNS1_11target_archE1030ELNS1_3gpuE2ELNS1_3repE0EEENS1_30default_config_static_selectorELNS0_4arch9wavefront6targetE1EEEvSQ_
	.globl	_ZN7rocprim17ROCPRIM_400000_NS6detail17trampoline_kernelINS0_14default_configENS1_21merge_config_selectorIdNS0_10empty_typeEEEZNS1_10merge_implIS3_N6thrust23THRUST_200600_302600_NS6detail15normal_iteratorINS9_10device_ptrIKdEEEESF_NS9_16discard_iteratorINS9_11use_defaultEEEPS5_SJ_SJ_NS9_4lessIdEEEE10hipError_tPvRmT0_T1_T2_T3_T4_T5_mmT6_P12ihipStream_tbEUlT_E0_NS1_11comp_targetILNS1_3genE8ELNS1_11target_archE1030ELNS1_3gpuE2ELNS1_3repE0EEENS1_30default_config_static_selectorELNS0_4arch9wavefront6targetE1EEEvSQ_
	.p2align	8
	.type	_ZN7rocprim17ROCPRIM_400000_NS6detail17trampoline_kernelINS0_14default_configENS1_21merge_config_selectorIdNS0_10empty_typeEEEZNS1_10merge_implIS3_N6thrust23THRUST_200600_302600_NS6detail15normal_iteratorINS9_10device_ptrIKdEEEESF_NS9_16discard_iteratorINS9_11use_defaultEEEPS5_SJ_SJ_NS9_4lessIdEEEE10hipError_tPvRmT0_T1_T2_T3_T4_T5_mmT6_P12ihipStream_tbEUlT_E0_NS1_11comp_targetILNS1_3genE8ELNS1_11target_archE1030ELNS1_3gpuE2ELNS1_3repE0EEENS1_30default_config_static_selectorELNS0_4arch9wavefront6targetE1EEEvSQ_,@function
_ZN7rocprim17ROCPRIM_400000_NS6detail17trampoline_kernelINS0_14default_configENS1_21merge_config_selectorIdNS0_10empty_typeEEEZNS1_10merge_implIS3_N6thrust23THRUST_200600_302600_NS6detail15normal_iteratorINS9_10device_ptrIKdEEEESF_NS9_16discard_iteratorINS9_11use_defaultEEEPS5_SJ_SJ_NS9_4lessIdEEEE10hipError_tPvRmT0_T1_T2_T3_T4_T5_mmT6_P12ihipStream_tbEUlT_E0_NS1_11comp_targetILNS1_3genE8ELNS1_11target_archE1030ELNS1_3gpuE2ELNS1_3repE0EEENS1_30default_config_static_selectorELNS0_4arch9wavefront6targetE1EEEvSQ_: ; @_ZN7rocprim17ROCPRIM_400000_NS6detail17trampoline_kernelINS0_14default_configENS1_21merge_config_selectorIdNS0_10empty_typeEEEZNS1_10merge_implIS3_N6thrust23THRUST_200600_302600_NS6detail15normal_iteratorINS9_10device_ptrIKdEEEESF_NS9_16discard_iteratorINS9_11use_defaultEEEPS5_SJ_SJ_NS9_4lessIdEEEE10hipError_tPvRmT0_T1_T2_T3_T4_T5_mmT6_P12ihipStream_tbEUlT_E0_NS1_11comp_targetILNS1_3genE8ELNS1_11target_archE1030ELNS1_3gpuE2ELNS1_3repE0EEENS1_30default_config_static_selectorELNS0_4arch9wavefront6targetE1EEEvSQ_
; %bb.0:
	.section	.rodata,"a",@progbits
	.p2align	6, 0x0
	.amdhsa_kernel _ZN7rocprim17ROCPRIM_400000_NS6detail17trampoline_kernelINS0_14default_configENS1_21merge_config_selectorIdNS0_10empty_typeEEEZNS1_10merge_implIS3_N6thrust23THRUST_200600_302600_NS6detail15normal_iteratorINS9_10device_ptrIKdEEEESF_NS9_16discard_iteratorINS9_11use_defaultEEEPS5_SJ_SJ_NS9_4lessIdEEEE10hipError_tPvRmT0_T1_T2_T3_T4_T5_mmT6_P12ihipStream_tbEUlT_E0_NS1_11comp_targetILNS1_3genE8ELNS1_11target_archE1030ELNS1_3gpuE2ELNS1_3repE0EEENS1_30default_config_static_selectorELNS0_4arch9wavefront6targetE1EEEvSQ_
		.amdhsa_group_segment_fixed_size 0
		.amdhsa_private_segment_fixed_size 0
		.amdhsa_kernarg_size 96
		.amdhsa_user_sgpr_count 6
		.amdhsa_user_sgpr_private_segment_buffer 1
		.amdhsa_user_sgpr_dispatch_ptr 0
		.amdhsa_user_sgpr_queue_ptr 0
		.amdhsa_user_sgpr_kernarg_segment_ptr 1
		.amdhsa_user_sgpr_dispatch_id 0
		.amdhsa_user_sgpr_flat_scratch_init 0
		.amdhsa_user_sgpr_kernarg_preload_length 0
		.amdhsa_user_sgpr_kernarg_preload_offset 0
		.amdhsa_user_sgpr_private_segment_size 0
		.amdhsa_uses_dynamic_stack 0
		.amdhsa_system_sgpr_private_segment_wavefront_offset 0
		.amdhsa_system_sgpr_workgroup_id_x 1
		.amdhsa_system_sgpr_workgroup_id_y 0
		.amdhsa_system_sgpr_workgroup_id_z 0
		.amdhsa_system_sgpr_workgroup_info 0
		.amdhsa_system_vgpr_workitem_id 0
		.amdhsa_next_free_vgpr 1
		.amdhsa_next_free_sgpr 0
		.amdhsa_accum_offset 4
		.amdhsa_reserve_vcc 0
		.amdhsa_reserve_flat_scratch 0
		.amdhsa_float_round_mode_32 0
		.amdhsa_float_round_mode_16_64 0
		.amdhsa_float_denorm_mode_32 3
		.amdhsa_float_denorm_mode_16_64 3
		.amdhsa_dx10_clamp 1
		.amdhsa_ieee_mode 1
		.amdhsa_fp16_overflow 0
		.amdhsa_tg_split 0
		.amdhsa_exception_fp_ieee_invalid_op 0
		.amdhsa_exception_fp_denorm_src 0
		.amdhsa_exception_fp_ieee_div_zero 0
		.amdhsa_exception_fp_ieee_overflow 0
		.amdhsa_exception_fp_ieee_underflow 0
		.amdhsa_exception_fp_ieee_inexact 0
		.amdhsa_exception_int_div_zero 0
	.end_amdhsa_kernel
	.section	.text._ZN7rocprim17ROCPRIM_400000_NS6detail17trampoline_kernelINS0_14default_configENS1_21merge_config_selectorIdNS0_10empty_typeEEEZNS1_10merge_implIS3_N6thrust23THRUST_200600_302600_NS6detail15normal_iteratorINS9_10device_ptrIKdEEEESF_NS9_16discard_iteratorINS9_11use_defaultEEEPS5_SJ_SJ_NS9_4lessIdEEEE10hipError_tPvRmT0_T1_T2_T3_T4_T5_mmT6_P12ihipStream_tbEUlT_E0_NS1_11comp_targetILNS1_3genE8ELNS1_11target_archE1030ELNS1_3gpuE2ELNS1_3repE0EEENS1_30default_config_static_selectorELNS0_4arch9wavefront6targetE1EEEvSQ_,"axG",@progbits,_ZN7rocprim17ROCPRIM_400000_NS6detail17trampoline_kernelINS0_14default_configENS1_21merge_config_selectorIdNS0_10empty_typeEEEZNS1_10merge_implIS3_N6thrust23THRUST_200600_302600_NS6detail15normal_iteratorINS9_10device_ptrIKdEEEESF_NS9_16discard_iteratorINS9_11use_defaultEEEPS5_SJ_SJ_NS9_4lessIdEEEE10hipError_tPvRmT0_T1_T2_T3_T4_T5_mmT6_P12ihipStream_tbEUlT_E0_NS1_11comp_targetILNS1_3genE8ELNS1_11target_archE1030ELNS1_3gpuE2ELNS1_3repE0EEENS1_30default_config_static_selectorELNS0_4arch9wavefront6targetE1EEEvSQ_,comdat
.Lfunc_end334:
	.size	_ZN7rocprim17ROCPRIM_400000_NS6detail17trampoline_kernelINS0_14default_configENS1_21merge_config_selectorIdNS0_10empty_typeEEEZNS1_10merge_implIS3_N6thrust23THRUST_200600_302600_NS6detail15normal_iteratorINS9_10device_ptrIKdEEEESF_NS9_16discard_iteratorINS9_11use_defaultEEEPS5_SJ_SJ_NS9_4lessIdEEEE10hipError_tPvRmT0_T1_T2_T3_T4_T5_mmT6_P12ihipStream_tbEUlT_E0_NS1_11comp_targetILNS1_3genE8ELNS1_11target_archE1030ELNS1_3gpuE2ELNS1_3repE0EEENS1_30default_config_static_selectorELNS0_4arch9wavefront6targetE1EEEvSQ_, .Lfunc_end334-_ZN7rocprim17ROCPRIM_400000_NS6detail17trampoline_kernelINS0_14default_configENS1_21merge_config_selectorIdNS0_10empty_typeEEEZNS1_10merge_implIS3_N6thrust23THRUST_200600_302600_NS6detail15normal_iteratorINS9_10device_ptrIKdEEEESF_NS9_16discard_iteratorINS9_11use_defaultEEEPS5_SJ_SJ_NS9_4lessIdEEEE10hipError_tPvRmT0_T1_T2_T3_T4_T5_mmT6_P12ihipStream_tbEUlT_E0_NS1_11comp_targetILNS1_3genE8ELNS1_11target_archE1030ELNS1_3gpuE2ELNS1_3repE0EEENS1_30default_config_static_selectorELNS0_4arch9wavefront6targetE1EEEvSQ_
                                        ; -- End function
	.section	.AMDGPU.csdata,"",@progbits
; Kernel info:
; codeLenInByte = 0
; NumSgprs: 4
; NumVgprs: 0
; NumAgprs: 0
; TotalNumVgprs: 0
; ScratchSize: 0
; MemoryBound: 0
; FloatMode: 240
; IeeeMode: 1
; LDSByteSize: 0 bytes/workgroup (compile time only)
; SGPRBlocks: 0
; VGPRBlocks: 0
; NumSGPRsForWavesPerEU: 4
; NumVGPRsForWavesPerEU: 1
; AccumOffset: 4
; Occupancy: 8
; WaveLimiterHint : 0
; COMPUTE_PGM_RSRC2:SCRATCH_EN: 0
; COMPUTE_PGM_RSRC2:USER_SGPR: 6
; COMPUTE_PGM_RSRC2:TRAP_HANDLER: 0
; COMPUTE_PGM_RSRC2:TGID_X_EN: 1
; COMPUTE_PGM_RSRC2:TGID_Y_EN: 0
; COMPUTE_PGM_RSRC2:TGID_Z_EN: 0
; COMPUTE_PGM_RSRC2:TIDIG_COMP_CNT: 0
; COMPUTE_PGM_RSRC3_GFX90A:ACCUM_OFFSET: 0
; COMPUTE_PGM_RSRC3_GFX90A:TG_SPLIT: 0
	.section	.text._ZN7rocprim17ROCPRIM_400000_NS6detail17trampoline_kernelINS0_14default_configENS1_21merge_config_selectorIfNS0_10empty_typeEEEZNS1_10merge_implIS3_N6thrust23THRUST_200600_302600_NS6detail15normal_iteratorINS9_10device_ptrIKfEEEESF_NS9_16discard_iteratorINS9_11use_defaultEEEPS5_SJ_SJ_NS9_4lessIfEEEE10hipError_tPvRmT0_T1_T2_T3_T4_T5_mmT6_P12ihipStream_tbEUlT_E_NS1_11comp_targetILNS1_3genE0ELNS1_11target_archE4294967295ELNS1_3gpuE0ELNS1_3repE0EEENS1_30default_config_static_selectorELNS0_4arch9wavefront6targetE1EEEvSQ_,"axG",@progbits,_ZN7rocprim17ROCPRIM_400000_NS6detail17trampoline_kernelINS0_14default_configENS1_21merge_config_selectorIfNS0_10empty_typeEEEZNS1_10merge_implIS3_N6thrust23THRUST_200600_302600_NS6detail15normal_iteratorINS9_10device_ptrIKfEEEESF_NS9_16discard_iteratorINS9_11use_defaultEEEPS5_SJ_SJ_NS9_4lessIfEEEE10hipError_tPvRmT0_T1_T2_T3_T4_T5_mmT6_P12ihipStream_tbEUlT_E_NS1_11comp_targetILNS1_3genE0ELNS1_11target_archE4294967295ELNS1_3gpuE0ELNS1_3repE0EEENS1_30default_config_static_selectorELNS0_4arch9wavefront6targetE1EEEvSQ_,comdat
	.protected	_ZN7rocprim17ROCPRIM_400000_NS6detail17trampoline_kernelINS0_14default_configENS1_21merge_config_selectorIfNS0_10empty_typeEEEZNS1_10merge_implIS3_N6thrust23THRUST_200600_302600_NS6detail15normal_iteratorINS9_10device_ptrIKfEEEESF_NS9_16discard_iteratorINS9_11use_defaultEEEPS5_SJ_SJ_NS9_4lessIfEEEE10hipError_tPvRmT0_T1_T2_T3_T4_T5_mmT6_P12ihipStream_tbEUlT_E_NS1_11comp_targetILNS1_3genE0ELNS1_11target_archE4294967295ELNS1_3gpuE0ELNS1_3repE0EEENS1_30default_config_static_selectorELNS0_4arch9wavefront6targetE1EEEvSQ_ ; -- Begin function _ZN7rocprim17ROCPRIM_400000_NS6detail17trampoline_kernelINS0_14default_configENS1_21merge_config_selectorIfNS0_10empty_typeEEEZNS1_10merge_implIS3_N6thrust23THRUST_200600_302600_NS6detail15normal_iteratorINS9_10device_ptrIKfEEEESF_NS9_16discard_iteratorINS9_11use_defaultEEEPS5_SJ_SJ_NS9_4lessIfEEEE10hipError_tPvRmT0_T1_T2_T3_T4_T5_mmT6_P12ihipStream_tbEUlT_E_NS1_11comp_targetILNS1_3genE0ELNS1_11target_archE4294967295ELNS1_3gpuE0ELNS1_3repE0EEENS1_30default_config_static_selectorELNS0_4arch9wavefront6targetE1EEEvSQ_
	.globl	_ZN7rocprim17ROCPRIM_400000_NS6detail17trampoline_kernelINS0_14default_configENS1_21merge_config_selectorIfNS0_10empty_typeEEEZNS1_10merge_implIS3_N6thrust23THRUST_200600_302600_NS6detail15normal_iteratorINS9_10device_ptrIKfEEEESF_NS9_16discard_iteratorINS9_11use_defaultEEEPS5_SJ_SJ_NS9_4lessIfEEEE10hipError_tPvRmT0_T1_T2_T3_T4_T5_mmT6_P12ihipStream_tbEUlT_E_NS1_11comp_targetILNS1_3genE0ELNS1_11target_archE4294967295ELNS1_3gpuE0ELNS1_3repE0EEENS1_30default_config_static_selectorELNS0_4arch9wavefront6targetE1EEEvSQ_
	.p2align	8
	.type	_ZN7rocprim17ROCPRIM_400000_NS6detail17trampoline_kernelINS0_14default_configENS1_21merge_config_selectorIfNS0_10empty_typeEEEZNS1_10merge_implIS3_N6thrust23THRUST_200600_302600_NS6detail15normal_iteratorINS9_10device_ptrIKfEEEESF_NS9_16discard_iteratorINS9_11use_defaultEEEPS5_SJ_SJ_NS9_4lessIfEEEE10hipError_tPvRmT0_T1_T2_T3_T4_T5_mmT6_P12ihipStream_tbEUlT_E_NS1_11comp_targetILNS1_3genE0ELNS1_11target_archE4294967295ELNS1_3gpuE0ELNS1_3repE0EEENS1_30default_config_static_selectorELNS0_4arch9wavefront6targetE1EEEvSQ_,@function
_ZN7rocprim17ROCPRIM_400000_NS6detail17trampoline_kernelINS0_14default_configENS1_21merge_config_selectorIfNS0_10empty_typeEEEZNS1_10merge_implIS3_N6thrust23THRUST_200600_302600_NS6detail15normal_iteratorINS9_10device_ptrIKfEEEESF_NS9_16discard_iteratorINS9_11use_defaultEEEPS5_SJ_SJ_NS9_4lessIfEEEE10hipError_tPvRmT0_T1_T2_T3_T4_T5_mmT6_P12ihipStream_tbEUlT_E_NS1_11comp_targetILNS1_3genE0ELNS1_11target_archE4294967295ELNS1_3gpuE0ELNS1_3repE0EEENS1_30default_config_static_selectorELNS0_4arch9wavefront6targetE1EEEvSQ_: ; @_ZN7rocprim17ROCPRIM_400000_NS6detail17trampoline_kernelINS0_14default_configENS1_21merge_config_selectorIfNS0_10empty_typeEEEZNS1_10merge_implIS3_N6thrust23THRUST_200600_302600_NS6detail15normal_iteratorINS9_10device_ptrIKfEEEESF_NS9_16discard_iteratorINS9_11use_defaultEEEPS5_SJ_SJ_NS9_4lessIfEEEE10hipError_tPvRmT0_T1_T2_T3_T4_T5_mmT6_P12ihipStream_tbEUlT_E_NS1_11comp_targetILNS1_3genE0ELNS1_11target_archE4294967295ELNS1_3gpuE0ELNS1_3repE0EEENS1_30default_config_static_selectorELNS0_4arch9wavefront6targetE1EEEvSQ_
; %bb.0:
	.section	.rodata,"a",@progbits
	.p2align	6, 0x0
	.amdhsa_kernel _ZN7rocprim17ROCPRIM_400000_NS6detail17trampoline_kernelINS0_14default_configENS1_21merge_config_selectorIfNS0_10empty_typeEEEZNS1_10merge_implIS3_N6thrust23THRUST_200600_302600_NS6detail15normal_iteratorINS9_10device_ptrIKfEEEESF_NS9_16discard_iteratorINS9_11use_defaultEEEPS5_SJ_SJ_NS9_4lessIfEEEE10hipError_tPvRmT0_T1_T2_T3_T4_T5_mmT6_P12ihipStream_tbEUlT_E_NS1_11comp_targetILNS1_3genE0ELNS1_11target_archE4294967295ELNS1_3gpuE0ELNS1_3repE0EEENS1_30default_config_static_selectorELNS0_4arch9wavefront6targetE1EEEvSQ_
		.amdhsa_group_segment_fixed_size 0
		.amdhsa_private_segment_fixed_size 0
		.amdhsa_kernarg_size 48
		.amdhsa_user_sgpr_count 6
		.amdhsa_user_sgpr_private_segment_buffer 1
		.amdhsa_user_sgpr_dispatch_ptr 0
		.amdhsa_user_sgpr_queue_ptr 0
		.amdhsa_user_sgpr_kernarg_segment_ptr 1
		.amdhsa_user_sgpr_dispatch_id 0
		.amdhsa_user_sgpr_flat_scratch_init 0
		.amdhsa_user_sgpr_kernarg_preload_length 0
		.amdhsa_user_sgpr_kernarg_preload_offset 0
		.amdhsa_user_sgpr_private_segment_size 0
		.amdhsa_uses_dynamic_stack 0
		.amdhsa_system_sgpr_private_segment_wavefront_offset 0
		.amdhsa_system_sgpr_workgroup_id_x 1
		.amdhsa_system_sgpr_workgroup_id_y 0
		.amdhsa_system_sgpr_workgroup_id_z 0
		.amdhsa_system_sgpr_workgroup_info 0
		.amdhsa_system_vgpr_workitem_id 0
		.amdhsa_next_free_vgpr 1
		.amdhsa_next_free_sgpr 0
		.amdhsa_accum_offset 4
		.amdhsa_reserve_vcc 0
		.amdhsa_reserve_flat_scratch 0
		.amdhsa_float_round_mode_32 0
		.amdhsa_float_round_mode_16_64 0
		.amdhsa_float_denorm_mode_32 3
		.amdhsa_float_denorm_mode_16_64 3
		.amdhsa_dx10_clamp 1
		.amdhsa_ieee_mode 1
		.amdhsa_fp16_overflow 0
		.amdhsa_tg_split 0
		.amdhsa_exception_fp_ieee_invalid_op 0
		.amdhsa_exception_fp_denorm_src 0
		.amdhsa_exception_fp_ieee_div_zero 0
		.amdhsa_exception_fp_ieee_overflow 0
		.amdhsa_exception_fp_ieee_underflow 0
		.amdhsa_exception_fp_ieee_inexact 0
		.amdhsa_exception_int_div_zero 0
	.end_amdhsa_kernel
	.section	.text._ZN7rocprim17ROCPRIM_400000_NS6detail17trampoline_kernelINS0_14default_configENS1_21merge_config_selectorIfNS0_10empty_typeEEEZNS1_10merge_implIS3_N6thrust23THRUST_200600_302600_NS6detail15normal_iteratorINS9_10device_ptrIKfEEEESF_NS9_16discard_iteratorINS9_11use_defaultEEEPS5_SJ_SJ_NS9_4lessIfEEEE10hipError_tPvRmT0_T1_T2_T3_T4_T5_mmT6_P12ihipStream_tbEUlT_E_NS1_11comp_targetILNS1_3genE0ELNS1_11target_archE4294967295ELNS1_3gpuE0ELNS1_3repE0EEENS1_30default_config_static_selectorELNS0_4arch9wavefront6targetE1EEEvSQ_,"axG",@progbits,_ZN7rocprim17ROCPRIM_400000_NS6detail17trampoline_kernelINS0_14default_configENS1_21merge_config_selectorIfNS0_10empty_typeEEEZNS1_10merge_implIS3_N6thrust23THRUST_200600_302600_NS6detail15normal_iteratorINS9_10device_ptrIKfEEEESF_NS9_16discard_iteratorINS9_11use_defaultEEEPS5_SJ_SJ_NS9_4lessIfEEEE10hipError_tPvRmT0_T1_T2_T3_T4_T5_mmT6_P12ihipStream_tbEUlT_E_NS1_11comp_targetILNS1_3genE0ELNS1_11target_archE4294967295ELNS1_3gpuE0ELNS1_3repE0EEENS1_30default_config_static_selectorELNS0_4arch9wavefront6targetE1EEEvSQ_,comdat
.Lfunc_end335:
	.size	_ZN7rocprim17ROCPRIM_400000_NS6detail17trampoline_kernelINS0_14default_configENS1_21merge_config_selectorIfNS0_10empty_typeEEEZNS1_10merge_implIS3_N6thrust23THRUST_200600_302600_NS6detail15normal_iteratorINS9_10device_ptrIKfEEEESF_NS9_16discard_iteratorINS9_11use_defaultEEEPS5_SJ_SJ_NS9_4lessIfEEEE10hipError_tPvRmT0_T1_T2_T3_T4_T5_mmT6_P12ihipStream_tbEUlT_E_NS1_11comp_targetILNS1_3genE0ELNS1_11target_archE4294967295ELNS1_3gpuE0ELNS1_3repE0EEENS1_30default_config_static_selectorELNS0_4arch9wavefront6targetE1EEEvSQ_, .Lfunc_end335-_ZN7rocprim17ROCPRIM_400000_NS6detail17trampoline_kernelINS0_14default_configENS1_21merge_config_selectorIfNS0_10empty_typeEEEZNS1_10merge_implIS3_N6thrust23THRUST_200600_302600_NS6detail15normal_iteratorINS9_10device_ptrIKfEEEESF_NS9_16discard_iteratorINS9_11use_defaultEEEPS5_SJ_SJ_NS9_4lessIfEEEE10hipError_tPvRmT0_T1_T2_T3_T4_T5_mmT6_P12ihipStream_tbEUlT_E_NS1_11comp_targetILNS1_3genE0ELNS1_11target_archE4294967295ELNS1_3gpuE0ELNS1_3repE0EEENS1_30default_config_static_selectorELNS0_4arch9wavefront6targetE1EEEvSQ_
                                        ; -- End function
	.section	.AMDGPU.csdata,"",@progbits
; Kernel info:
; codeLenInByte = 0
; NumSgprs: 4
; NumVgprs: 0
; NumAgprs: 0
; TotalNumVgprs: 0
; ScratchSize: 0
; MemoryBound: 0
; FloatMode: 240
; IeeeMode: 1
; LDSByteSize: 0 bytes/workgroup (compile time only)
; SGPRBlocks: 0
; VGPRBlocks: 0
; NumSGPRsForWavesPerEU: 4
; NumVGPRsForWavesPerEU: 1
; AccumOffset: 4
; Occupancy: 8
; WaveLimiterHint : 0
; COMPUTE_PGM_RSRC2:SCRATCH_EN: 0
; COMPUTE_PGM_RSRC2:USER_SGPR: 6
; COMPUTE_PGM_RSRC2:TRAP_HANDLER: 0
; COMPUTE_PGM_RSRC2:TGID_X_EN: 1
; COMPUTE_PGM_RSRC2:TGID_Y_EN: 0
; COMPUTE_PGM_RSRC2:TGID_Z_EN: 0
; COMPUTE_PGM_RSRC2:TIDIG_COMP_CNT: 0
; COMPUTE_PGM_RSRC3_GFX90A:ACCUM_OFFSET: 0
; COMPUTE_PGM_RSRC3_GFX90A:TG_SPLIT: 0
	.section	.text._ZN7rocprim17ROCPRIM_400000_NS6detail17trampoline_kernelINS0_14default_configENS1_21merge_config_selectorIfNS0_10empty_typeEEEZNS1_10merge_implIS3_N6thrust23THRUST_200600_302600_NS6detail15normal_iteratorINS9_10device_ptrIKfEEEESF_NS9_16discard_iteratorINS9_11use_defaultEEEPS5_SJ_SJ_NS9_4lessIfEEEE10hipError_tPvRmT0_T1_T2_T3_T4_T5_mmT6_P12ihipStream_tbEUlT_E_NS1_11comp_targetILNS1_3genE5ELNS1_11target_archE942ELNS1_3gpuE9ELNS1_3repE0EEENS1_30default_config_static_selectorELNS0_4arch9wavefront6targetE1EEEvSQ_,"axG",@progbits,_ZN7rocprim17ROCPRIM_400000_NS6detail17trampoline_kernelINS0_14default_configENS1_21merge_config_selectorIfNS0_10empty_typeEEEZNS1_10merge_implIS3_N6thrust23THRUST_200600_302600_NS6detail15normal_iteratorINS9_10device_ptrIKfEEEESF_NS9_16discard_iteratorINS9_11use_defaultEEEPS5_SJ_SJ_NS9_4lessIfEEEE10hipError_tPvRmT0_T1_T2_T3_T4_T5_mmT6_P12ihipStream_tbEUlT_E_NS1_11comp_targetILNS1_3genE5ELNS1_11target_archE942ELNS1_3gpuE9ELNS1_3repE0EEENS1_30default_config_static_selectorELNS0_4arch9wavefront6targetE1EEEvSQ_,comdat
	.protected	_ZN7rocprim17ROCPRIM_400000_NS6detail17trampoline_kernelINS0_14default_configENS1_21merge_config_selectorIfNS0_10empty_typeEEEZNS1_10merge_implIS3_N6thrust23THRUST_200600_302600_NS6detail15normal_iteratorINS9_10device_ptrIKfEEEESF_NS9_16discard_iteratorINS9_11use_defaultEEEPS5_SJ_SJ_NS9_4lessIfEEEE10hipError_tPvRmT0_T1_T2_T3_T4_T5_mmT6_P12ihipStream_tbEUlT_E_NS1_11comp_targetILNS1_3genE5ELNS1_11target_archE942ELNS1_3gpuE9ELNS1_3repE0EEENS1_30default_config_static_selectorELNS0_4arch9wavefront6targetE1EEEvSQ_ ; -- Begin function _ZN7rocprim17ROCPRIM_400000_NS6detail17trampoline_kernelINS0_14default_configENS1_21merge_config_selectorIfNS0_10empty_typeEEEZNS1_10merge_implIS3_N6thrust23THRUST_200600_302600_NS6detail15normal_iteratorINS9_10device_ptrIKfEEEESF_NS9_16discard_iteratorINS9_11use_defaultEEEPS5_SJ_SJ_NS9_4lessIfEEEE10hipError_tPvRmT0_T1_T2_T3_T4_T5_mmT6_P12ihipStream_tbEUlT_E_NS1_11comp_targetILNS1_3genE5ELNS1_11target_archE942ELNS1_3gpuE9ELNS1_3repE0EEENS1_30default_config_static_selectorELNS0_4arch9wavefront6targetE1EEEvSQ_
	.globl	_ZN7rocprim17ROCPRIM_400000_NS6detail17trampoline_kernelINS0_14default_configENS1_21merge_config_selectorIfNS0_10empty_typeEEEZNS1_10merge_implIS3_N6thrust23THRUST_200600_302600_NS6detail15normal_iteratorINS9_10device_ptrIKfEEEESF_NS9_16discard_iteratorINS9_11use_defaultEEEPS5_SJ_SJ_NS9_4lessIfEEEE10hipError_tPvRmT0_T1_T2_T3_T4_T5_mmT6_P12ihipStream_tbEUlT_E_NS1_11comp_targetILNS1_3genE5ELNS1_11target_archE942ELNS1_3gpuE9ELNS1_3repE0EEENS1_30default_config_static_selectorELNS0_4arch9wavefront6targetE1EEEvSQ_
	.p2align	8
	.type	_ZN7rocprim17ROCPRIM_400000_NS6detail17trampoline_kernelINS0_14default_configENS1_21merge_config_selectorIfNS0_10empty_typeEEEZNS1_10merge_implIS3_N6thrust23THRUST_200600_302600_NS6detail15normal_iteratorINS9_10device_ptrIKfEEEESF_NS9_16discard_iteratorINS9_11use_defaultEEEPS5_SJ_SJ_NS9_4lessIfEEEE10hipError_tPvRmT0_T1_T2_T3_T4_T5_mmT6_P12ihipStream_tbEUlT_E_NS1_11comp_targetILNS1_3genE5ELNS1_11target_archE942ELNS1_3gpuE9ELNS1_3repE0EEENS1_30default_config_static_selectorELNS0_4arch9wavefront6targetE1EEEvSQ_,@function
_ZN7rocprim17ROCPRIM_400000_NS6detail17trampoline_kernelINS0_14default_configENS1_21merge_config_selectorIfNS0_10empty_typeEEEZNS1_10merge_implIS3_N6thrust23THRUST_200600_302600_NS6detail15normal_iteratorINS9_10device_ptrIKfEEEESF_NS9_16discard_iteratorINS9_11use_defaultEEEPS5_SJ_SJ_NS9_4lessIfEEEE10hipError_tPvRmT0_T1_T2_T3_T4_T5_mmT6_P12ihipStream_tbEUlT_E_NS1_11comp_targetILNS1_3genE5ELNS1_11target_archE942ELNS1_3gpuE9ELNS1_3repE0EEENS1_30default_config_static_selectorELNS0_4arch9wavefront6targetE1EEEvSQ_: ; @_ZN7rocprim17ROCPRIM_400000_NS6detail17trampoline_kernelINS0_14default_configENS1_21merge_config_selectorIfNS0_10empty_typeEEEZNS1_10merge_implIS3_N6thrust23THRUST_200600_302600_NS6detail15normal_iteratorINS9_10device_ptrIKfEEEESF_NS9_16discard_iteratorINS9_11use_defaultEEEPS5_SJ_SJ_NS9_4lessIfEEEE10hipError_tPvRmT0_T1_T2_T3_T4_T5_mmT6_P12ihipStream_tbEUlT_E_NS1_11comp_targetILNS1_3genE5ELNS1_11target_archE942ELNS1_3gpuE9ELNS1_3repE0EEENS1_30default_config_static_selectorELNS0_4arch9wavefront6targetE1EEEvSQ_
; %bb.0:
	.section	.rodata,"a",@progbits
	.p2align	6, 0x0
	.amdhsa_kernel _ZN7rocprim17ROCPRIM_400000_NS6detail17trampoline_kernelINS0_14default_configENS1_21merge_config_selectorIfNS0_10empty_typeEEEZNS1_10merge_implIS3_N6thrust23THRUST_200600_302600_NS6detail15normal_iteratorINS9_10device_ptrIKfEEEESF_NS9_16discard_iteratorINS9_11use_defaultEEEPS5_SJ_SJ_NS9_4lessIfEEEE10hipError_tPvRmT0_T1_T2_T3_T4_T5_mmT6_P12ihipStream_tbEUlT_E_NS1_11comp_targetILNS1_3genE5ELNS1_11target_archE942ELNS1_3gpuE9ELNS1_3repE0EEENS1_30default_config_static_selectorELNS0_4arch9wavefront6targetE1EEEvSQ_
		.amdhsa_group_segment_fixed_size 0
		.amdhsa_private_segment_fixed_size 0
		.amdhsa_kernarg_size 48
		.amdhsa_user_sgpr_count 6
		.amdhsa_user_sgpr_private_segment_buffer 1
		.amdhsa_user_sgpr_dispatch_ptr 0
		.amdhsa_user_sgpr_queue_ptr 0
		.amdhsa_user_sgpr_kernarg_segment_ptr 1
		.amdhsa_user_sgpr_dispatch_id 0
		.amdhsa_user_sgpr_flat_scratch_init 0
		.amdhsa_user_sgpr_kernarg_preload_length 0
		.amdhsa_user_sgpr_kernarg_preload_offset 0
		.amdhsa_user_sgpr_private_segment_size 0
		.amdhsa_uses_dynamic_stack 0
		.amdhsa_system_sgpr_private_segment_wavefront_offset 0
		.amdhsa_system_sgpr_workgroup_id_x 1
		.amdhsa_system_sgpr_workgroup_id_y 0
		.amdhsa_system_sgpr_workgroup_id_z 0
		.amdhsa_system_sgpr_workgroup_info 0
		.amdhsa_system_vgpr_workitem_id 0
		.amdhsa_next_free_vgpr 1
		.amdhsa_next_free_sgpr 0
		.amdhsa_accum_offset 4
		.amdhsa_reserve_vcc 0
		.amdhsa_reserve_flat_scratch 0
		.amdhsa_float_round_mode_32 0
		.amdhsa_float_round_mode_16_64 0
		.amdhsa_float_denorm_mode_32 3
		.amdhsa_float_denorm_mode_16_64 3
		.amdhsa_dx10_clamp 1
		.amdhsa_ieee_mode 1
		.amdhsa_fp16_overflow 0
		.amdhsa_tg_split 0
		.amdhsa_exception_fp_ieee_invalid_op 0
		.amdhsa_exception_fp_denorm_src 0
		.amdhsa_exception_fp_ieee_div_zero 0
		.amdhsa_exception_fp_ieee_overflow 0
		.amdhsa_exception_fp_ieee_underflow 0
		.amdhsa_exception_fp_ieee_inexact 0
		.amdhsa_exception_int_div_zero 0
	.end_amdhsa_kernel
	.section	.text._ZN7rocprim17ROCPRIM_400000_NS6detail17trampoline_kernelINS0_14default_configENS1_21merge_config_selectorIfNS0_10empty_typeEEEZNS1_10merge_implIS3_N6thrust23THRUST_200600_302600_NS6detail15normal_iteratorINS9_10device_ptrIKfEEEESF_NS9_16discard_iteratorINS9_11use_defaultEEEPS5_SJ_SJ_NS9_4lessIfEEEE10hipError_tPvRmT0_T1_T2_T3_T4_T5_mmT6_P12ihipStream_tbEUlT_E_NS1_11comp_targetILNS1_3genE5ELNS1_11target_archE942ELNS1_3gpuE9ELNS1_3repE0EEENS1_30default_config_static_selectorELNS0_4arch9wavefront6targetE1EEEvSQ_,"axG",@progbits,_ZN7rocprim17ROCPRIM_400000_NS6detail17trampoline_kernelINS0_14default_configENS1_21merge_config_selectorIfNS0_10empty_typeEEEZNS1_10merge_implIS3_N6thrust23THRUST_200600_302600_NS6detail15normal_iteratorINS9_10device_ptrIKfEEEESF_NS9_16discard_iteratorINS9_11use_defaultEEEPS5_SJ_SJ_NS9_4lessIfEEEE10hipError_tPvRmT0_T1_T2_T3_T4_T5_mmT6_P12ihipStream_tbEUlT_E_NS1_11comp_targetILNS1_3genE5ELNS1_11target_archE942ELNS1_3gpuE9ELNS1_3repE0EEENS1_30default_config_static_selectorELNS0_4arch9wavefront6targetE1EEEvSQ_,comdat
.Lfunc_end336:
	.size	_ZN7rocprim17ROCPRIM_400000_NS6detail17trampoline_kernelINS0_14default_configENS1_21merge_config_selectorIfNS0_10empty_typeEEEZNS1_10merge_implIS3_N6thrust23THRUST_200600_302600_NS6detail15normal_iteratorINS9_10device_ptrIKfEEEESF_NS9_16discard_iteratorINS9_11use_defaultEEEPS5_SJ_SJ_NS9_4lessIfEEEE10hipError_tPvRmT0_T1_T2_T3_T4_T5_mmT6_P12ihipStream_tbEUlT_E_NS1_11comp_targetILNS1_3genE5ELNS1_11target_archE942ELNS1_3gpuE9ELNS1_3repE0EEENS1_30default_config_static_selectorELNS0_4arch9wavefront6targetE1EEEvSQ_, .Lfunc_end336-_ZN7rocprim17ROCPRIM_400000_NS6detail17trampoline_kernelINS0_14default_configENS1_21merge_config_selectorIfNS0_10empty_typeEEEZNS1_10merge_implIS3_N6thrust23THRUST_200600_302600_NS6detail15normal_iteratorINS9_10device_ptrIKfEEEESF_NS9_16discard_iteratorINS9_11use_defaultEEEPS5_SJ_SJ_NS9_4lessIfEEEE10hipError_tPvRmT0_T1_T2_T3_T4_T5_mmT6_P12ihipStream_tbEUlT_E_NS1_11comp_targetILNS1_3genE5ELNS1_11target_archE942ELNS1_3gpuE9ELNS1_3repE0EEENS1_30default_config_static_selectorELNS0_4arch9wavefront6targetE1EEEvSQ_
                                        ; -- End function
	.section	.AMDGPU.csdata,"",@progbits
; Kernel info:
; codeLenInByte = 0
; NumSgprs: 4
; NumVgprs: 0
; NumAgprs: 0
; TotalNumVgprs: 0
; ScratchSize: 0
; MemoryBound: 0
; FloatMode: 240
; IeeeMode: 1
; LDSByteSize: 0 bytes/workgroup (compile time only)
; SGPRBlocks: 0
; VGPRBlocks: 0
; NumSGPRsForWavesPerEU: 4
; NumVGPRsForWavesPerEU: 1
; AccumOffset: 4
; Occupancy: 8
; WaveLimiterHint : 0
; COMPUTE_PGM_RSRC2:SCRATCH_EN: 0
; COMPUTE_PGM_RSRC2:USER_SGPR: 6
; COMPUTE_PGM_RSRC2:TRAP_HANDLER: 0
; COMPUTE_PGM_RSRC2:TGID_X_EN: 1
; COMPUTE_PGM_RSRC2:TGID_Y_EN: 0
; COMPUTE_PGM_RSRC2:TGID_Z_EN: 0
; COMPUTE_PGM_RSRC2:TIDIG_COMP_CNT: 0
; COMPUTE_PGM_RSRC3_GFX90A:ACCUM_OFFSET: 0
; COMPUTE_PGM_RSRC3_GFX90A:TG_SPLIT: 0
	.section	.text._ZN7rocprim17ROCPRIM_400000_NS6detail17trampoline_kernelINS0_14default_configENS1_21merge_config_selectorIfNS0_10empty_typeEEEZNS1_10merge_implIS3_N6thrust23THRUST_200600_302600_NS6detail15normal_iteratorINS9_10device_ptrIKfEEEESF_NS9_16discard_iteratorINS9_11use_defaultEEEPS5_SJ_SJ_NS9_4lessIfEEEE10hipError_tPvRmT0_T1_T2_T3_T4_T5_mmT6_P12ihipStream_tbEUlT_E_NS1_11comp_targetILNS1_3genE4ELNS1_11target_archE910ELNS1_3gpuE8ELNS1_3repE0EEENS1_30default_config_static_selectorELNS0_4arch9wavefront6targetE1EEEvSQ_,"axG",@progbits,_ZN7rocprim17ROCPRIM_400000_NS6detail17trampoline_kernelINS0_14default_configENS1_21merge_config_selectorIfNS0_10empty_typeEEEZNS1_10merge_implIS3_N6thrust23THRUST_200600_302600_NS6detail15normal_iteratorINS9_10device_ptrIKfEEEESF_NS9_16discard_iteratorINS9_11use_defaultEEEPS5_SJ_SJ_NS9_4lessIfEEEE10hipError_tPvRmT0_T1_T2_T3_T4_T5_mmT6_P12ihipStream_tbEUlT_E_NS1_11comp_targetILNS1_3genE4ELNS1_11target_archE910ELNS1_3gpuE8ELNS1_3repE0EEENS1_30default_config_static_selectorELNS0_4arch9wavefront6targetE1EEEvSQ_,comdat
	.protected	_ZN7rocprim17ROCPRIM_400000_NS6detail17trampoline_kernelINS0_14default_configENS1_21merge_config_selectorIfNS0_10empty_typeEEEZNS1_10merge_implIS3_N6thrust23THRUST_200600_302600_NS6detail15normal_iteratorINS9_10device_ptrIKfEEEESF_NS9_16discard_iteratorINS9_11use_defaultEEEPS5_SJ_SJ_NS9_4lessIfEEEE10hipError_tPvRmT0_T1_T2_T3_T4_T5_mmT6_P12ihipStream_tbEUlT_E_NS1_11comp_targetILNS1_3genE4ELNS1_11target_archE910ELNS1_3gpuE8ELNS1_3repE0EEENS1_30default_config_static_selectorELNS0_4arch9wavefront6targetE1EEEvSQ_ ; -- Begin function _ZN7rocprim17ROCPRIM_400000_NS6detail17trampoline_kernelINS0_14default_configENS1_21merge_config_selectorIfNS0_10empty_typeEEEZNS1_10merge_implIS3_N6thrust23THRUST_200600_302600_NS6detail15normal_iteratorINS9_10device_ptrIKfEEEESF_NS9_16discard_iteratorINS9_11use_defaultEEEPS5_SJ_SJ_NS9_4lessIfEEEE10hipError_tPvRmT0_T1_T2_T3_T4_T5_mmT6_P12ihipStream_tbEUlT_E_NS1_11comp_targetILNS1_3genE4ELNS1_11target_archE910ELNS1_3gpuE8ELNS1_3repE0EEENS1_30default_config_static_selectorELNS0_4arch9wavefront6targetE1EEEvSQ_
	.globl	_ZN7rocprim17ROCPRIM_400000_NS6detail17trampoline_kernelINS0_14default_configENS1_21merge_config_selectorIfNS0_10empty_typeEEEZNS1_10merge_implIS3_N6thrust23THRUST_200600_302600_NS6detail15normal_iteratorINS9_10device_ptrIKfEEEESF_NS9_16discard_iteratorINS9_11use_defaultEEEPS5_SJ_SJ_NS9_4lessIfEEEE10hipError_tPvRmT0_T1_T2_T3_T4_T5_mmT6_P12ihipStream_tbEUlT_E_NS1_11comp_targetILNS1_3genE4ELNS1_11target_archE910ELNS1_3gpuE8ELNS1_3repE0EEENS1_30default_config_static_selectorELNS0_4arch9wavefront6targetE1EEEvSQ_
	.p2align	8
	.type	_ZN7rocprim17ROCPRIM_400000_NS6detail17trampoline_kernelINS0_14default_configENS1_21merge_config_selectorIfNS0_10empty_typeEEEZNS1_10merge_implIS3_N6thrust23THRUST_200600_302600_NS6detail15normal_iteratorINS9_10device_ptrIKfEEEESF_NS9_16discard_iteratorINS9_11use_defaultEEEPS5_SJ_SJ_NS9_4lessIfEEEE10hipError_tPvRmT0_T1_T2_T3_T4_T5_mmT6_P12ihipStream_tbEUlT_E_NS1_11comp_targetILNS1_3genE4ELNS1_11target_archE910ELNS1_3gpuE8ELNS1_3repE0EEENS1_30default_config_static_selectorELNS0_4arch9wavefront6targetE1EEEvSQ_,@function
_ZN7rocprim17ROCPRIM_400000_NS6detail17trampoline_kernelINS0_14default_configENS1_21merge_config_selectorIfNS0_10empty_typeEEEZNS1_10merge_implIS3_N6thrust23THRUST_200600_302600_NS6detail15normal_iteratorINS9_10device_ptrIKfEEEESF_NS9_16discard_iteratorINS9_11use_defaultEEEPS5_SJ_SJ_NS9_4lessIfEEEE10hipError_tPvRmT0_T1_T2_T3_T4_T5_mmT6_P12ihipStream_tbEUlT_E_NS1_11comp_targetILNS1_3genE4ELNS1_11target_archE910ELNS1_3gpuE8ELNS1_3repE0EEENS1_30default_config_static_selectorELNS0_4arch9wavefront6targetE1EEEvSQ_: ; @_ZN7rocprim17ROCPRIM_400000_NS6detail17trampoline_kernelINS0_14default_configENS1_21merge_config_selectorIfNS0_10empty_typeEEEZNS1_10merge_implIS3_N6thrust23THRUST_200600_302600_NS6detail15normal_iteratorINS9_10device_ptrIKfEEEESF_NS9_16discard_iteratorINS9_11use_defaultEEEPS5_SJ_SJ_NS9_4lessIfEEEE10hipError_tPvRmT0_T1_T2_T3_T4_T5_mmT6_P12ihipStream_tbEUlT_E_NS1_11comp_targetILNS1_3genE4ELNS1_11target_archE910ELNS1_3gpuE8ELNS1_3repE0EEENS1_30default_config_static_selectorELNS0_4arch9wavefront6targetE1EEEvSQ_
; %bb.0:
	s_load_dword s7, s[4:5], 0x28
	s_load_dword s0, s[4:5], 0x3c
	s_load_dwordx4 s[8:11], s[4:5], 0x18
	s_waitcnt lgkmcnt(0)
	v_cvt_f32_u32_e32 v1, s7
	s_and_b32 s0, s0, 0xffff
	s_add_u32 s12, s10, s8
	s_addc_u32 s13, s11, s9
	v_rcp_iflag_f32_e32 v1, v1
	s_sub_i32 s1, 0, s7
	s_mul_i32 s6, s6, s0
	s_add_i32 s0, s7, s12
	v_mul_f32_e32 v1, 0x4f7ffffe, v1
	v_cvt_u32_f32_e32 v1, v1
	s_add_i32 s0, s0, -1
	v_add_u32_e32 v0, s6, v0
	v_readfirstlane_b32 s2, v1
	s_mul_i32 s1, s1, s2
	s_mul_hi_u32 s1, s2, s1
	s_add_i32 s2, s2, s1
	s_mul_hi_u32 s1, s0, s2
	s_mul_i32 s2, s1, s7
	s_sub_i32 s0, s0, s2
	s_add_i32 s3, s1, 1
	s_sub_i32 s2, s0, s7
	s_cmp_ge_u32 s0, s7
	s_cselect_b32 s1, s3, s1
	s_cselect_b32 s0, s2, s0
	s_add_i32 s2, s1, 1
	s_cmp_ge_u32 s0, s7
	s_cselect_b32 s0, s2, s1
	v_cmp_ge_u32_e32 vcc, s0, v0
	s_and_saveexec_b64 s[0:1], vcc
	s_cbranch_execz .LBB337_6
; %bb.1:
	v_mul_lo_u32 v2, v0, s7
	v_mov_b32_e32 v3, 0
	v_mov_b32_e32 v1, s13
	v_cmp_gt_u64_e32 vcc, s[12:13], v[2:3]
	v_cndmask_b32_e64 v7, v1, 0, vcc
	v_mov_b32_e32 v1, s12
	v_cndmask_b32_e32 v6, v1, v2, vcc
	v_mov_b32_e32 v1, s11
	v_subrev_co_u32_e32 v2, vcc, s10, v6
	v_subb_co_u32_e32 v3, vcc, v7, v1, vcc
	s_load_dwordx4 s[0:3], s[4:5], 0x0
	v_cmp_gt_u64_e32 vcc, v[2:3], v[6:7]
	v_cndmask_b32_e64 v3, v3, 0, vcc
	v_cndmask_b32_e64 v2, v2, 0, vcc
	v_mov_b32_e32 v1, s9
	v_cmp_gt_u64_e32 vcc, s[8:9], v[6:7]
	v_cndmask_b32_e32 v5, v1, v7, vcc
	v_mov_b32_e32 v1, s8
	v_cndmask_b32_e32 v4, v1, v6, vcc
	v_cmp_lt_u64_e32 vcc, v[2:3], v[4:5]
	s_and_saveexec_b64 s[6:7], vcc
	s_cbranch_execz .LBB337_5
; %bb.2:
	s_load_dwordx2 s[4:5], s[4:5], 0x10
	v_lshlrev_b64 v[6:7], 2, v[6:7]
	s_waitcnt lgkmcnt(0)
	v_mov_b32_e32 v8, s5
	v_add_co_u32_e32 v1, vcc, s4, v6
	v_addc_co_u32_e32 v6, vcc, v8, v7, vcc
	s_mov_b64 s[4:5], 0
	v_mov_b32_e32 v7, s3
.LBB337_3:                              ; =>This Inner Loop Header: Depth=1
	v_add_co_u32_e32 v8, vcc, v4, v2
	v_addc_co_u32_e32 v9, vcc, v5, v3, vcc
	v_lshrrev_b64 v[8:9], 1, v[8:9]
	v_lshlrev_b64 v[12:13], 2, v[8:9]
	v_not_b32_e32 v11, v9
	v_not_b32_e32 v10, v8
	v_add_co_u32_e32 v12, vcc, s2, v12
	v_addc_co_u32_e32 v13, vcc, v7, v13, vcc
	v_lshlrev_b64 v[10:11], 2, v[10:11]
	v_add_co_u32_e32 v10, vcc, v1, v10
	v_addc_co_u32_e32 v11, vcc, v6, v11, vcc
	global_load_dword v12, v[12:13], off
	s_nop 0
	global_load_dword v10, v[10:11], off
	v_add_co_u32_e32 v11, vcc, 1, v8
	v_addc_co_u32_e32 v13, vcc, 0, v9, vcc
	s_waitcnt vmcnt(0)
	v_cmp_lt_f32_e32 vcc, v10, v12
	v_cndmask_b32_e32 v5, v5, v9, vcc
	v_cndmask_b32_e32 v4, v4, v8, vcc
	v_cndmask_b32_e32 v3, v13, v3, vcc
	v_cndmask_b32_e32 v2, v11, v2, vcc
	v_cmp_ge_u64_e32 vcc, v[2:3], v[4:5]
	s_or_b64 s[4:5], vcc, s[4:5]
	s_andn2_b64 exec, exec, s[4:5]
	s_cbranch_execnz .LBB337_3
; %bb.4:
	s_or_b64 exec, exec, s[4:5]
.LBB337_5:
	s_or_b64 exec, exec, s[6:7]
	v_mov_b32_e32 v1, 0
	v_lshlrev_b64 v[0:1], 2, v[0:1]
	s_waitcnt lgkmcnt(0)
	v_mov_b32_e32 v3, s1
	v_add_co_u32_e32 v0, vcc, s0, v0
	v_addc_co_u32_e32 v1, vcc, v3, v1, vcc
	global_store_dword v[0:1], v2, off
.LBB337_6:
	s_endpgm
	.section	.rodata,"a",@progbits
	.p2align	6, 0x0
	.amdhsa_kernel _ZN7rocprim17ROCPRIM_400000_NS6detail17trampoline_kernelINS0_14default_configENS1_21merge_config_selectorIfNS0_10empty_typeEEEZNS1_10merge_implIS3_N6thrust23THRUST_200600_302600_NS6detail15normal_iteratorINS9_10device_ptrIKfEEEESF_NS9_16discard_iteratorINS9_11use_defaultEEEPS5_SJ_SJ_NS9_4lessIfEEEE10hipError_tPvRmT0_T1_T2_T3_T4_T5_mmT6_P12ihipStream_tbEUlT_E_NS1_11comp_targetILNS1_3genE4ELNS1_11target_archE910ELNS1_3gpuE8ELNS1_3repE0EEENS1_30default_config_static_selectorELNS0_4arch9wavefront6targetE1EEEvSQ_
		.amdhsa_group_segment_fixed_size 0
		.amdhsa_private_segment_fixed_size 0
		.amdhsa_kernarg_size 304
		.amdhsa_user_sgpr_count 6
		.amdhsa_user_sgpr_private_segment_buffer 1
		.amdhsa_user_sgpr_dispatch_ptr 0
		.amdhsa_user_sgpr_queue_ptr 0
		.amdhsa_user_sgpr_kernarg_segment_ptr 1
		.amdhsa_user_sgpr_dispatch_id 0
		.amdhsa_user_sgpr_flat_scratch_init 0
		.amdhsa_user_sgpr_kernarg_preload_length 0
		.amdhsa_user_sgpr_kernarg_preload_offset 0
		.amdhsa_user_sgpr_private_segment_size 0
		.amdhsa_uses_dynamic_stack 0
		.amdhsa_system_sgpr_private_segment_wavefront_offset 0
		.amdhsa_system_sgpr_workgroup_id_x 1
		.amdhsa_system_sgpr_workgroup_id_y 0
		.amdhsa_system_sgpr_workgroup_id_z 0
		.amdhsa_system_sgpr_workgroup_info 0
		.amdhsa_system_vgpr_workitem_id 0
		.amdhsa_next_free_vgpr 14
		.amdhsa_next_free_sgpr 14
		.amdhsa_accum_offset 16
		.amdhsa_reserve_vcc 1
		.amdhsa_reserve_flat_scratch 0
		.amdhsa_float_round_mode_32 0
		.amdhsa_float_round_mode_16_64 0
		.amdhsa_float_denorm_mode_32 3
		.amdhsa_float_denorm_mode_16_64 3
		.amdhsa_dx10_clamp 1
		.amdhsa_ieee_mode 1
		.amdhsa_fp16_overflow 0
		.amdhsa_tg_split 0
		.amdhsa_exception_fp_ieee_invalid_op 0
		.amdhsa_exception_fp_denorm_src 0
		.amdhsa_exception_fp_ieee_div_zero 0
		.amdhsa_exception_fp_ieee_overflow 0
		.amdhsa_exception_fp_ieee_underflow 0
		.amdhsa_exception_fp_ieee_inexact 0
		.amdhsa_exception_int_div_zero 0
	.end_amdhsa_kernel
	.section	.text._ZN7rocprim17ROCPRIM_400000_NS6detail17trampoline_kernelINS0_14default_configENS1_21merge_config_selectorIfNS0_10empty_typeEEEZNS1_10merge_implIS3_N6thrust23THRUST_200600_302600_NS6detail15normal_iteratorINS9_10device_ptrIKfEEEESF_NS9_16discard_iteratorINS9_11use_defaultEEEPS5_SJ_SJ_NS9_4lessIfEEEE10hipError_tPvRmT0_T1_T2_T3_T4_T5_mmT6_P12ihipStream_tbEUlT_E_NS1_11comp_targetILNS1_3genE4ELNS1_11target_archE910ELNS1_3gpuE8ELNS1_3repE0EEENS1_30default_config_static_selectorELNS0_4arch9wavefront6targetE1EEEvSQ_,"axG",@progbits,_ZN7rocprim17ROCPRIM_400000_NS6detail17trampoline_kernelINS0_14default_configENS1_21merge_config_selectorIfNS0_10empty_typeEEEZNS1_10merge_implIS3_N6thrust23THRUST_200600_302600_NS6detail15normal_iteratorINS9_10device_ptrIKfEEEESF_NS9_16discard_iteratorINS9_11use_defaultEEEPS5_SJ_SJ_NS9_4lessIfEEEE10hipError_tPvRmT0_T1_T2_T3_T4_T5_mmT6_P12ihipStream_tbEUlT_E_NS1_11comp_targetILNS1_3genE4ELNS1_11target_archE910ELNS1_3gpuE8ELNS1_3repE0EEENS1_30default_config_static_selectorELNS0_4arch9wavefront6targetE1EEEvSQ_,comdat
.Lfunc_end337:
	.size	_ZN7rocprim17ROCPRIM_400000_NS6detail17trampoline_kernelINS0_14default_configENS1_21merge_config_selectorIfNS0_10empty_typeEEEZNS1_10merge_implIS3_N6thrust23THRUST_200600_302600_NS6detail15normal_iteratorINS9_10device_ptrIKfEEEESF_NS9_16discard_iteratorINS9_11use_defaultEEEPS5_SJ_SJ_NS9_4lessIfEEEE10hipError_tPvRmT0_T1_T2_T3_T4_T5_mmT6_P12ihipStream_tbEUlT_E_NS1_11comp_targetILNS1_3genE4ELNS1_11target_archE910ELNS1_3gpuE8ELNS1_3repE0EEENS1_30default_config_static_selectorELNS0_4arch9wavefront6targetE1EEEvSQ_, .Lfunc_end337-_ZN7rocprim17ROCPRIM_400000_NS6detail17trampoline_kernelINS0_14default_configENS1_21merge_config_selectorIfNS0_10empty_typeEEEZNS1_10merge_implIS3_N6thrust23THRUST_200600_302600_NS6detail15normal_iteratorINS9_10device_ptrIKfEEEESF_NS9_16discard_iteratorINS9_11use_defaultEEEPS5_SJ_SJ_NS9_4lessIfEEEE10hipError_tPvRmT0_T1_T2_T3_T4_T5_mmT6_P12ihipStream_tbEUlT_E_NS1_11comp_targetILNS1_3genE4ELNS1_11target_archE910ELNS1_3gpuE8ELNS1_3repE0EEENS1_30default_config_static_selectorELNS0_4arch9wavefront6targetE1EEEvSQ_
                                        ; -- End function
	.section	.AMDGPU.csdata,"",@progbits
; Kernel info:
; codeLenInByte = 476
; NumSgprs: 18
; NumVgprs: 14
; NumAgprs: 0
; TotalNumVgprs: 14
; ScratchSize: 0
; MemoryBound: 0
; FloatMode: 240
; IeeeMode: 1
; LDSByteSize: 0 bytes/workgroup (compile time only)
; SGPRBlocks: 2
; VGPRBlocks: 1
; NumSGPRsForWavesPerEU: 18
; NumVGPRsForWavesPerEU: 14
; AccumOffset: 16
; Occupancy: 8
; WaveLimiterHint : 0
; COMPUTE_PGM_RSRC2:SCRATCH_EN: 0
; COMPUTE_PGM_RSRC2:USER_SGPR: 6
; COMPUTE_PGM_RSRC2:TRAP_HANDLER: 0
; COMPUTE_PGM_RSRC2:TGID_X_EN: 1
; COMPUTE_PGM_RSRC2:TGID_Y_EN: 0
; COMPUTE_PGM_RSRC2:TGID_Z_EN: 0
; COMPUTE_PGM_RSRC2:TIDIG_COMP_CNT: 0
; COMPUTE_PGM_RSRC3_GFX90A:ACCUM_OFFSET: 3
; COMPUTE_PGM_RSRC3_GFX90A:TG_SPLIT: 0
	.section	.text._ZN7rocprim17ROCPRIM_400000_NS6detail17trampoline_kernelINS0_14default_configENS1_21merge_config_selectorIfNS0_10empty_typeEEEZNS1_10merge_implIS3_N6thrust23THRUST_200600_302600_NS6detail15normal_iteratorINS9_10device_ptrIKfEEEESF_NS9_16discard_iteratorINS9_11use_defaultEEEPS5_SJ_SJ_NS9_4lessIfEEEE10hipError_tPvRmT0_T1_T2_T3_T4_T5_mmT6_P12ihipStream_tbEUlT_E_NS1_11comp_targetILNS1_3genE3ELNS1_11target_archE908ELNS1_3gpuE7ELNS1_3repE0EEENS1_30default_config_static_selectorELNS0_4arch9wavefront6targetE1EEEvSQ_,"axG",@progbits,_ZN7rocprim17ROCPRIM_400000_NS6detail17trampoline_kernelINS0_14default_configENS1_21merge_config_selectorIfNS0_10empty_typeEEEZNS1_10merge_implIS3_N6thrust23THRUST_200600_302600_NS6detail15normal_iteratorINS9_10device_ptrIKfEEEESF_NS9_16discard_iteratorINS9_11use_defaultEEEPS5_SJ_SJ_NS9_4lessIfEEEE10hipError_tPvRmT0_T1_T2_T3_T4_T5_mmT6_P12ihipStream_tbEUlT_E_NS1_11comp_targetILNS1_3genE3ELNS1_11target_archE908ELNS1_3gpuE7ELNS1_3repE0EEENS1_30default_config_static_selectorELNS0_4arch9wavefront6targetE1EEEvSQ_,comdat
	.protected	_ZN7rocprim17ROCPRIM_400000_NS6detail17trampoline_kernelINS0_14default_configENS1_21merge_config_selectorIfNS0_10empty_typeEEEZNS1_10merge_implIS3_N6thrust23THRUST_200600_302600_NS6detail15normal_iteratorINS9_10device_ptrIKfEEEESF_NS9_16discard_iteratorINS9_11use_defaultEEEPS5_SJ_SJ_NS9_4lessIfEEEE10hipError_tPvRmT0_T1_T2_T3_T4_T5_mmT6_P12ihipStream_tbEUlT_E_NS1_11comp_targetILNS1_3genE3ELNS1_11target_archE908ELNS1_3gpuE7ELNS1_3repE0EEENS1_30default_config_static_selectorELNS0_4arch9wavefront6targetE1EEEvSQ_ ; -- Begin function _ZN7rocprim17ROCPRIM_400000_NS6detail17trampoline_kernelINS0_14default_configENS1_21merge_config_selectorIfNS0_10empty_typeEEEZNS1_10merge_implIS3_N6thrust23THRUST_200600_302600_NS6detail15normal_iteratorINS9_10device_ptrIKfEEEESF_NS9_16discard_iteratorINS9_11use_defaultEEEPS5_SJ_SJ_NS9_4lessIfEEEE10hipError_tPvRmT0_T1_T2_T3_T4_T5_mmT6_P12ihipStream_tbEUlT_E_NS1_11comp_targetILNS1_3genE3ELNS1_11target_archE908ELNS1_3gpuE7ELNS1_3repE0EEENS1_30default_config_static_selectorELNS0_4arch9wavefront6targetE1EEEvSQ_
	.globl	_ZN7rocprim17ROCPRIM_400000_NS6detail17trampoline_kernelINS0_14default_configENS1_21merge_config_selectorIfNS0_10empty_typeEEEZNS1_10merge_implIS3_N6thrust23THRUST_200600_302600_NS6detail15normal_iteratorINS9_10device_ptrIKfEEEESF_NS9_16discard_iteratorINS9_11use_defaultEEEPS5_SJ_SJ_NS9_4lessIfEEEE10hipError_tPvRmT0_T1_T2_T3_T4_T5_mmT6_P12ihipStream_tbEUlT_E_NS1_11comp_targetILNS1_3genE3ELNS1_11target_archE908ELNS1_3gpuE7ELNS1_3repE0EEENS1_30default_config_static_selectorELNS0_4arch9wavefront6targetE1EEEvSQ_
	.p2align	8
	.type	_ZN7rocprim17ROCPRIM_400000_NS6detail17trampoline_kernelINS0_14default_configENS1_21merge_config_selectorIfNS0_10empty_typeEEEZNS1_10merge_implIS3_N6thrust23THRUST_200600_302600_NS6detail15normal_iteratorINS9_10device_ptrIKfEEEESF_NS9_16discard_iteratorINS9_11use_defaultEEEPS5_SJ_SJ_NS9_4lessIfEEEE10hipError_tPvRmT0_T1_T2_T3_T4_T5_mmT6_P12ihipStream_tbEUlT_E_NS1_11comp_targetILNS1_3genE3ELNS1_11target_archE908ELNS1_3gpuE7ELNS1_3repE0EEENS1_30default_config_static_selectorELNS0_4arch9wavefront6targetE1EEEvSQ_,@function
_ZN7rocprim17ROCPRIM_400000_NS6detail17trampoline_kernelINS0_14default_configENS1_21merge_config_selectorIfNS0_10empty_typeEEEZNS1_10merge_implIS3_N6thrust23THRUST_200600_302600_NS6detail15normal_iteratorINS9_10device_ptrIKfEEEESF_NS9_16discard_iteratorINS9_11use_defaultEEEPS5_SJ_SJ_NS9_4lessIfEEEE10hipError_tPvRmT0_T1_T2_T3_T4_T5_mmT6_P12ihipStream_tbEUlT_E_NS1_11comp_targetILNS1_3genE3ELNS1_11target_archE908ELNS1_3gpuE7ELNS1_3repE0EEENS1_30default_config_static_selectorELNS0_4arch9wavefront6targetE1EEEvSQ_: ; @_ZN7rocprim17ROCPRIM_400000_NS6detail17trampoline_kernelINS0_14default_configENS1_21merge_config_selectorIfNS0_10empty_typeEEEZNS1_10merge_implIS3_N6thrust23THRUST_200600_302600_NS6detail15normal_iteratorINS9_10device_ptrIKfEEEESF_NS9_16discard_iteratorINS9_11use_defaultEEEPS5_SJ_SJ_NS9_4lessIfEEEE10hipError_tPvRmT0_T1_T2_T3_T4_T5_mmT6_P12ihipStream_tbEUlT_E_NS1_11comp_targetILNS1_3genE3ELNS1_11target_archE908ELNS1_3gpuE7ELNS1_3repE0EEENS1_30default_config_static_selectorELNS0_4arch9wavefront6targetE1EEEvSQ_
; %bb.0:
	.section	.rodata,"a",@progbits
	.p2align	6, 0x0
	.amdhsa_kernel _ZN7rocprim17ROCPRIM_400000_NS6detail17trampoline_kernelINS0_14default_configENS1_21merge_config_selectorIfNS0_10empty_typeEEEZNS1_10merge_implIS3_N6thrust23THRUST_200600_302600_NS6detail15normal_iteratorINS9_10device_ptrIKfEEEESF_NS9_16discard_iteratorINS9_11use_defaultEEEPS5_SJ_SJ_NS9_4lessIfEEEE10hipError_tPvRmT0_T1_T2_T3_T4_T5_mmT6_P12ihipStream_tbEUlT_E_NS1_11comp_targetILNS1_3genE3ELNS1_11target_archE908ELNS1_3gpuE7ELNS1_3repE0EEENS1_30default_config_static_selectorELNS0_4arch9wavefront6targetE1EEEvSQ_
		.amdhsa_group_segment_fixed_size 0
		.amdhsa_private_segment_fixed_size 0
		.amdhsa_kernarg_size 48
		.amdhsa_user_sgpr_count 6
		.amdhsa_user_sgpr_private_segment_buffer 1
		.amdhsa_user_sgpr_dispatch_ptr 0
		.amdhsa_user_sgpr_queue_ptr 0
		.amdhsa_user_sgpr_kernarg_segment_ptr 1
		.amdhsa_user_sgpr_dispatch_id 0
		.amdhsa_user_sgpr_flat_scratch_init 0
		.amdhsa_user_sgpr_kernarg_preload_length 0
		.amdhsa_user_sgpr_kernarg_preload_offset 0
		.amdhsa_user_sgpr_private_segment_size 0
		.amdhsa_uses_dynamic_stack 0
		.amdhsa_system_sgpr_private_segment_wavefront_offset 0
		.amdhsa_system_sgpr_workgroup_id_x 1
		.amdhsa_system_sgpr_workgroup_id_y 0
		.amdhsa_system_sgpr_workgroup_id_z 0
		.amdhsa_system_sgpr_workgroup_info 0
		.amdhsa_system_vgpr_workitem_id 0
		.amdhsa_next_free_vgpr 1
		.amdhsa_next_free_sgpr 0
		.amdhsa_accum_offset 4
		.amdhsa_reserve_vcc 0
		.amdhsa_reserve_flat_scratch 0
		.amdhsa_float_round_mode_32 0
		.amdhsa_float_round_mode_16_64 0
		.amdhsa_float_denorm_mode_32 3
		.amdhsa_float_denorm_mode_16_64 3
		.amdhsa_dx10_clamp 1
		.amdhsa_ieee_mode 1
		.amdhsa_fp16_overflow 0
		.amdhsa_tg_split 0
		.amdhsa_exception_fp_ieee_invalid_op 0
		.amdhsa_exception_fp_denorm_src 0
		.amdhsa_exception_fp_ieee_div_zero 0
		.amdhsa_exception_fp_ieee_overflow 0
		.amdhsa_exception_fp_ieee_underflow 0
		.amdhsa_exception_fp_ieee_inexact 0
		.amdhsa_exception_int_div_zero 0
	.end_amdhsa_kernel
	.section	.text._ZN7rocprim17ROCPRIM_400000_NS6detail17trampoline_kernelINS0_14default_configENS1_21merge_config_selectorIfNS0_10empty_typeEEEZNS1_10merge_implIS3_N6thrust23THRUST_200600_302600_NS6detail15normal_iteratorINS9_10device_ptrIKfEEEESF_NS9_16discard_iteratorINS9_11use_defaultEEEPS5_SJ_SJ_NS9_4lessIfEEEE10hipError_tPvRmT0_T1_T2_T3_T4_T5_mmT6_P12ihipStream_tbEUlT_E_NS1_11comp_targetILNS1_3genE3ELNS1_11target_archE908ELNS1_3gpuE7ELNS1_3repE0EEENS1_30default_config_static_selectorELNS0_4arch9wavefront6targetE1EEEvSQ_,"axG",@progbits,_ZN7rocprim17ROCPRIM_400000_NS6detail17trampoline_kernelINS0_14default_configENS1_21merge_config_selectorIfNS0_10empty_typeEEEZNS1_10merge_implIS3_N6thrust23THRUST_200600_302600_NS6detail15normal_iteratorINS9_10device_ptrIKfEEEESF_NS9_16discard_iteratorINS9_11use_defaultEEEPS5_SJ_SJ_NS9_4lessIfEEEE10hipError_tPvRmT0_T1_T2_T3_T4_T5_mmT6_P12ihipStream_tbEUlT_E_NS1_11comp_targetILNS1_3genE3ELNS1_11target_archE908ELNS1_3gpuE7ELNS1_3repE0EEENS1_30default_config_static_selectorELNS0_4arch9wavefront6targetE1EEEvSQ_,comdat
.Lfunc_end338:
	.size	_ZN7rocprim17ROCPRIM_400000_NS6detail17trampoline_kernelINS0_14default_configENS1_21merge_config_selectorIfNS0_10empty_typeEEEZNS1_10merge_implIS3_N6thrust23THRUST_200600_302600_NS6detail15normal_iteratorINS9_10device_ptrIKfEEEESF_NS9_16discard_iteratorINS9_11use_defaultEEEPS5_SJ_SJ_NS9_4lessIfEEEE10hipError_tPvRmT0_T1_T2_T3_T4_T5_mmT6_P12ihipStream_tbEUlT_E_NS1_11comp_targetILNS1_3genE3ELNS1_11target_archE908ELNS1_3gpuE7ELNS1_3repE0EEENS1_30default_config_static_selectorELNS0_4arch9wavefront6targetE1EEEvSQ_, .Lfunc_end338-_ZN7rocprim17ROCPRIM_400000_NS6detail17trampoline_kernelINS0_14default_configENS1_21merge_config_selectorIfNS0_10empty_typeEEEZNS1_10merge_implIS3_N6thrust23THRUST_200600_302600_NS6detail15normal_iteratorINS9_10device_ptrIKfEEEESF_NS9_16discard_iteratorINS9_11use_defaultEEEPS5_SJ_SJ_NS9_4lessIfEEEE10hipError_tPvRmT0_T1_T2_T3_T4_T5_mmT6_P12ihipStream_tbEUlT_E_NS1_11comp_targetILNS1_3genE3ELNS1_11target_archE908ELNS1_3gpuE7ELNS1_3repE0EEENS1_30default_config_static_selectorELNS0_4arch9wavefront6targetE1EEEvSQ_
                                        ; -- End function
	.section	.AMDGPU.csdata,"",@progbits
; Kernel info:
; codeLenInByte = 0
; NumSgprs: 4
; NumVgprs: 0
; NumAgprs: 0
; TotalNumVgprs: 0
; ScratchSize: 0
; MemoryBound: 0
; FloatMode: 240
; IeeeMode: 1
; LDSByteSize: 0 bytes/workgroup (compile time only)
; SGPRBlocks: 0
; VGPRBlocks: 0
; NumSGPRsForWavesPerEU: 4
; NumVGPRsForWavesPerEU: 1
; AccumOffset: 4
; Occupancy: 8
; WaveLimiterHint : 0
; COMPUTE_PGM_RSRC2:SCRATCH_EN: 0
; COMPUTE_PGM_RSRC2:USER_SGPR: 6
; COMPUTE_PGM_RSRC2:TRAP_HANDLER: 0
; COMPUTE_PGM_RSRC2:TGID_X_EN: 1
; COMPUTE_PGM_RSRC2:TGID_Y_EN: 0
; COMPUTE_PGM_RSRC2:TGID_Z_EN: 0
; COMPUTE_PGM_RSRC2:TIDIG_COMP_CNT: 0
; COMPUTE_PGM_RSRC3_GFX90A:ACCUM_OFFSET: 0
; COMPUTE_PGM_RSRC3_GFX90A:TG_SPLIT: 0
	.section	.text._ZN7rocprim17ROCPRIM_400000_NS6detail17trampoline_kernelINS0_14default_configENS1_21merge_config_selectorIfNS0_10empty_typeEEEZNS1_10merge_implIS3_N6thrust23THRUST_200600_302600_NS6detail15normal_iteratorINS9_10device_ptrIKfEEEESF_NS9_16discard_iteratorINS9_11use_defaultEEEPS5_SJ_SJ_NS9_4lessIfEEEE10hipError_tPvRmT0_T1_T2_T3_T4_T5_mmT6_P12ihipStream_tbEUlT_E_NS1_11comp_targetILNS1_3genE2ELNS1_11target_archE906ELNS1_3gpuE6ELNS1_3repE0EEENS1_30default_config_static_selectorELNS0_4arch9wavefront6targetE1EEEvSQ_,"axG",@progbits,_ZN7rocprim17ROCPRIM_400000_NS6detail17trampoline_kernelINS0_14default_configENS1_21merge_config_selectorIfNS0_10empty_typeEEEZNS1_10merge_implIS3_N6thrust23THRUST_200600_302600_NS6detail15normal_iteratorINS9_10device_ptrIKfEEEESF_NS9_16discard_iteratorINS9_11use_defaultEEEPS5_SJ_SJ_NS9_4lessIfEEEE10hipError_tPvRmT0_T1_T2_T3_T4_T5_mmT6_P12ihipStream_tbEUlT_E_NS1_11comp_targetILNS1_3genE2ELNS1_11target_archE906ELNS1_3gpuE6ELNS1_3repE0EEENS1_30default_config_static_selectorELNS0_4arch9wavefront6targetE1EEEvSQ_,comdat
	.protected	_ZN7rocprim17ROCPRIM_400000_NS6detail17trampoline_kernelINS0_14default_configENS1_21merge_config_selectorIfNS0_10empty_typeEEEZNS1_10merge_implIS3_N6thrust23THRUST_200600_302600_NS6detail15normal_iteratorINS9_10device_ptrIKfEEEESF_NS9_16discard_iteratorINS9_11use_defaultEEEPS5_SJ_SJ_NS9_4lessIfEEEE10hipError_tPvRmT0_T1_T2_T3_T4_T5_mmT6_P12ihipStream_tbEUlT_E_NS1_11comp_targetILNS1_3genE2ELNS1_11target_archE906ELNS1_3gpuE6ELNS1_3repE0EEENS1_30default_config_static_selectorELNS0_4arch9wavefront6targetE1EEEvSQ_ ; -- Begin function _ZN7rocprim17ROCPRIM_400000_NS6detail17trampoline_kernelINS0_14default_configENS1_21merge_config_selectorIfNS0_10empty_typeEEEZNS1_10merge_implIS3_N6thrust23THRUST_200600_302600_NS6detail15normal_iteratorINS9_10device_ptrIKfEEEESF_NS9_16discard_iteratorINS9_11use_defaultEEEPS5_SJ_SJ_NS9_4lessIfEEEE10hipError_tPvRmT0_T1_T2_T3_T4_T5_mmT6_P12ihipStream_tbEUlT_E_NS1_11comp_targetILNS1_3genE2ELNS1_11target_archE906ELNS1_3gpuE6ELNS1_3repE0EEENS1_30default_config_static_selectorELNS0_4arch9wavefront6targetE1EEEvSQ_
	.globl	_ZN7rocprim17ROCPRIM_400000_NS6detail17trampoline_kernelINS0_14default_configENS1_21merge_config_selectorIfNS0_10empty_typeEEEZNS1_10merge_implIS3_N6thrust23THRUST_200600_302600_NS6detail15normal_iteratorINS9_10device_ptrIKfEEEESF_NS9_16discard_iteratorINS9_11use_defaultEEEPS5_SJ_SJ_NS9_4lessIfEEEE10hipError_tPvRmT0_T1_T2_T3_T4_T5_mmT6_P12ihipStream_tbEUlT_E_NS1_11comp_targetILNS1_3genE2ELNS1_11target_archE906ELNS1_3gpuE6ELNS1_3repE0EEENS1_30default_config_static_selectorELNS0_4arch9wavefront6targetE1EEEvSQ_
	.p2align	8
	.type	_ZN7rocprim17ROCPRIM_400000_NS6detail17trampoline_kernelINS0_14default_configENS1_21merge_config_selectorIfNS0_10empty_typeEEEZNS1_10merge_implIS3_N6thrust23THRUST_200600_302600_NS6detail15normal_iteratorINS9_10device_ptrIKfEEEESF_NS9_16discard_iteratorINS9_11use_defaultEEEPS5_SJ_SJ_NS9_4lessIfEEEE10hipError_tPvRmT0_T1_T2_T3_T4_T5_mmT6_P12ihipStream_tbEUlT_E_NS1_11comp_targetILNS1_3genE2ELNS1_11target_archE906ELNS1_3gpuE6ELNS1_3repE0EEENS1_30default_config_static_selectorELNS0_4arch9wavefront6targetE1EEEvSQ_,@function
_ZN7rocprim17ROCPRIM_400000_NS6detail17trampoline_kernelINS0_14default_configENS1_21merge_config_selectorIfNS0_10empty_typeEEEZNS1_10merge_implIS3_N6thrust23THRUST_200600_302600_NS6detail15normal_iteratorINS9_10device_ptrIKfEEEESF_NS9_16discard_iteratorINS9_11use_defaultEEEPS5_SJ_SJ_NS9_4lessIfEEEE10hipError_tPvRmT0_T1_T2_T3_T4_T5_mmT6_P12ihipStream_tbEUlT_E_NS1_11comp_targetILNS1_3genE2ELNS1_11target_archE906ELNS1_3gpuE6ELNS1_3repE0EEENS1_30default_config_static_selectorELNS0_4arch9wavefront6targetE1EEEvSQ_: ; @_ZN7rocprim17ROCPRIM_400000_NS6detail17trampoline_kernelINS0_14default_configENS1_21merge_config_selectorIfNS0_10empty_typeEEEZNS1_10merge_implIS3_N6thrust23THRUST_200600_302600_NS6detail15normal_iteratorINS9_10device_ptrIKfEEEESF_NS9_16discard_iteratorINS9_11use_defaultEEEPS5_SJ_SJ_NS9_4lessIfEEEE10hipError_tPvRmT0_T1_T2_T3_T4_T5_mmT6_P12ihipStream_tbEUlT_E_NS1_11comp_targetILNS1_3genE2ELNS1_11target_archE906ELNS1_3gpuE6ELNS1_3repE0EEENS1_30default_config_static_selectorELNS0_4arch9wavefront6targetE1EEEvSQ_
; %bb.0:
	.section	.rodata,"a",@progbits
	.p2align	6, 0x0
	.amdhsa_kernel _ZN7rocprim17ROCPRIM_400000_NS6detail17trampoline_kernelINS0_14default_configENS1_21merge_config_selectorIfNS0_10empty_typeEEEZNS1_10merge_implIS3_N6thrust23THRUST_200600_302600_NS6detail15normal_iteratorINS9_10device_ptrIKfEEEESF_NS9_16discard_iteratorINS9_11use_defaultEEEPS5_SJ_SJ_NS9_4lessIfEEEE10hipError_tPvRmT0_T1_T2_T3_T4_T5_mmT6_P12ihipStream_tbEUlT_E_NS1_11comp_targetILNS1_3genE2ELNS1_11target_archE906ELNS1_3gpuE6ELNS1_3repE0EEENS1_30default_config_static_selectorELNS0_4arch9wavefront6targetE1EEEvSQ_
		.amdhsa_group_segment_fixed_size 0
		.amdhsa_private_segment_fixed_size 0
		.amdhsa_kernarg_size 48
		.amdhsa_user_sgpr_count 6
		.amdhsa_user_sgpr_private_segment_buffer 1
		.amdhsa_user_sgpr_dispatch_ptr 0
		.amdhsa_user_sgpr_queue_ptr 0
		.amdhsa_user_sgpr_kernarg_segment_ptr 1
		.amdhsa_user_sgpr_dispatch_id 0
		.amdhsa_user_sgpr_flat_scratch_init 0
		.amdhsa_user_sgpr_kernarg_preload_length 0
		.amdhsa_user_sgpr_kernarg_preload_offset 0
		.amdhsa_user_sgpr_private_segment_size 0
		.amdhsa_uses_dynamic_stack 0
		.amdhsa_system_sgpr_private_segment_wavefront_offset 0
		.amdhsa_system_sgpr_workgroup_id_x 1
		.amdhsa_system_sgpr_workgroup_id_y 0
		.amdhsa_system_sgpr_workgroup_id_z 0
		.amdhsa_system_sgpr_workgroup_info 0
		.amdhsa_system_vgpr_workitem_id 0
		.amdhsa_next_free_vgpr 1
		.amdhsa_next_free_sgpr 0
		.amdhsa_accum_offset 4
		.amdhsa_reserve_vcc 0
		.amdhsa_reserve_flat_scratch 0
		.amdhsa_float_round_mode_32 0
		.amdhsa_float_round_mode_16_64 0
		.amdhsa_float_denorm_mode_32 3
		.amdhsa_float_denorm_mode_16_64 3
		.amdhsa_dx10_clamp 1
		.amdhsa_ieee_mode 1
		.amdhsa_fp16_overflow 0
		.amdhsa_tg_split 0
		.amdhsa_exception_fp_ieee_invalid_op 0
		.amdhsa_exception_fp_denorm_src 0
		.amdhsa_exception_fp_ieee_div_zero 0
		.amdhsa_exception_fp_ieee_overflow 0
		.amdhsa_exception_fp_ieee_underflow 0
		.amdhsa_exception_fp_ieee_inexact 0
		.amdhsa_exception_int_div_zero 0
	.end_amdhsa_kernel
	.section	.text._ZN7rocprim17ROCPRIM_400000_NS6detail17trampoline_kernelINS0_14default_configENS1_21merge_config_selectorIfNS0_10empty_typeEEEZNS1_10merge_implIS3_N6thrust23THRUST_200600_302600_NS6detail15normal_iteratorINS9_10device_ptrIKfEEEESF_NS9_16discard_iteratorINS9_11use_defaultEEEPS5_SJ_SJ_NS9_4lessIfEEEE10hipError_tPvRmT0_T1_T2_T3_T4_T5_mmT6_P12ihipStream_tbEUlT_E_NS1_11comp_targetILNS1_3genE2ELNS1_11target_archE906ELNS1_3gpuE6ELNS1_3repE0EEENS1_30default_config_static_selectorELNS0_4arch9wavefront6targetE1EEEvSQ_,"axG",@progbits,_ZN7rocprim17ROCPRIM_400000_NS6detail17trampoline_kernelINS0_14default_configENS1_21merge_config_selectorIfNS0_10empty_typeEEEZNS1_10merge_implIS3_N6thrust23THRUST_200600_302600_NS6detail15normal_iteratorINS9_10device_ptrIKfEEEESF_NS9_16discard_iteratorINS9_11use_defaultEEEPS5_SJ_SJ_NS9_4lessIfEEEE10hipError_tPvRmT0_T1_T2_T3_T4_T5_mmT6_P12ihipStream_tbEUlT_E_NS1_11comp_targetILNS1_3genE2ELNS1_11target_archE906ELNS1_3gpuE6ELNS1_3repE0EEENS1_30default_config_static_selectorELNS0_4arch9wavefront6targetE1EEEvSQ_,comdat
.Lfunc_end339:
	.size	_ZN7rocprim17ROCPRIM_400000_NS6detail17trampoline_kernelINS0_14default_configENS1_21merge_config_selectorIfNS0_10empty_typeEEEZNS1_10merge_implIS3_N6thrust23THRUST_200600_302600_NS6detail15normal_iteratorINS9_10device_ptrIKfEEEESF_NS9_16discard_iteratorINS9_11use_defaultEEEPS5_SJ_SJ_NS9_4lessIfEEEE10hipError_tPvRmT0_T1_T2_T3_T4_T5_mmT6_P12ihipStream_tbEUlT_E_NS1_11comp_targetILNS1_3genE2ELNS1_11target_archE906ELNS1_3gpuE6ELNS1_3repE0EEENS1_30default_config_static_selectorELNS0_4arch9wavefront6targetE1EEEvSQ_, .Lfunc_end339-_ZN7rocprim17ROCPRIM_400000_NS6detail17trampoline_kernelINS0_14default_configENS1_21merge_config_selectorIfNS0_10empty_typeEEEZNS1_10merge_implIS3_N6thrust23THRUST_200600_302600_NS6detail15normal_iteratorINS9_10device_ptrIKfEEEESF_NS9_16discard_iteratorINS9_11use_defaultEEEPS5_SJ_SJ_NS9_4lessIfEEEE10hipError_tPvRmT0_T1_T2_T3_T4_T5_mmT6_P12ihipStream_tbEUlT_E_NS1_11comp_targetILNS1_3genE2ELNS1_11target_archE906ELNS1_3gpuE6ELNS1_3repE0EEENS1_30default_config_static_selectorELNS0_4arch9wavefront6targetE1EEEvSQ_
                                        ; -- End function
	.section	.AMDGPU.csdata,"",@progbits
; Kernel info:
; codeLenInByte = 0
; NumSgprs: 4
; NumVgprs: 0
; NumAgprs: 0
; TotalNumVgprs: 0
; ScratchSize: 0
; MemoryBound: 0
; FloatMode: 240
; IeeeMode: 1
; LDSByteSize: 0 bytes/workgroup (compile time only)
; SGPRBlocks: 0
; VGPRBlocks: 0
; NumSGPRsForWavesPerEU: 4
; NumVGPRsForWavesPerEU: 1
; AccumOffset: 4
; Occupancy: 8
; WaveLimiterHint : 0
; COMPUTE_PGM_RSRC2:SCRATCH_EN: 0
; COMPUTE_PGM_RSRC2:USER_SGPR: 6
; COMPUTE_PGM_RSRC2:TRAP_HANDLER: 0
; COMPUTE_PGM_RSRC2:TGID_X_EN: 1
; COMPUTE_PGM_RSRC2:TGID_Y_EN: 0
; COMPUTE_PGM_RSRC2:TGID_Z_EN: 0
; COMPUTE_PGM_RSRC2:TIDIG_COMP_CNT: 0
; COMPUTE_PGM_RSRC3_GFX90A:ACCUM_OFFSET: 0
; COMPUTE_PGM_RSRC3_GFX90A:TG_SPLIT: 0
	.section	.text._ZN7rocprim17ROCPRIM_400000_NS6detail17trampoline_kernelINS0_14default_configENS1_21merge_config_selectorIfNS0_10empty_typeEEEZNS1_10merge_implIS3_N6thrust23THRUST_200600_302600_NS6detail15normal_iteratorINS9_10device_ptrIKfEEEESF_NS9_16discard_iteratorINS9_11use_defaultEEEPS5_SJ_SJ_NS9_4lessIfEEEE10hipError_tPvRmT0_T1_T2_T3_T4_T5_mmT6_P12ihipStream_tbEUlT_E_NS1_11comp_targetILNS1_3genE10ELNS1_11target_archE1201ELNS1_3gpuE5ELNS1_3repE0EEENS1_30default_config_static_selectorELNS0_4arch9wavefront6targetE1EEEvSQ_,"axG",@progbits,_ZN7rocprim17ROCPRIM_400000_NS6detail17trampoline_kernelINS0_14default_configENS1_21merge_config_selectorIfNS0_10empty_typeEEEZNS1_10merge_implIS3_N6thrust23THRUST_200600_302600_NS6detail15normal_iteratorINS9_10device_ptrIKfEEEESF_NS9_16discard_iteratorINS9_11use_defaultEEEPS5_SJ_SJ_NS9_4lessIfEEEE10hipError_tPvRmT0_T1_T2_T3_T4_T5_mmT6_P12ihipStream_tbEUlT_E_NS1_11comp_targetILNS1_3genE10ELNS1_11target_archE1201ELNS1_3gpuE5ELNS1_3repE0EEENS1_30default_config_static_selectorELNS0_4arch9wavefront6targetE1EEEvSQ_,comdat
	.protected	_ZN7rocprim17ROCPRIM_400000_NS6detail17trampoline_kernelINS0_14default_configENS1_21merge_config_selectorIfNS0_10empty_typeEEEZNS1_10merge_implIS3_N6thrust23THRUST_200600_302600_NS6detail15normal_iteratorINS9_10device_ptrIKfEEEESF_NS9_16discard_iteratorINS9_11use_defaultEEEPS5_SJ_SJ_NS9_4lessIfEEEE10hipError_tPvRmT0_T1_T2_T3_T4_T5_mmT6_P12ihipStream_tbEUlT_E_NS1_11comp_targetILNS1_3genE10ELNS1_11target_archE1201ELNS1_3gpuE5ELNS1_3repE0EEENS1_30default_config_static_selectorELNS0_4arch9wavefront6targetE1EEEvSQ_ ; -- Begin function _ZN7rocprim17ROCPRIM_400000_NS6detail17trampoline_kernelINS0_14default_configENS1_21merge_config_selectorIfNS0_10empty_typeEEEZNS1_10merge_implIS3_N6thrust23THRUST_200600_302600_NS6detail15normal_iteratorINS9_10device_ptrIKfEEEESF_NS9_16discard_iteratorINS9_11use_defaultEEEPS5_SJ_SJ_NS9_4lessIfEEEE10hipError_tPvRmT0_T1_T2_T3_T4_T5_mmT6_P12ihipStream_tbEUlT_E_NS1_11comp_targetILNS1_3genE10ELNS1_11target_archE1201ELNS1_3gpuE5ELNS1_3repE0EEENS1_30default_config_static_selectorELNS0_4arch9wavefront6targetE1EEEvSQ_
	.globl	_ZN7rocprim17ROCPRIM_400000_NS6detail17trampoline_kernelINS0_14default_configENS1_21merge_config_selectorIfNS0_10empty_typeEEEZNS1_10merge_implIS3_N6thrust23THRUST_200600_302600_NS6detail15normal_iteratorINS9_10device_ptrIKfEEEESF_NS9_16discard_iteratorINS9_11use_defaultEEEPS5_SJ_SJ_NS9_4lessIfEEEE10hipError_tPvRmT0_T1_T2_T3_T4_T5_mmT6_P12ihipStream_tbEUlT_E_NS1_11comp_targetILNS1_3genE10ELNS1_11target_archE1201ELNS1_3gpuE5ELNS1_3repE0EEENS1_30default_config_static_selectorELNS0_4arch9wavefront6targetE1EEEvSQ_
	.p2align	8
	.type	_ZN7rocprim17ROCPRIM_400000_NS6detail17trampoline_kernelINS0_14default_configENS1_21merge_config_selectorIfNS0_10empty_typeEEEZNS1_10merge_implIS3_N6thrust23THRUST_200600_302600_NS6detail15normal_iteratorINS9_10device_ptrIKfEEEESF_NS9_16discard_iteratorINS9_11use_defaultEEEPS5_SJ_SJ_NS9_4lessIfEEEE10hipError_tPvRmT0_T1_T2_T3_T4_T5_mmT6_P12ihipStream_tbEUlT_E_NS1_11comp_targetILNS1_3genE10ELNS1_11target_archE1201ELNS1_3gpuE5ELNS1_3repE0EEENS1_30default_config_static_selectorELNS0_4arch9wavefront6targetE1EEEvSQ_,@function
_ZN7rocprim17ROCPRIM_400000_NS6detail17trampoline_kernelINS0_14default_configENS1_21merge_config_selectorIfNS0_10empty_typeEEEZNS1_10merge_implIS3_N6thrust23THRUST_200600_302600_NS6detail15normal_iteratorINS9_10device_ptrIKfEEEESF_NS9_16discard_iteratorINS9_11use_defaultEEEPS5_SJ_SJ_NS9_4lessIfEEEE10hipError_tPvRmT0_T1_T2_T3_T4_T5_mmT6_P12ihipStream_tbEUlT_E_NS1_11comp_targetILNS1_3genE10ELNS1_11target_archE1201ELNS1_3gpuE5ELNS1_3repE0EEENS1_30default_config_static_selectorELNS0_4arch9wavefront6targetE1EEEvSQ_: ; @_ZN7rocprim17ROCPRIM_400000_NS6detail17trampoline_kernelINS0_14default_configENS1_21merge_config_selectorIfNS0_10empty_typeEEEZNS1_10merge_implIS3_N6thrust23THRUST_200600_302600_NS6detail15normal_iteratorINS9_10device_ptrIKfEEEESF_NS9_16discard_iteratorINS9_11use_defaultEEEPS5_SJ_SJ_NS9_4lessIfEEEE10hipError_tPvRmT0_T1_T2_T3_T4_T5_mmT6_P12ihipStream_tbEUlT_E_NS1_11comp_targetILNS1_3genE10ELNS1_11target_archE1201ELNS1_3gpuE5ELNS1_3repE0EEENS1_30default_config_static_selectorELNS0_4arch9wavefront6targetE1EEEvSQ_
; %bb.0:
	.section	.rodata,"a",@progbits
	.p2align	6, 0x0
	.amdhsa_kernel _ZN7rocprim17ROCPRIM_400000_NS6detail17trampoline_kernelINS0_14default_configENS1_21merge_config_selectorIfNS0_10empty_typeEEEZNS1_10merge_implIS3_N6thrust23THRUST_200600_302600_NS6detail15normal_iteratorINS9_10device_ptrIKfEEEESF_NS9_16discard_iteratorINS9_11use_defaultEEEPS5_SJ_SJ_NS9_4lessIfEEEE10hipError_tPvRmT0_T1_T2_T3_T4_T5_mmT6_P12ihipStream_tbEUlT_E_NS1_11comp_targetILNS1_3genE10ELNS1_11target_archE1201ELNS1_3gpuE5ELNS1_3repE0EEENS1_30default_config_static_selectorELNS0_4arch9wavefront6targetE1EEEvSQ_
		.amdhsa_group_segment_fixed_size 0
		.amdhsa_private_segment_fixed_size 0
		.amdhsa_kernarg_size 48
		.amdhsa_user_sgpr_count 6
		.amdhsa_user_sgpr_private_segment_buffer 1
		.amdhsa_user_sgpr_dispatch_ptr 0
		.amdhsa_user_sgpr_queue_ptr 0
		.amdhsa_user_sgpr_kernarg_segment_ptr 1
		.amdhsa_user_sgpr_dispatch_id 0
		.amdhsa_user_sgpr_flat_scratch_init 0
		.amdhsa_user_sgpr_kernarg_preload_length 0
		.amdhsa_user_sgpr_kernarg_preload_offset 0
		.amdhsa_user_sgpr_private_segment_size 0
		.amdhsa_uses_dynamic_stack 0
		.amdhsa_system_sgpr_private_segment_wavefront_offset 0
		.amdhsa_system_sgpr_workgroup_id_x 1
		.amdhsa_system_sgpr_workgroup_id_y 0
		.amdhsa_system_sgpr_workgroup_id_z 0
		.amdhsa_system_sgpr_workgroup_info 0
		.amdhsa_system_vgpr_workitem_id 0
		.amdhsa_next_free_vgpr 1
		.amdhsa_next_free_sgpr 0
		.amdhsa_accum_offset 4
		.amdhsa_reserve_vcc 0
		.amdhsa_reserve_flat_scratch 0
		.amdhsa_float_round_mode_32 0
		.amdhsa_float_round_mode_16_64 0
		.amdhsa_float_denorm_mode_32 3
		.amdhsa_float_denorm_mode_16_64 3
		.amdhsa_dx10_clamp 1
		.amdhsa_ieee_mode 1
		.amdhsa_fp16_overflow 0
		.amdhsa_tg_split 0
		.amdhsa_exception_fp_ieee_invalid_op 0
		.amdhsa_exception_fp_denorm_src 0
		.amdhsa_exception_fp_ieee_div_zero 0
		.amdhsa_exception_fp_ieee_overflow 0
		.amdhsa_exception_fp_ieee_underflow 0
		.amdhsa_exception_fp_ieee_inexact 0
		.amdhsa_exception_int_div_zero 0
	.end_amdhsa_kernel
	.section	.text._ZN7rocprim17ROCPRIM_400000_NS6detail17trampoline_kernelINS0_14default_configENS1_21merge_config_selectorIfNS0_10empty_typeEEEZNS1_10merge_implIS3_N6thrust23THRUST_200600_302600_NS6detail15normal_iteratorINS9_10device_ptrIKfEEEESF_NS9_16discard_iteratorINS9_11use_defaultEEEPS5_SJ_SJ_NS9_4lessIfEEEE10hipError_tPvRmT0_T1_T2_T3_T4_T5_mmT6_P12ihipStream_tbEUlT_E_NS1_11comp_targetILNS1_3genE10ELNS1_11target_archE1201ELNS1_3gpuE5ELNS1_3repE0EEENS1_30default_config_static_selectorELNS0_4arch9wavefront6targetE1EEEvSQ_,"axG",@progbits,_ZN7rocprim17ROCPRIM_400000_NS6detail17trampoline_kernelINS0_14default_configENS1_21merge_config_selectorIfNS0_10empty_typeEEEZNS1_10merge_implIS3_N6thrust23THRUST_200600_302600_NS6detail15normal_iteratorINS9_10device_ptrIKfEEEESF_NS9_16discard_iteratorINS9_11use_defaultEEEPS5_SJ_SJ_NS9_4lessIfEEEE10hipError_tPvRmT0_T1_T2_T3_T4_T5_mmT6_P12ihipStream_tbEUlT_E_NS1_11comp_targetILNS1_3genE10ELNS1_11target_archE1201ELNS1_3gpuE5ELNS1_3repE0EEENS1_30default_config_static_selectorELNS0_4arch9wavefront6targetE1EEEvSQ_,comdat
.Lfunc_end340:
	.size	_ZN7rocprim17ROCPRIM_400000_NS6detail17trampoline_kernelINS0_14default_configENS1_21merge_config_selectorIfNS0_10empty_typeEEEZNS1_10merge_implIS3_N6thrust23THRUST_200600_302600_NS6detail15normal_iteratorINS9_10device_ptrIKfEEEESF_NS9_16discard_iteratorINS9_11use_defaultEEEPS5_SJ_SJ_NS9_4lessIfEEEE10hipError_tPvRmT0_T1_T2_T3_T4_T5_mmT6_P12ihipStream_tbEUlT_E_NS1_11comp_targetILNS1_3genE10ELNS1_11target_archE1201ELNS1_3gpuE5ELNS1_3repE0EEENS1_30default_config_static_selectorELNS0_4arch9wavefront6targetE1EEEvSQ_, .Lfunc_end340-_ZN7rocprim17ROCPRIM_400000_NS6detail17trampoline_kernelINS0_14default_configENS1_21merge_config_selectorIfNS0_10empty_typeEEEZNS1_10merge_implIS3_N6thrust23THRUST_200600_302600_NS6detail15normal_iteratorINS9_10device_ptrIKfEEEESF_NS9_16discard_iteratorINS9_11use_defaultEEEPS5_SJ_SJ_NS9_4lessIfEEEE10hipError_tPvRmT0_T1_T2_T3_T4_T5_mmT6_P12ihipStream_tbEUlT_E_NS1_11comp_targetILNS1_3genE10ELNS1_11target_archE1201ELNS1_3gpuE5ELNS1_3repE0EEENS1_30default_config_static_selectorELNS0_4arch9wavefront6targetE1EEEvSQ_
                                        ; -- End function
	.section	.AMDGPU.csdata,"",@progbits
; Kernel info:
; codeLenInByte = 0
; NumSgprs: 4
; NumVgprs: 0
; NumAgprs: 0
; TotalNumVgprs: 0
; ScratchSize: 0
; MemoryBound: 0
; FloatMode: 240
; IeeeMode: 1
; LDSByteSize: 0 bytes/workgroup (compile time only)
; SGPRBlocks: 0
; VGPRBlocks: 0
; NumSGPRsForWavesPerEU: 4
; NumVGPRsForWavesPerEU: 1
; AccumOffset: 4
; Occupancy: 8
; WaveLimiterHint : 0
; COMPUTE_PGM_RSRC2:SCRATCH_EN: 0
; COMPUTE_PGM_RSRC2:USER_SGPR: 6
; COMPUTE_PGM_RSRC2:TRAP_HANDLER: 0
; COMPUTE_PGM_RSRC2:TGID_X_EN: 1
; COMPUTE_PGM_RSRC2:TGID_Y_EN: 0
; COMPUTE_PGM_RSRC2:TGID_Z_EN: 0
; COMPUTE_PGM_RSRC2:TIDIG_COMP_CNT: 0
; COMPUTE_PGM_RSRC3_GFX90A:ACCUM_OFFSET: 0
; COMPUTE_PGM_RSRC3_GFX90A:TG_SPLIT: 0
	.section	.text._ZN7rocprim17ROCPRIM_400000_NS6detail17trampoline_kernelINS0_14default_configENS1_21merge_config_selectorIfNS0_10empty_typeEEEZNS1_10merge_implIS3_N6thrust23THRUST_200600_302600_NS6detail15normal_iteratorINS9_10device_ptrIKfEEEESF_NS9_16discard_iteratorINS9_11use_defaultEEEPS5_SJ_SJ_NS9_4lessIfEEEE10hipError_tPvRmT0_T1_T2_T3_T4_T5_mmT6_P12ihipStream_tbEUlT_E_NS1_11comp_targetILNS1_3genE10ELNS1_11target_archE1200ELNS1_3gpuE4ELNS1_3repE0EEENS1_30default_config_static_selectorELNS0_4arch9wavefront6targetE1EEEvSQ_,"axG",@progbits,_ZN7rocprim17ROCPRIM_400000_NS6detail17trampoline_kernelINS0_14default_configENS1_21merge_config_selectorIfNS0_10empty_typeEEEZNS1_10merge_implIS3_N6thrust23THRUST_200600_302600_NS6detail15normal_iteratorINS9_10device_ptrIKfEEEESF_NS9_16discard_iteratorINS9_11use_defaultEEEPS5_SJ_SJ_NS9_4lessIfEEEE10hipError_tPvRmT0_T1_T2_T3_T4_T5_mmT6_P12ihipStream_tbEUlT_E_NS1_11comp_targetILNS1_3genE10ELNS1_11target_archE1200ELNS1_3gpuE4ELNS1_3repE0EEENS1_30default_config_static_selectorELNS0_4arch9wavefront6targetE1EEEvSQ_,comdat
	.protected	_ZN7rocprim17ROCPRIM_400000_NS6detail17trampoline_kernelINS0_14default_configENS1_21merge_config_selectorIfNS0_10empty_typeEEEZNS1_10merge_implIS3_N6thrust23THRUST_200600_302600_NS6detail15normal_iteratorINS9_10device_ptrIKfEEEESF_NS9_16discard_iteratorINS9_11use_defaultEEEPS5_SJ_SJ_NS9_4lessIfEEEE10hipError_tPvRmT0_T1_T2_T3_T4_T5_mmT6_P12ihipStream_tbEUlT_E_NS1_11comp_targetILNS1_3genE10ELNS1_11target_archE1200ELNS1_3gpuE4ELNS1_3repE0EEENS1_30default_config_static_selectorELNS0_4arch9wavefront6targetE1EEEvSQ_ ; -- Begin function _ZN7rocprim17ROCPRIM_400000_NS6detail17trampoline_kernelINS0_14default_configENS1_21merge_config_selectorIfNS0_10empty_typeEEEZNS1_10merge_implIS3_N6thrust23THRUST_200600_302600_NS6detail15normal_iteratorINS9_10device_ptrIKfEEEESF_NS9_16discard_iteratorINS9_11use_defaultEEEPS5_SJ_SJ_NS9_4lessIfEEEE10hipError_tPvRmT0_T1_T2_T3_T4_T5_mmT6_P12ihipStream_tbEUlT_E_NS1_11comp_targetILNS1_3genE10ELNS1_11target_archE1200ELNS1_3gpuE4ELNS1_3repE0EEENS1_30default_config_static_selectorELNS0_4arch9wavefront6targetE1EEEvSQ_
	.globl	_ZN7rocprim17ROCPRIM_400000_NS6detail17trampoline_kernelINS0_14default_configENS1_21merge_config_selectorIfNS0_10empty_typeEEEZNS1_10merge_implIS3_N6thrust23THRUST_200600_302600_NS6detail15normal_iteratorINS9_10device_ptrIKfEEEESF_NS9_16discard_iteratorINS9_11use_defaultEEEPS5_SJ_SJ_NS9_4lessIfEEEE10hipError_tPvRmT0_T1_T2_T3_T4_T5_mmT6_P12ihipStream_tbEUlT_E_NS1_11comp_targetILNS1_3genE10ELNS1_11target_archE1200ELNS1_3gpuE4ELNS1_3repE0EEENS1_30default_config_static_selectorELNS0_4arch9wavefront6targetE1EEEvSQ_
	.p2align	8
	.type	_ZN7rocprim17ROCPRIM_400000_NS6detail17trampoline_kernelINS0_14default_configENS1_21merge_config_selectorIfNS0_10empty_typeEEEZNS1_10merge_implIS3_N6thrust23THRUST_200600_302600_NS6detail15normal_iteratorINS9_10device_ptrIKfEEEESF_NS9_16discard_iteratorINS9_11use_defaultEEEPS5_SJ_SJ_NS9_4lessIfEEEE10hipError_tPvRmT0_T1_T2_T3_T4_T5_mmT6_P12ihipStream_tbEUlT_E_NS1_11comp_targetILNS1_3genE10ELNS1_11target_archE1200ELNS1_3gpuE4ELNS1_3repE0EEENS1_30default_config_static_selectorELNS0_4arch9wavefront6targetE1EEEvSQ_,@function
_ZN7rocprim17ROCPRIM_400000_NS6detail17trampoline_kernelINS0_14default_configENS1_21merge_config_selectorIfNS0_10empty_typeEEEZNS1_10merge_implIS3_N6thrust23THRUST_200600_302600_NS6detail15normal_iteratorINS9_10device_ptrIKfEEEESF_NS9_16discard_iteratorINS9_11use_defaultEEEPS5_SJ_SJ_NS9_4lessIfEEEE10hipError_tPvRmT0_T1_T2_T3_T4_T5_mmT6_P12ihipStream_tbEUlT_E_NS1_11comp_targetILNS1_3genE10ELNS1_11target_archE1200ELNS1_3gpuE4ELNS1_3repE0EEENS1_30default_config_static_selectorELNS0_4arch9wavefront6targetE1EEEvSQ_: ; @_ZN7rocprim17ROCPRIM_400000_NS6detail17trampoline_kernelINS0_14default_configENS1_21merge_config_selectorIfNS0_10empty_typeEEEZNS1_10merge_implIS3_N6thrust23THRUST_200600_302600_NS6detail15normal_iteratorINS9_10device_ptrIKfEEEESF_NS9_16discard_iteratorINS9_11use_defaultEEEPS5_SJ_SJ_NS9_4lessIfEEEE10hipError_tPvRmT0_T1_T2_T3_T4_T5_mmT6_P12ihipStream_tbEUlT_E_NS1_11comp_targetILNS1_3genE10ELNS1_11target_archE1200ELNS1_3gpuE4ELNS1_3repE0EEENS1_30default_config_static_selectorELNS0_4arch9wavefront6targetE1EEEvSQ_
; %bb.0:
	.section	.rodata,"a",@progbits
	.p2align	6, 0x0
	.amdhsa_kernel _ZN7rocprim17ROCPRIM_400000_NS6detail17trampoline_kernelINS0_14default_configENS1_21merge_config_selectorIfNS0_10empty_typeEEEZNS1_10merge_implIS3_N6thrust23THRUST_200600_302600_NS6detail15normal_iteratorINS9_10device_ptrIKfEEEESF_NS9_16discard_iteratorINS9_11use_defaultEEEPS5_SJ_SJ_NS9_4lessIfEEEE10hipError_tPvRmT0_T1_T2_T3_T4_T5_mmT6_P12ihipStream_tbEUlT_E_NS1_11comp_targetILNS1_3genE10ELNS1_11target_archE1200ELNS1_3gpuE4ELNS1_3repE0EEENS1_30default_config_static_selectorELNS0_4arch9wavefront6targetE1EEEvSQ_
		.amdhsa_group_segment_fixed_size 0
		.amdhsa_private_segment_fixed_size 0
		.amdhsa_kernarg_size 48
		.amdhsa_user_sgpr_count 6
		.amdhsa_user_sgpr_private_segment_buffer 1
		.amdhsa_user_sgpr_dispatch_ptr 0
		.amdhsa_user_sgpr_queue_ptr 0
		.amdhsa_user_sgpr_kernarg_segment_ptr 1
		.amdhsa_user_sgpr_dispatch_id 0
		.amdhsa_user_sgpr_flat_scratch_init 0
		.amdhsa_user_sgpr_kernarg_preload_length 0
		.amdhsa_user_sgpr_kernarg_preload_offset 0
		.amdhsa_user_sgpr_private_segment_size 0
		.amdhsa_uses_dynamic_stack 0
		.amdhsa_system_sgpr_private_segment_wavefront_offset 0
		.amdhsa_system_sgpr_workgroup_id_x 1
		.amdhsa_system_sgpr_workgroup_id_y 0
		.amdhsa_system_sgpr_workgroup_id_z 0
		.amdhsa_system_sgpr_workgroup_info 0
		.amdhsa_system_vgpr_workitem_id 0
		.amdhsa_next_free_vgpr 1
		.amdhsa_next_free_sgpr 0
		.amdhsa_accum_offset 4
		.amdhsa_reserve_vcc 0
		.amdhsa_reserve_flat_scratch 0
		.amdhsa_float_round_mode_32 0
		.amdhsa_float_round_mode_16_64 0
		.amdhsa_float_denorm_mode_32 3
		.amdhsa_float_denorm_mode_16_64 3
		.amdhsa_dx10_clamp 1
		.amdhsa_ieee_mode 1
		.amdhsa_fp16_overflow 0
		.amdhsa_tg_split 0
		.amdhsa_exception_fp_ieee_invalid_op 0
		.amdhsa_exception_fp_denorm_src 0
		.amdhsa_exception_fp_ieee_div_zero 0
		.amdhsa_exception_fp_ieee_overflow 0
		.amdhsa_exception_fp_ieee_underflow 0
		.amdhsa_exception_fp_ieee_inexact 0
		.amdhsa_exception_int_div_zero 0
	.end_amdhsa_kernel
	.section	.text._ZN7rocprim17ROCPRIM_400000_NS6detail17trampoline_kernelINS0_14default_configENS1_21merge_config_selectorIfNS0_10empty_typeEEEZNS1_10merge_implIS3_N6thrust23THRUST_200600_302600_NS6detail15normal_iteratorINS9_10device_ptrIKfEEEESF_NS9_16discard_iteratorINS9_11use_defaultEEEPS5_SJ_SJ_NS9_4lessIfEEEE10hipError_tPvRmT0_T1_T2_T3_T4_T5_mmT6_P12ihipStream_tbEUlT_E_NS1_11comp_targetILNS1_3genE10ELNS1_11target_archE1200ELNS1_3gpuE4ELNS1_3repE0EEENS1_30default_config_static_selectorELNS0_4arch9wavefront6targetE1EEEvSQ_,"axG",@progbits,_ZN7rocprim17ROCPRIM_400000_NS6detail17trampoline_kernelINS0_14default_configENS1_21merge_config_selectorIfNS0_10empty_typeEEEZNS1_10merge_implIS3_N6thrust23THRUST_200600_302600_NS6detail15normal_iteratorINS9_10device_ptrIKfEEEESF_NS9_16discard_iteratorINS9_11use_defaultEEEPS5_SJ_SJ_NS9_4lessIfEEEE10hipError_tPvRmT0_T1_T2_T3_T4_T5_mmT6_P12ihipStream_tbEUlT_E_NS1_11comp_targetILNS1_3genE10ELNS1_11target_archE1200ELNS1_3gpuE4ELNS1_3repE0EEENS1_30default_config_static_selectorELNS0_4arch9wavefront6targetE1EEEvSQ_,comdat
.Lfunc_end341:
	.size	_ZN7rocprim17ROCPRIM_400000_NS6detail17trampoline_kernelINS0_14default_configENS1_21merge_config_selectorIfNS0_10empty_typeEEEZNS1_10merge_implIS3_N6thrust23THRUST_200600_302600_NS6detail15normal_iteratorINS9_10device_ptrIKfEEEESF_NS9_16discard_iteratorINS9_11use_defaultEEEPS5_SJ_SJ_NS9_4lessIfEEEE10hipError_tPvRmT0_T1_T2_T3_T4_T5_mmT6_P12ihipStream_tbEUlT_E_NS1_11comp_targetILNS1_3genE10ELNS1_11target_archE1200ELNS1_3gpuE4ELNS1_3repE0EEENS1_30default_config_static_selectorELNS0_4arch9wavefront6targetE1EEEvSQ_, .Lfunc_end341-_ZN7rocprim17ROCPRIM_400000_NS6detail17trampoline_kernelINS0_14default_configENS1_21merge_config_selectorIfNS0_10empty_typeEEEZNS1_10merge_implIS3_N6thrust23THRUST_200600_302600_NS6detail15normal_iteratorINS9_10device_ptrIKfEEEESF_NS9_16discard_iteratorINS9_11use_defaultEEEPS5_SJ_SJ_NS9_4lessIfEEEE10hipError_tPvRmT0_T1_T2_T3_T4_T5_mmT6_P12ihipStream_tbEUlT_E_NS1_11comp_targetILNS1_3genE10ELNS1_11target_archE1200ELNS1_3gpuE4ELNS1_3repE0EEENS1_30default_config_static_selectorELNS0_4arch9wavefront6targetE1EEEvSQ_
                                        ; -- End function
	.section	.AMDGPU.csdata,"",@progbits
; Kernel info:
; codeLenInByte = 0
; NumSgprs: 4
; NumVgprs: 0
; NumAgprs: 0
; TotalNumVgprs: 0
; ScratchSize: 0
; MemoryBound: 0
; FloatMode: 240
; IeeeMode: 1
; LDSByteSize: 0 bytes/workgroup (compile time only)
; SGPRBlocks: 0
; VGPRBlocks: 0
; NumSGPRsForWavesPerEU: 4
; NumVGPRsForWavesPerEU: 1
; AccumOffset: 4
; Occupancy: 8
; WaveLimiterHint : 0
; COMPUTE_PGM_RSRC2:SCRATCH_EN: 0
; COMPUTE_PGM_RSRC2:USER_SGPR: 6
; COMPUTE_PGM_RSRC2:TRAP_HANDLER: 0
; COMPUTE_PGM_RSRC2:TGID_X_EN: 1
; COMPUTE_PGM_RSRC2:TGID_Y_EN: 0
; COMPUTE_PGM_RSRC2:TGID_Z_EN: 0
; COMPUTE_PGM_RSRC2:TIDIG_COMP_CNT: 0
; COMPUTE_PGM_RSRC3_GFX90A:ACCUM_OFFSET: 0
; COMPUTE_PGM_RSRC3_GFX90A:TG_SPLIT: 0
	.section	.text._ZN7rocprim17ROCPRIM_400000_NS6detail17trampoline_kernelINS0_14default_configENS1_21merge_config_selectorIfNS0_10empty_typeEEEZNS1_10merge_implIS3_N6thrust23THRUST_200600_302600_NS6detail15normal_iteratorINS9_10device_ptrIKfEEEESF_NS9_16discard_iteratorINS9_11use_defaultEEEPS5_SJ_SJ_NS9_4lessIfEEEE10hipError_tPvRmT0_T1_T2_T3_T4_T5_mmT6_P12ihipStream_tbEUlT_E_NS1_11comp_targetILNS1_3genE9ELNS1_11target_archE1100ELNS1_3gpuE3ELNS1_3repE0EEENS1_30default_config_static_selectorELNS0_4arch9wavefront6targetE1EEEvSQ_,"axG",@progbits,_ZN7rocprim17ROCPRIM_400000_NS6detail17trampoline_kernelINS0_14default_configENS1_21merge_config_selectorIfNS0_10empty_typeEEEZNS1_10merge_implIS3_N6thrust23THRUST_200600_302600_NS6detail15normal_iteratorINS9_10device_ptrIKfEEEESF_NS9_16discard_iteratorINS9_11use_defaultEEEPS5_SJ_SJ_NS9_4lessIfEEEE10hipError_tPvRmT0_T1_T2_T3_T4_T5_mmT6_P12ihipStream_tbEUlT_E_NS1_11comp_targetILNS1_3genE9ELNS1_11target_archE1100ELNS1_3gpuE3ELNS1_3repE0EEENS1_30default_config_static_selectorELNS0_4arch9wavefront6targetE1EEEvSQ_,comdat
	.protected	_ZN7rocprim17ROCPRIM_400000_NS6detail17trampoline_kernelINS0_14default_configENS1_21merge_config_selectorIfNS0_10empty_typeEEEZNS1_10merge_implIS3_N6thrust23THRUST_200600_302600_NS6detail15normal_iteratorINS9_10device_ptrIKfEEEESF_NS9_16discard_iteratorINS9_11use_defaultEEEPS5_SJ_SJ_NS9_4lessIfEEEE10hipError_tPvRmT0_T1_T2_T3_T4_T5_mmT6_P12ihipStream_tbEUlT_E_NS1_11comp_targetILNS1_3genE9ELNS1_11target_archE1100ELNS1_3gpuE3ELNS1_3repE0EEENS1_30default_config_static_selectorELNS0_4arch9wavefront6targetE1EEEvSQ_ ; -- Begin function _ZN7rocprim17ROCPRIM_400000_NS6detail17trampoline_kernelINS0_14default_configENS1_21merge_config_selectorIfNS0_10empty_typeEEEZNS1_10merge_implIS3_N6thrust23THRUST_200600_302600_NS6detail15normal_iteratorINS9_10device_ptrIKfEEEESF_NS9_16discard_iteratorINS9_11use_defaultEEEPS5_SJ_SJ_NS9_4lessIfEEEE10hipError_tPvRmT0_T1_T2_T3_T4_T5_mmT6_P12ihipStream_tbEUlT_E_NS1_11comp_targetILNS1_3genE9ELNS1_11target_archE1100ELNS1_3gpuE3ELNS1_3repE0EEENS1_30default_config_static_selectorELNS0_4arch9wavefront6targetE1EEEvSQ_
	.globl	_ZN7rocprim17ROCPRIM_400000_NS6detail17trampoline_kernelINS0_14default_configENS1_21merge_config_selectorIfNS0_10empty_typeEEEZNS1_10merge_implIS3_N6thrust23THRUST_200600_302600_NS6detail15normal_iteratorINS9_10device_ptrIKfEEEESF_NS9_16discard_iteratorINS9_11use_defaultEEEPS5_SJ_SJ_NS9_4lessIfEEEE10hipError_tPvRmT0_T1_T2_T3_T4_T5_mmT6_P12ihipStream_tbEUlT_E_NS1_11comp_targetILNS1_3genE9ELNS1_11target_archE1100ELNS1_3gpuE3ELNS1_3repE0EEENS1_30default_config_static_selectorELNS0_4arch9wavefront6targetE1EEEvSQ_
	.p2align	8
	.type	_ZN7rocprim17ROCPRIM_400000_NS6detail17trampoline_kernelINS0_14default_configENS1_21merge_config_selectorIfNS0_10empty_typeEEEZNS1_10merge_implIS3_N6thrust23THRUST_200600_302600_NS6detail15normal_iteratorINS9_10device_ptrIKfEEEESF_NS9_16discard_iteratorINS9_11use_defaultEEEPS5_SJ_SJ_NS9_4lessIfEEEE10hipError_tPvRmT0_T1_T2_T3_T4_T5_mmT6_P12ihipStream_tbEUlT_E_NS1_11comp_targetILNS1_3genE9ELNS1_11target_archE1100ELNS1_3gpuE3ELNS1_3repE0EEENS1_30default_config_static_selectorELNS0_4arch9wavefront6targetE1EEEvSQ_,@function
_ZN7rocprim17ROCPRIM_400000_NS6detail17trampoline_kernelINS0_14default_configENS1_21merge_config_selectorIfNS0_10empty_typeEEEZNS1_10merge_implIS3_N6thrust23THRUST_200600_302600_NS6detail15normal_iteratorINS9_10device_ptrIKfEEEESF_NS9_16discard_iteratorINS9_11use_defaultEEEPS5_SJ_SJ_NS9_4lessIfEEEE10hipError_tPvRmT0_T1_T2_T3_T4_T5_mmT6_P12ihipStream_tbEUlT_E_NS1_11comp_targetILNS1_3genE9ELNS1_11target_archE1100ELNS1_3gpuE3ELNS1_3repE0EEENS1_30default_config_static_selectorELNS0_4arch9wavefront6targetE1EEEvSQ_: ; @_ZN7rocprim17ROCPRIM_400000_NS6detail17trampoline_kernelINS0_14default_configENS1_21merge_config_selectorIfNS0_10empty_typeEEEZNS1_10merge_implIS3_N6thrust23THRUST_200600_302600_NS6detail15normal_iteratorINS9_10device_ptrIKfEEEESF_NS9_16discard_iteratorINS9_11use_defaultEEEPS5_SJ_SJ_NS9_4lessIfEEEE10hipError_tPvRmT0_T1_T2_T3_T4_T5_mmT6_P12ihipStream_tbEUlT_E_NS1_11comp_targetILNS1_3genE9ELNS1_11target_archE1100ELNS1_3gpuE3ELNS1_3repE0EEENS1_30default_config_static_selectorELNS0_4arch9wavefront6targetE1EEEvSQ_
; %bb.0:
	.section	.rodata,"a",@progbits
	.p2align	6, 0x0
	.amdhsa_kernel _ZN7rocprim17ROCPRIM_400000_NS6detail17trampoline_kernelINS0_14default_configENS1_21merge_config_selectorIfNS0_10empty_typeEEEZNS1_10merge_implIS3_N6thrust23THRUST_200600_302600_NS6detail15normal_iteratorINS9_10device_ptrIKfEEEESF_NS9_16discard_iteratorINS9_11use_defaultEEEPS5_SJ_SJ_NS9_4lessIfEEEE10hipError_tPvRmT0_T1_T2_T3_T4_T5_mmT6_P12ihipStream_tbEUlT_E_NS1_11comp_targetILNS1_3genE9ELNS1_11target_archE1100ELNS1_3gpuE3ELNS1_3repE0EEENS1_30default_config_static_selectorELNS0_4arch9wavefront6targetE1EEEvSQ_
		.amdhsa_group_segment_fixed_size 0
		.amdhsa_private_segment_fixed_size 0
		.amdhsa_kernarg_size 48
		.amdhsa_user_sgpr_count 6
		.amdhsa_user_sgpr_private_segment_buffer 1
		.amdhsa_user_sgpr_dispatch_ptr 0
		.amdhsa_user_sgpr_queue_ptr 0
		.amdhsa_user_sgpr_kernarg_segment_ptr 1
		.amdhsa_user_sgpr_dispatch_id 0
		.amdhsa_user_sgpr_flat_scratch_init 0
		.amdhsa_user_sgpr_kernarg_preload_length 0
		.amdhsa_user_sgpr_kernarg_preload_offset 0
		.amdhsa_user_sgpr_private_segment_size 0
		.amdhsa_uses_dynamic_stack 0
		.amdhsa_system_sgpr_private_segment_wavefront_offset 0
		.amdhsa_system_sgpr_workgroup_id_x 1
		.amdhsa_system_sgpr_workgroup_id_y 0
		.amdhsa_system_sgpr_workgroup_id_z 0
		.amdhsa_system_sgpr_workgroup_info 0
		.amdhsa_system_vgpr_workitem_id 0
		.amdhsa_next_free_vgpr 1
		.amdhsa_next_free_sgpr 0
		.amdhsa_accum_offset 4
		.amdhsa_reserve_vcc 0
		.amdhsa_reserve_flat_scratch 0
		.amdhsa_float_round_mode_32 0
		.amdhsa_float_round_mode_16_64 0
		.amdhsa_float_denorm_mode_32 3
		.amdhsa_float_denorm_mode_16_64 3
		.amdhsa_dx10_clamp 1
		.amdhsa_ieee_mode 1
		.amdhsa_fp16_overflow 0
		.amdhsa_tg_split 0
		.amdhsa_exception_fp_ieee_invalid_op 0
		.amdhsa_exception_fp_denorm_src 0
		.amdhsa_exception_fp_ieee_div_zero 0
		.amdhsa_exception_fp_ieee_overflow 0
		.amdhsa_exception_fp_ieee_underflow 0
		.amdhsa_exception_fp_ieee_inexact 0
		.amdhsa_exception_int_div_zero 0
	.end_amdhsa_kernel
	.section	.text._ZN7rocprim17ROCPRIM_400000_NS6detail17trampoline_kernelINS0_14default_configENS1_21merge_config_selectorIfNS0_10empty_typeEEEZNS1_10merge_implIS3_N6thrust23THRUST_200600_302600_NS6detail15normal_iteratorINS9_10device_ptrIKfEEEESF_NS9_16discard_iteratorINS9_11use_defaultEEEPS5_SJ_SJ_NS9_4lessIfEEEE10hipError_tPvRmT0_T1_T2_T3_T4_T5_mmT6_P12ihipStream_tbEUlT_E_NS1_11comp_targetILNS1_3genE9ELNS1_11target_archE1100ELNS1_3gpuE3ELNS1_3repE0EEENS1_30default_config_static_selectorELNS0_4arch9wavefront6targetE1EEEvSQ_,"axG",@progbits,_ZN7rocprim17ROCPRIM_400000_NS6detail17trampoline_kernelINS0_14default_configENS1_21merge_config_selectorIfNS0_10empty_typeEEEZNS1_10merge_implIS3_N6thrust23THRUST_200600_302600_NS6detail15normal_iteratorINS9_10device_ptrIKfEEEESF_NS9_16discard_iteratorINS9_11use_defaultEEEPS5_SJ_SJ_NS9_4lessIfEEEE10hipError_tPvRmT0_T1_T2_T3_T4_T5_mmT6_P12ihipStream_tbEUlT_E_NS1_11comp_targetILNS1_3genE9ELNS1_11target_archE1100ELNS1_3gpuE3ELNS1_3repE0EEENS1_30default_config_static_selectorELNS0_4arch9wavefront6targetE1EEEvSQ_,comdat
.Lfunc_end342:
	.size	_ZN7rocprim17ROCPRIM_400000_NS6detail17trampoline_kernelINS0_14default_configENS1_21merge_config_selectorIfNS0_10empty_typeEEEZNS1_10merge_implIS3_N6thrust23THRUST_200600_302600_NS6detail15normal_iteratorINS9_10device_ptrIKfEEEESF_NS9_16discard_iteratorINS9_11use_defaultEEEPS5_SJ_SJ_NS9_4lessIfEEEE10hipError_tPvRmT0_T1_T2_T3_T4_T5_mmT6_P12ihipStream_tbEUlT_E_NS1_11comp_targetILNS1_3genE9ELNS1_11target_archE1100ELNS1_3gpuE3ELNS1_3repE0EEENS1_30default_config_static_selectorELNS0_4arch9wavefront6targetE1EEEvSQ_, .Lfunc_end342-_ZN7rocprim17ROCPRIM_400000_NS6detail17trampoline_kernelINS0_14default_configENS1_21merge_config_selectorIfNS0_10empty_typeEEEZNS1_10merge_implIS3_N6thrust23THRUST_200600_302600_NS6detail15normal_iteratorINS9_10device_ptrIKfEEEESF_NS9_16discard_iteratorINS9_11use_defaultEEEPS5_SJ_SJ_NS9_4lessIfEEEE10hipError_tPvRmT0_T1_T2_T3_T4_T5_mmT6_P12ihipStream_tbEUlT_E_NS1_11comp_targetILNS1_3genE9ELNS1_11target_archE1100ELNS1_3gpuE3ELNS1_3repE0EEENS1_30default_config_static_selectorELNS0_4arch9wavefront6targetE1EEEvSQ_
                                        ; -- End function
	.section	.AMDGPU.csdata,"",@progbits
; Kernel info:
; codeLenInByte = 0
; NumSgprs: 4
; NumVgprs: 0
; NumAgprs: 0
; TotalNumVgprs: 0
; ScratchSize: 0
; MemoryBound: 0
; FloatMode: 240
; IeeeMode: 1
; LDSByteSize: 0 bytes/workgroup (compile time only)
; SGPRBlocks: 0
; VGPRBlocks: 0
; NumSGPRsForWavesPerEU: 4
; NumVGPRsForWavesPerEU: 1
; AccumOffset: 4
; Occupancy: 8
; WaveLimiterHint : 0
; COMPUTE_PGM_RSRC2:SCRATCH_EN: 0
; COMPUTE_PGM_RSRC2:USER_SGPR: 6
; COMPUTE_PGM_RSRC2:TRAP_HANDLER: 0
; COMPUTE_PGM_RSRC2:TGID_X_EN: 1
; COMPUTE_PGM_RSRC2:TGID_Y_EN: 0
; COMPUTE_PGM_RSRC2:TGID_Z_EN: 0
; COMPUTE_PGM_RSRC2:TIDIG_COMP_CNT: 0
; COMPUTE_PGM_RSRC3_GFX90A:ACCUM_OFFSET: 0
; COMPUTE_PGM_RSRC3_GFX90A:TG_SPLIT: 0
	.section	.text._ZN7rocprim17ROCPRIM_400000_NS6detail17trampoline_kernelINS0_14default_configENS1_21merge_config_selectorIfNS0_10empty_typeEEEZNS1_10merge_implIS3_N6thrust23THRUST_200600_302600_NS6detail15normal_iteratorINS9_10device_ptrIKfEEEESF_NS9_16discard_iteratorINS9_11use_defaultEEEPS5_SJ_SJ_NS9_4lessIfEEEE10hipError_tPvRmT0_T1_T2_T3_T4_T5_mmT6_P12ihipStream_tbEUlT_E_NS1_11comp_targetILNS1_3genE8ELNS1_11target_archE1030ELNS1_3gpuE2ELNS1_3repE0EEENS1_30default_config_static_selectorELNS0_4arch9wavefront6targetE1EEEvSQ_,"axG",@progbits,_ZN7rocprim17ROCPRIM_400000_NS6detail17trampoline_kernelINS0_14default_configENS1_21merge_config_selectorIfNS0_10empty_typeEEEZNS1_10merge_implIS3_N6thrust23THRUST_200600_302600_NS6detail15normal_iteratorINS9_10device_ptrIKfEEEESF_NS9_16discard_iteratorINS9_11use_defaultEEEPS5_SJ_SJ_NS9_4lessIfEEEE10hipError_tPvRmT0_T1_T2_T3_T4_T5_mmT6_P12ihipStream_tbEUlT_E_NS1_11comp_targetILNS1_3genE8ELNS1_11target_archE1030ELNS1_3gpuE2ELNS1_3repE0EEENS1_30default_config_static_selectorELNS0_4arch9wavefront6targetE1EEEvSQ_,comdat
	.protected	_ZN7rocprim17ROCPRIM_400000_NS6detail17trampoline_kernelINS0_14default_configENS1_21merge_config_selectorIfNS0_10empty_typeEEEZNS1_10merge_implIS3_N6thrust23THRUST_200600_302600_NS6detail15normal_iteratorINS9_10device_ptrIKfEEEESF_NS9_16discard_iteratorINS9_11use_defaultEEEPS5_SJ_SJ_NS9_4lessIfEEEE10hipError_tPvRmT0_T1_T2_T3_T4_T5_mmT6_P12ihipStream_tbEUlT_E_NS1_11comp_targetILNS1_3genE8ELNS1_11target_archE1030ELNS1_3gpuE2ELNS1_3repE0EEENS1_30default_config_static_selectorELNS0_4arch9wavefront6targetE1EEEvSQ_ ; -- Begin function _ZN7rocprim17ROCPRIM_400000_NS6detail17trampoline_kernelINS0_14default_configENS1_21merge_config_selectorIfNS0_10empty_typeEEEZNS1_10merge_implIS3_N6thrust23THRUST_200600_302600_NS6detail15normal_iteratorINS9_10device_ptrIKfEEEESF_NS9_16discard_iteratorINS9_11use_defaultEEEPS5_SJ_SJ_NS9_4lessIfEEEE10hipError_tPvRmT0_T1_T2_T3_T4_T5_mmT6_P12ihipStream_tbEUlT_E_NS1_11comp_targetILNS1_3genE8ELNS1_11target_archE1030ELNS1_3gpuE2ELNS1_3repE0EEENS1_30default_config_static_selectorELNS0_4arch9wavefront6targetE1EEEvSQ_
	.globl	_ZN7rocprim17ROCPRIM_400000_NS6detail17trampoline_kernelINS0_14default_configENS1_21merge_config_selectorIfNS0_10empty_typeEEEZNS1_10merge_implIS3_N6thrust23THRUST_200600_302600_NS6detail15normal_iteratorINS9_10device_ptrIKfEEEESF_NS9_16discard_iteratorINS9_11use_defaultEEEPS5_SJ_SJ_NS9_4lessIfEEEE10hipError_tPvRmT0_T1_T2_T3_T4_T5_mmT6_P12ihipStream_tbEUlT_E_NS1_11comp_targetILNS1_3genE8ELNS1_11target_archE1030ELNS1_3gpuE2ELNS1_3repE0EEENS1_30default_config_static_selectorELNS0_4arch9wavefront6targetE1EEEvSQ_
	.p2align	8
	.type	_ZN7rocprim17ROCPRIM_400000_NS6detail17trampoline_kernelINS0_14default_configENS1_21merge_config_selectorIfNS0_10empty_typeEEEZNS1_10merge_implIS3_N6thrust23THRUST_200600_302600_NS6detail15normal_iteratorINS9_10device_ptrIKfEEEESF_NS9_16discard_iteratorINS9_11use_defaultEEEPS5_SJ_SJ_NS9_4lessIfEEEE10hipError_tPvRmT0_T1_T2_T3_T4_T5_mmT6_P12ihipStream_tbEUlT_E_NS1_11comp_targetILNS1_3genE8ELNS1_11target_archE1030ELNS1_3gpuE2ELNS1_3repE0EEENS1_30default_config_static_selectorELNS0_4arch9wavefront6targetE1EEEvSQ_,@function
_ZN7rocprim17ROCPRIM_400000_NS6detail17trampoline_kernelINS0_14default_configENS1_21merge_config_selectorIfNS0_10empty_typeEEEZNS1_10merge_implIS3_N6thrust23THRUST_200600_302600_NS6detail15normal_iteratorINS9_10device_ptrIKfEEEESF_NS9_16discard_iteratorINS9_11use_defaultEEEPS5_SJ_SJ_NS9_4lessIfEEEE10hipError_tPvRmT0_T1_T2_T3_T4_T5_mmT6_P12ihipStream_tbEUlT_E_NS1_11comp_targetILNS1_3genE8ELNS1_11target_archE1030ELNS1_3gpuE2ELNS1_3repE0EEENS1_30default_config_static_selectorELNS0_4arch9wavefront6targetE1EEEvSQ_: ; @_ZN7rocprim17ROCPRIM_400000_NS6detail17trampoline_kernelINS0_14default_configENS1_21merge_config_selectorIfNS0_10empty_typeEEEZNS1_10merge_implIS3_N6thrust23THRUST_200600_302600_NS6detail15normal_iteratorINS9_10device_ptrIKfEEEESF_NS9_16discard_iteratorINS9_11use_defaultEEEPS5_SJ_SJ_NS9_4lessIfEEEE10hipError_tPvRmT0_T1_T2_T3_T4_T5_mmT6_P12ihipStream_tbEUlT_E_NS1_11comp_targetILNS1_3genE8ELNS1_11target_archE1030ELNS1_3gpuE2ELNS1_3repE0EEENS1_30default_config_static_selectorELNS0_4arch9wavefront6targetE1EEEvSQ_
; %bb.0:
	.section	.rodata,"a",@progbits
	.p2align	6, 0x0
	.amdhsa_kernel _ZN7rocprim17ROCPRIM_400000_NS6detail17trampoline_kernelINS0_14default_configENS1_21merge_config_selectorIfNS0_10empty_typeEEEZNS1_10merge_implIS3_N6thrust23THRUST_200600_302600_NS6detail15normal_iteratorINS9_10device_ptrIKfEEEESF_NS9_16discard_iteratorINS9_11use_defaultEEEPS5_SJ_SJ_NS9_4lessIfEEEE10hipError_tPvRmT0_T1_T2_T3_T4_T5_mmT6_P12ihipStream_tbEUlT_E_NS1_11comp_targetILNS1_3genE8ELNS1_11target_archE1030ELNS1_3gpuE2ELNS1_3repE0EEENS1_30default_config_static_selectorELNS0_4arch9wavefront6targetE1EEEvSQ_
		.amdhsa_group_segment_fixed_size 0
		.amdhsa_private_segment_fixed_size 0
		.amdhsa_kernarg_size 48
		.amdhsa_user_sgpr_count 6
		.amdhsa_user_sgpr_private_segment_buffer 1
		.amdhsa_user_sgpr_dispatch_ptr 0
		.amdhsa_user_sgpr_queue_ptr 0
		.amdhsa_user_sgpr_kernarg_segment_ptr 1
		.amdhsa_user_sgpr_dispatch_id 0
		.amdhsa_user_sgpr_flat_scratch_init 0
		.amdhsa_user_sgpr_kernarg_preload_length 0
		.amdhsa_user_sgpr_kernarg_preload_offset 0
		.amdhsa_user_sgpr_private_segment_size 0
		.amdhsa_uses_dynamic_stack 0
		.amdhsa_system_sgpr_private_segment_wavefront_offset 0
		.amdhsa_system_sgpr_workgroup_id_x 1
		.amdhsa_system_sgpr_workgroup_id_y 0
		.amdhsa_system_sgpr_workgroup_id_z 0
		.amdhsa_system_sgpr_workgroup_info 0
		.amdhsa_system_vgpr_workitem_id 0
		.amdhsa_next_free_vgpr 1
		.amdhsa_next_free_sgpr 0
		.amdhsa_accum_offset 4
		.amdhsa_reserve_vcc 0
		.amdhsa_reserve_flat_scratch 0
		.amdhsa_float_round_mode_32 0
		.amdhsa_float_round_mode_16_64 0
		.amdhsa_float_denorm_mode_32 3
		.amdhsa_float_denorm_mode_16_64 3
		.amdhsa_dx10_clamp 1
		.amdhsa_ieee_mode 1
		.amdhsa_fp16_overflow 0
		.amdhsa_tg_split 0
		.amdhsa_exception_fp_ieee_invalid_op 0
		.amdhsa_exception_fp_denorm_src 0
		.amdhsa_exception_fp_ieee_div_zero 0
		.amdhsa_exception_fp_ieee_overflow 0
		.amdhsa_exception_fp_ieee_underflow 0
		.amdhsa_exception_fp_ieee_inexact 0
		.amdhsa_exception_int_div_zero 0
	.end_amdhsa_kernel
	.section	.text._ZN7rocprim17ROCPRIM_400000_NS6detail17trampoline_kernelINS0_14default_configENS1_21merge_config_selectorIfNS0_10empty_typeEEEZNS1_10merge_implIS3_N6thrust23THRUST_200600_302600_NS6detail15normal_iteratorINS9_10device_ptrIKfEEEESF_NS9_16discard_iteratorINS9_11use_defaultEEEPS5_SJ_SJ_NS9_4lessIfEEEE10hipError_tPvRmT0_T1_T2_T3_T4_T5_mmT6_P12ihipStream_tbEUlT_E_NS1_11comp_targetILNS1_3genE8ELNS1_11target_archE1030ELNS1_3gpuE2ELNS1_3repE0EEENS1_30default_config_static_selectorELNS0_4arch9wavefront6targetE1EEEvSQ_,"axG",@progbits,_ZN7rocprim17ROCPRIM_400000_NS6detail17trampoline_kernelINS0_14default_configENS1_21merge_config_selectorIfNS0_10empty_typeEEEZNS1_10merge_implIS3_N6thrust23THRUST_200600_302600_NS6detail15normal_iteratorINS9_10device_ptrIKfEEEESF_NS9_16discard_iteratorINS9_11use_defaultEEEPS5_SJ_SJ_NS9_4lessIfEEEE10hipError_tPvRmT0_T1_T2_T3_T4_T5_mmT6_P12ihipStream_tbEUlT_E_NS1_11comp_targetILNS1_3genE8ELNS1_11target_archE1030ELNS1_3gpuE2ELNS1_3repE0EEENS1_30default_config_static_selectorELNS0_4arch9wavefront6targetE1EEEvSQ_,comdat
.Lfunc_end343:
	.size	_ZN7rocprim17ROCPRIM_400000_NS6detail17trampoline_kernelINS0_14default_configENS1_21merge_config_selectorIfNS0_10empty_typeEEEZNS1_10merge_implIS3_N6thrust23THRUST_200600_302600_NS6detail15normal_iteratorINS9_10device_ptrIKfEEEESF_NS9_16discard_iteratorINS9_11use_defaultEEEPS5_SJ_SJ_NS9_4lessIfEEEE10hipError_tPvRmT0_T1_T2_T3_T4_T5_mmT6_P12ihipStream_tbEUlT_E_NS1_11comp_targetILNS1_3genE8ELNS1_11target_archE1030ELNS1_3gpuE2ELNS1_3repE0EEENS1_30default_config_static_selectorELNS0_4arch9wavefront6targetE1EEEvSQ_, .Lfunc_end343-_ZN7rocprim17ROCPRIM_400000_NS6detail17trampoline_kernelINS0_14default_configENS1_21merge_config_selectorIfNS0_10empty_typeEEEZNS1_10merge_implIS3_N6thrust23THRUST_200600_302600_NS6detail15normal_iteratorINS9_10device_ptrIKfEEEESF_NS9_16discard_iteratorINS9_11use_defaultEEEPS5_SJ_SJ_NS9_4lessIfEEEE10hipError_tPvRmT0_T1_T2_T3_T4_T5_mmT6_P12ihipStream_tbEUlT_E_NS1_11comp_targetILNS1_3genE8ELNS1_11target_archE1030ELNS1_3gpuE2ELNS1_3repE0EEENS1_30default_config_static_selectorELNS0_4arch9wavefront6targetE1EEEvSQ_
                                        ; -- End function
	.section	.AMDGPU.csdata,"",@progbits
; Kernel info:
; codeLenInByte = 0
; NumSgprs: 4
; NumVgprs: 0
; NumAgprs: 0
; TotalNumVgprs: 0
; ScratchSize: 0
; MemoryBound: 0
; FloatMode: 240
; IeeeMode: 1
; LDSByteSize: 0 bytes/workgroup (compile time only)
; SGPRBlocks: 0
; VGPRBlocks: 0
; NumSGPRsForWavesPerEU: 4
; NumVGPRsForWavesPerEU: 1
; AccumOffset: 4
; Occupancy: 8
; WaveLimiterHint : 0
; COMPUTE_PGM_RSRC2:SCRATCH_EN: 0
; COMPUTE_PGM_RSRC2:USER_SGPR: 6
; COMPUTE_PGM_RSRC2:TRAP_HANDLER: 0
; COMPUTE_PGM_RSRC2:TGID_X_EN: 1
; COMPUTE_PGM_RSRC2:TGID_Y_EN: 0
; COMPUTE_PGM_RSRC2:TGID_Z_EN: 0
; COMPUTE_PGM_RSRC2:TIDIG_COMP_CNT: 0
; COMPUTE_PGM_RSRC3_GFX90A:ACCUM_OFFSET: 0
; COMPUTE_PGM_RSRC3_GFX90A:TG_SPLIT: 0
	.section	.text._ZN7rocprim17ROCPRIM_400000_NS6detail17trampoline_kernelINS0_14default_configENS1_21merge_config_selectorIfNS0_10empty_typeEEEZNS1_10merge_implIS3_N6thrust23THRUST_200600_302600_NS6detail15normal_iteratorINS9_10device_ptrIKfEEEESF_NS9_16discard_iteratorINS9_11use_defaultEEEPS5_SJ_SJ_NS9_4lessIfEEEE10hipError_tPvRmT0_T1_T2_T3_T4_T5_mmT6_P12ihipStream_tbEUlT_E0_NS1_11comp_targetILNS1_3genE0ELNS1_11target_archE4294967295ELNS1_3gpuE0ELNS1_3repE0EEENS1_30default_config_static_selectorELNS0_4arch9wavefront6targetE1EEEvSQ_,"axG",@progbits,_ZN7rocprim17ROCPRIM_400000_NS6detail17trampoline_kernelINS0_14default_configENS1_21merge_config_selectorIfNS0_10empty_typeEEEZNS1_10merge_implIS3_N6thrust23THRUST_200600_302600_NS6detail15normal_iteratorINS9_10device_ptrIKfEEEESF_NS9_16discard_iteratorINS9_11use_defaultEEEPS5_SJ_SJ_NS9_4lessIfEEEE10hipError_tPvRmT0_T1_T2_T3_T4_T5_mmT6_P12ihipStream_tbEUlT_E0_NS1_11comp_targetILNS1_3genE0ELNS1_11target_archE4294967295ELNS1_3gpuE0ELNS1_3repE0EEENS1_30default_config_static_selectorELNS0_4arch9wavefront6targetE1EEEvSQ_,comdat
	.protected	_ZN7rocprim17ROCPRIM_400000_NS6detail17trampoline_kernelINS0_14default_configENS1_21merge_config_selectorIfNS0_10empty_typeEEEZNS1_10merge_implIS3_N6thrust23THRUST_200600_302600_NS6detail15normal_iteratorINS9_10device_ptrIKfEEEESF_NS9_16discard_iteratorINS9_11use_defaultEEEPS5_SJ_SJ_NS9_4lessIfEEEE10hipError_tPvRmT0_T1_T2_T3_T4_T5_mmT6_P12ihipStream_tbEUlT_E0_NS1_11comp_targetILNS1_3genE0ELNS1_11target_archE4294967295ELNS1_3gpuE0ELNS1_3repE0EEENS1_30default_config_static_selectorELNS0_4arch9wavefront6targetE1EEEvSQ_ ; -- Begin function _ZN7rocprim17ROCPRIM_400000_NS6detail17trampoline_kernelINS0_14default_configENS1_21merge_config_selectorIfNS0_10empty_typeEEEZNS1_10merge_implIS3_N6thrust23THRUST_200600_302600_NS6detail15normal_iteratorINS9_10device_ptrIKfEEEESF_NS9_16discard_iteratorINS9_11use_defaultEEEPS5_SJ_SJ_NS9_4lessIfEEEE10hipError_tPvRmT0_T1_T2_T3_T4_T5_mmT6_P12ihipStream_tbEUlT_E0_NS1_11comp_targetILNS1_3genE0ELNS1_11target_archE4294967295ELNS1_3gpuE0ELNS1_3repE0EEENS1_30default_config_static_selectorELNS0_4arch9wavefront6targetE1EEEvSQ_
	.globl	_ZN7rocprim17ROCPRIM_400000_NS6detail17trampoline_kernelINS0_14default_configENS1_21merge_config_selectorIfNS0_10empty_typeEEEZNS1_10merge_implIS3_N6thrust23THRUST_200600_302600_NS6detail15normal_iteratorINS9_10device_ptrIKfEEEESF_NS9_16discard_iteratorINS9_11use_defaultEEEPS5_SJ_SJ_NS9_4lessIfEEEE10hipError_tPvRmT0_T1_T2_T3_T4_T5_mmT6_P12ihipStream_tbEUlT_E0_NS1_11comp_targetILNS1_3genE0ELNS1_11target_archE4294967295ELNS1_3gpuE0ELNS1_3repE0EEENS1_30default_config_static_selectorELNS0_4arch9wavefront6targetE1EEEvSQ_
	.p2align	8
	.type	_ZN7rocprim17ROCPRIM_400000_NS6detail17trampoline_kernelINS0_14default_configENS1_21merge_config_selectorIfNS0_10empty_typeEEEZNS1_10merge_implIS3_N6thrust23THRUST_200600_302600_NS6detail15normal_iteratorINS9_10device_ptrIKfEEEESF_NS9_16discard_iteratorINS9_11use_defaultEEEPS5_SJ_SJ_NS9_4lessIfEEEE10hipError_tPvRmT0_T1_T2_T3_T4_T5_mmT6_P12ihipStream_tbEUlT_E0_NS1_11comp_targetILNS1_3genE0ELNS1_11target_archE4294967295ELNS1_3gpuE0ELNS1_3repE0EEENS1_30default_config_static_selectorELNS0_4arch9wavefront6targetE1EEEvSQ_,@function
_ZN7rocprim17ROCPRIM_400000_NS6detail17trampoline_kernelINS0_14default_configENS1_21merge_config_selectorIfNS0_10empty_typeEEEZNS1_10merge_implIS3_N6thrust23THRUST_200600_302600_NS6detail15normal_iteratorINS9_10device_ptrIKfEEEESF_NS9_16discard_iteratorINS9_11use_defaultEEEPS5_SJ_SJ_NS9_4lessIfEEEE10hipError_tPvRmT0_T1_T2_T3_T4_T5_mmT6_P12ihipStream_tbEUlT_E0_NS1_11comp_targetILNS1_3genE0ELNS1_11target_archE4294967295ELNS1_3gpuE0ELNS1_3repE0EEENS1_30default_config_static_selectorELNS0_4arch9wavefront6targetE1EEEvSQ_: ; @_ZN7rocprim17ROCPRIM_400000_NS6detail17trampoline_kernelINS0_14default_configENS1_21merge_config_selectorIfNS0_10empty_typeEEEZNS1_10merge_implIS3_N6thrust23THRUST_200600_302600_NS6detail15normal_iteratorINS9_10device_ptrIKfEEEESF_NS9_16discard_iteratorINS9_11use_defaultEEEPS5_SJ_SJ_NS9_4lessIfEEEE10hipError_tPvRmT0_T1_T2_T3_T4_T5_mmT6_P12ihipStream_tbEUlT_E0_NS1_11comp_targetILNS1_3genE0ELNS1_11target_archE4294967295ELNS1_3gpuE0ELNS1_3repE0EEENS1_30default_config_static_selectorELNS0_4arch9wavefront6targetE1EEEvSQ_
; %bb.0:
	.section	.rodata,"a",@progbits
	.p2align	6, 0x0
	.amdhsa_kernel _ZN7rocprim17ROCPRIM_400000_NS6detail17trampoline_kernelINS0_14default_configENS1_21merge_config_selectorIfNS0_10empty_typeEEEZNS1_10merge_implIS3_N6thrust23THRUST_200600_302600_NS6detail15normal_iteratorINS9_10device_ptrIKfEEEESF_NS9_16discard_iteratorINS9_11use_defaultEEEPS5_SJ_SJ_NS9_4lessIfEEEE10hipError_tPvRmT0_T1_T2_T3_T4_T5_mmT6_P12ihipStream_tbEUlT_E0_NS1_11comp_targetILNS1_3genE0ELNS1_11target_archE4294967295ELNS1_3gpuE0ELNS1_3repE0EEENS1_30default_config_static_selectorELNS0_4arch9wavefront6targetE1EEEvSQ_
		.amdhsa_group_segment_fixed_size 0
		.amdhsa_private_segment_fixed_size 0
		.amdhsa_kernarg_size 96
		.amdhsa_user_sgpr_count 6
		.amdhsa_user_sgpr_private_segment_buffer 1
		.amdhsa_user_sgpr_dispatch_ptr 0
		.amdhsa_user_sgpr_queue_ptr 0
		.amdhsa_user_sgpr_kernarg_segment_ptr 1
		.amdhsa_user_sgpr_dispatch_id 0
		.amdhsa_user_sgpr_flat_scratch_init 0
		.amdhsa_user_sgpr_kernarg_preload_length 0
		.amdhsa_user_sgpr_kernarg_preload_offset 0
		.amdhsa_user_sgpr_private_segment_size 0
		.amdhsa_uses_dynamic_stack 0
		.amdhsa_system_sgpr_private_segment_wavefront_offset 0
		.amdhsa_system_sgpr_workgroup_id_x 1
		.amdhsa_system_sgpr_workgroup_id_y 0
		.amdhsa_system_sgpr_workgroup_id_z 0
		.amdhsa_system_sgpr_workgroup_info 0
		.amdhsa_system_vgpr_workitem_id 0
		.amdhsa_next_free_vgpr 1
		.amdhsa_next_free_sgpr 0
		.amdhsa_accum_offset 4
		.amdhsa_reserve_vcc 0
		.amdhsa_reserve_flat_scratch 0
		.amdhsa_float_round_mode_32 0
		.amdhsa_float_round_mode_16_64 0
		.amdhsa_float_denorm_mode_32 3
		.amdhsa_float_denorm_mode_16_64 3
		.amdhsa_dx10_clamp 1
		.amdhsa_ieee_mode 1
		.amdhsa_fp16_overflow 0
		.amdhsa_tg_split 0
		.amdhsa_exception_fp_ieee_invalid_op 0
		.amdhsa_exception_fp_denorm_src 0
		.amdhsa_exception_fp_ieee_div_zero 0
		.amdhsa_exception_fp_ieee_overflow 0
		.amdhsa_exception_fp_ieee_underflow 0
		.amdhsa_exception_fp_ieee_inexact 0
		.amdhsa_exception_int_div_zero 0
	.end_amdhsa_kernel
	.section	.text._ZN7rocprim17ROCPRIM_400000_NS6detail17trampoline_kernelINS0_14default_configENS1_21merge_config_selectorIfNS0_10empty_typeEEEZNS1_10merge_implIS3_N6thrust23THRUST_200600_302600_NS6detail15normal_iteratorINS9_10device_ptrIKfEEEESF_NS9_16discard_iteratorINS9_11use_defaultEEEPS5_SJ_SJ_NS9_4lessIfEEEE10hipError_tPvRmT0_T1_T2_T3_T4_T5_mmT6_P12ihipStream_tbEUlT_E0_NS1_11comp_targetILNS1_3genE0ELNS1_11target_archE4294967295ELNS1_3gpuE0ELNS1_3repE0EEENS1_30default_config_static_selectorELNS0_4arch9wavefront6targetE1EEEvSQ_,"axG",@progbits,_ZN7rocprim17ROCPRIM_400000_NS6detail17trampoline_kernelINS0_14default_configENS1_21merge_config_selectorIfNS0_10empty_typeEEEZNS1_10merge_implIS3_N6thrust23THRUST_200600_302600_NS6detail15normal_iteratorINS9_10device_ptrIKfEEEESF_NS9_16discard_iteratorINS9_11use_defaultEEEPS5_SJ_SJ_NS9_4lessIfEEEE10hipError_tPvRmT0_T1_T2_T3_T4_T5_mmT6_P12ihipStream_tbEUlT_E0_NS1_11comp_targetILNS1_3genE0ELNS1_11target_archE4294967295ELNS1_3gpuE0ELNS1_3repE0EEENS1_30default_config_static_selectorELNS0_4arch9wavefront6targetE1EEEvSQ_,comdat
.Lfunc_end344:
	.size	_ZN7rocprim17ROCPRIM_400000_NS6detail17trampoline_kernelINS0_14default_configENS1_21merge_config_selectorIfNS0_10empty_typeEEEZNS1_10merge_implIS3_N6thrust23THRUST_200600_302600_NS6detail15normal_iteratorINS9_10device_ptrIKfEEEESF_NS9_16discard_iteratorINS9_11use_defaultEEEPS5_SJ_SJ_NS9_4lessIfEEEE10hipError_tPvRmT0_T1_T2_T3_T4_T5_mmT6_P12ihipStream_tbEUlT_E0_NS1_11comp_targetILNS1_3genE0ELNS1_11target_archE4294967295ELNS1_3gpuE0ELNS1_3repE0EEENS1_30default_config_static_selectorELNS0_4arch9wavefront6targetE1EEEvSQ_, .Lfunc_end344-_ZN7rocprim17ROCPRIM_400000_NS6detail17trampoline_kernelINS0_14default_configENS1_21merge_config_selectorIfNS0_10empty_typeEEEZNS1_10merge_implIS3_N6thrust23THRUST_200600_302600_NS6detail15normal_iteratorINS9_10device_ptrIKfEEEESF_NS9_16discard_iteratorINS9_11use_defaultEEEPS5_SJ_SJ_NS9_4lessIfEEEE10hipError_tPvRmT0_T1_T2_T3_T4_T5_mmT6_P12ihipStream_tbEUlT_E0_NS1_11comp_targetILNS1_3genE0ELNS1_11target_archE4294967295ELNS1_3gpuE0ELNS1_3repE0EEENS1_30default_config_static_selectorELNS0_4arch9wavefront6targetE1EEEvSQ_
                                        ; -- End function
	.section	.AMDGPU.csdata,"",@progbits
; Kernel info:
; codeLenInByte = 0
; NumSgprs: 4
; NumVgprs: 0
; NumAgprs: 0
; TotalNumVgprs: 0
; ScratchSize: 0
; MemoryBound: 0
; FloatMode: 240
; IeeeMode: 1
; LDSByteSize: 0 bytes/workgroup (compile time only)
; SGPRBlocks: 0
; VGPRBlocks: 0
; NumSGPRsForWavesPerEU: 4
; NumVGPRsForWavesPerEU: 1
; AccumOffset: 4
; Occupancy: 8
; WaveLimiterHint : 0
; COMPUTE_PGM_RSRC2:SCRATCH_EN: 0
; COMPUTE_PGM_RSRC2:USER_SGPR: 6
; COMPUTE_PGM_RSRC2:TRAP_HANDLER: 0
; COMPUTE_PGM_RSRC2:TGID_X_EN: 1
; COMPUTE_PGM_RSRC2:TGID_Y_EN: 0
; COMPUTE_PGM_RSRC2:TGID_Z_EN: 0
; COMPUTE_PGM_RSRC2:TIDIG_COMP_CNT: 0
; COMPUTE_PGM_RSRC3_GFX90A:ACCUM_OFFSET: 0
; COMPUTE_PGM_RSRC3_GFX90A:TG_SPLIT: 0
	.section	.text._ZN7rocprim17ROCPRIM_400000_NS6detail17trampoline_kernelINS0_14default_configENS1_21merge_config_selectorIfNS0_10empty_typeEEEZNS1_10merge_implIS3_N6thrust23THRUST_200600_302600_NS6detail15normal_iteratorINS9_10device_ptrIKfEEEESF_NS9_16discard_iteratorINS9_11use_defaultEEEPS5_SJ_SJ_NS9_4lessIfEEEE10hipError_tPvRmT0_T1_T2_T3_T4_T5_mmT6_P12ihipStream_tbEUlT_E0_NS1_11comp_targetILNS1_3genE5ELNS1_11target_archE942ELNS1_3gpuE9ELNS1_3repE0EEENS1_30default_config_static_selectorELNS0_4arch9wavefront6targetE1EEEvSQ_,"axG",@progbits,_ZN7rocprim17ROCPRIM_400000_NS6detail17trampoline_kernelINS0_14default_configENS1_21merge_config_selectorIfNS0_10empty_typeEEEZNS1_10merge_implIS3_N6thrust23THRUST_200600_302600_NS6detail15normal_iteratorINS9_10device_ptrIKfEEEESF_NS9_16discard_iteratorINS9_11use_defaultEEEPS5_SJ_SJ_NS9_4lessIfEEEE10hipError_tPvRmT0_T1_T2_T3_T4_T5_mmT6_P12ihipStream_tbEUlT_E0_NS1_11comp_targetILNS1_3genE5ELNS1_11target_archE942ELNS1_3gpuE9ELNS1_3repE0EEENS1_30default_config_static_selectorELNS0_4arch9wavefront6targetE1EEEvSQ_,comdat
	.protected	_ZN7rocprim17ROCPRIM_400000_NS6detail17trampoline_kernelINS0_14default_configENS1_21merge_config_selectorIfNS0_10empty_typeEEEZNS1_10merge_implIS3_N6thrust23THRUST_200600_302600_NS6detail15normal_iteratorINS9_10device_ptrIKfEEEESF_NS9_16discard_iteratorINS9_11use_defaultEEEPS5_SJ_SJ_NS9_4lessIfEEEE10hipError_tPvRmT0_T1_T2_T3_T4_T5_mmT6_P12ihipStream_tbEUlT_E0_NS1_11comp_targetILNS1_3genE5ELNS1_11target_archE942ELNS1_3gpuE9ELNS1_3repE0EEENS1_30default_config_static_selectorELNS0_4arch9wavefront6targetE1EEEvSQ_ ; -- Begin function _ZN7rocprim17ROCPRIM_400000_NS6detail17trampoline_kernelINS0_14default_configENS1_21merge_config_selectorIfNS0_10empty_typeEEEZNS1_10merge_implIS3_N6thrust23THRUST_200600_302600_NS6detail15normal_iteratorINS9_10device_ptrIKfEEEESF_NS9_16discard_iteratorINS9_11use_defaultEEEPS5_SJ_SJ_NS9_4lessIfEEEE10hipError_tPvRmT0_T1_T2_T3_T4_T5_mmT6_P12ihipStream_tbEUlT_E0_NS1_11comp_targetILNS1_3genE5ELNS1_11target_archE942ELNS1_3gpuE9ELNS1_3repE0EEENS1_30default_config_static_selectorELNS0_4arch9wavefront6targetE1EEEvSQ_
	.globl	_ZN7rocprim17ROCPRIM_400000_NS6detail17trampoline_kernelINS0_14default_configENS1_21merge_config_selectorIfNS0_10empty_typeEEEZNS1_10merge_implIS3_N6thrust23THRUST_200600_302600_NS6detail15normal_iteratorINS9_10device_ptrIKfEEEESF_NS9_16discard_iteratorINS9_11use_defaultEEEPS5_SJ_SJ_NS9_4lessIfEEEE10hipError_tPvRmT0_T1_T2_T3_T4_T5_mmT6_P12ihipStream_tbEUlT_E0_NS1_11comp_targetILNS1_3genE5ELNS1_11target_archE942ELNS1_3gpuE9ELNS1_3repE0EEENS1_30default_config_static_selectorELNS0_4arch9wavefront6targetE1EEEvSQ_
	.p2align	8
	.type	_ZN7rocprim17ROCPRIM_400000_NS6detail17trampoline_kernelINS0_14default_configENS1_21merge_config_selectorIfNS0_10empty_typeEEEZNS1_10merge_implIS3_N6thrust23THRUST_200600_302600_NS6detail15normal_iteratorINS9_10device_ptrIKfEEEESF_NS9_16discard_iteratorINS9_11use_defaultEEEPS5_SJ_SJ_NS9_4lessIfEEEE10hipError_tPvRmT0_T1_T2_T3_T4_T5_mmT6_P12ihipStream_tbEUlT_E0_NS1_11comp_targetILNS1_3genE5ELNS1_11target_archE942ELNS1_3gpuE9ELNS1_3repE0EEENS1_30default_config_static_selectorELNS0_4arch9wavefront6targetE1EEEvSQ_,@function
_ZN7rocprim17ROCPRIM_400000_NS6detail17trampoline_kernelINS0_14default_configENS1_21merge_config_selectorIfNS0_10empty_typeEEEZNS1_10merge_implIS3_N6thrust23THRUST_200600_302600_NS6detail15normal_iteratorINS9_10device_ptrIKfEEEESF_NS9_16discard_iteratorINS9_11use_defaultEEEPS5_SJ_SJ_NS9_4lessIfEEEE10hipError_tPvRmT0_T1_T2_T3_T4_T5_mmT6_P12ihipStream_tbEUlT_E0_NS1_11comp_targetILNS1_3genE5ELNS1_11target_archE942ELNS1_3gpuE9ELNS1_3repE0EEENS1_30default_config_static_selectorELNS0_4arch9wavefront6targetE1EEEvSQ_: ; @_ZN7rocprim17ROCPRIM_400000_NS6detail17trampoline_kernelINS0_14default_configENS1_21merge_config_selectorIfNS0_10empty_typeEEEZNS1_10merge_implIS3_N6thrust23THRUST_200600_302600_NS6detail15normal_iteratorINS9_10device_ptrIKfEEEESF_NS9_16discard_iteratorINS9_11use_defaultEEEPS5_SJ_SJ_NS9_4lessIfEEEE10hipError_tPvRmT0_T1_T2_T3_T4_T5_mmT6_P12ihipStream_tbEUlT_E0_NS1_11comp_targetILNS1_3genE5ELNS1_11target_archE942ELNS1_3gpuE9ELNS1_3repE0EEENS1_30default_config_static_selectorELNS0_4arch9wavefront6targetE1EEEvSQ_
; %bb.0:
	.section	.rodata,"a",@progbits
	.p2align	6, 0x0
	.amdhsa_kernel _ZN7rocprim17ROCPRIM_400000_NS6detail17trampoline_kernelINS0_14default_configENS1_21merge_config_selectorIfNS0_10empty_typeEEEZNS1_10merge_implIS3_N6thrust23THRUST_200600_302600_NS6detail15normal_iteratorINS9_10device_ptrIKfEEEESF_NS9_16discard_iteratorINS9_11use_defaultEEEPS5_SJ_SJ_NS9_4lessIfEEEE10hipError_tPvRmT0_T1_T2_T3_T4_T5_mmT6_P12ihipStream_tbEUlT_E0_NS1_11comp_targetILNS1_3genE5ELNS1_11target_archE942ELNS1_3gpuE9ELNS1_3repE0EEENS1_30default_config_static_selectorELNS0_4arch9wavefront6targetE1EEEvSQ_
		.amdhsa_group_segment_fixed_size 0
		.amdhsa_private_segment_fixed_size 0
		.amdhsa_kernarg_size 96
		.amdhsa_user_sgpr_count 6
		.amdhsa_user_sgpr_private_segment_buffer 1
		.amdhsa_user_sgpr_dispatch_ptr 0
		.amdhsa_user_sgpr_queue_ptr 0
		.amdhsa_user_sgpr_kernarg_segment_ptr 1
		.amdhsa_user_sgpr_dispatch_id 0
		.amdhsa_user_sgpr_flat_scratch_init 0
		.amdhsa_user_sgpr_kernarg_preload_length 0
		.amdhsa_user_sgpr_kernarg_preload_offset 0
		.amdhsa_user_sgpr_private_segment_size 0
		.amdhsa_uses_dynamic_stack 0
		.amdhsa_system_sgpr_private_segment_wavefront_offset 0
		.amdhsa_system_sgpr_workgroup_id_x 1
		.amdhsa_system_sgpr_workgroup_id_y 0
		.amdhsa_system_sgpr_workgroup_id_z 0
		.amdhsa_system_sgpr_workgroup_info 0
		.amdhsa_system_vgpr_workitem_id 0
		.amdhsa_next_free_vgpr 1
		.amdhsa_next_free_sgpr 0
		.amdhsa_accum_offset 4
		.amdhsa_reserve_vcc 0
		.amdhsa_reserve_flat_scratch 0
		.amdhsa_float_round_mode_32 0
		.amdhsa_float_round_mode_16_64 0
		.amdhsa_float_denorm_mode_32 3
		.amdhsa_float_denorm_mode_16_64 3
		.amdhsa_dx10_clamp 1
		.amdhsa_ieee_mode 1
		.amdhsa_fp16_overflow 0
		.amdhsa_tg_split 0
		.amdhsa_exception_fp_ieee_invalid_op 0
		.amdhsa_exception_fp_denorm_src 0
		.amdhsa_exception_fp_ieee_div_zero 0
		.amdhsa_exception_fp_ieee_overflow 0
		.amdhsa_exception_fp_ieee_underflow 0
		.amdhsa_exception_fp_ieee_inexact 0
		.amdhsa_exception_int_div_zero 0
	.end_amdhsa_kernel
	.section	.text._ZN7rocprim17ROCPRIM_400000_NS6detail17trampoline_kernelINS0_14default_configENS1_21merge_config_selectorIfNS0_10empty_typeEEEZNS1_10merge_implIS3_N6thrust23THRUST_200600_302600_NS6detail15normal_iteratorINS9_10device_ptrIKfEEEESF_NS9_16discard_iteratorINS9_11use_defaultEEEPS5_SJ_SJ_NS9_4lessIfEEEE10hipError_tPvRmT0_T1_T2_T3_T4_T5_mmT6_P12ihipStream_tbEUlT_E0_NS1_11comp_targetILNS1_3genE5ELNS1_11target_archE942ELNS1_3gpuE9ELNS1_3repE0EEENS1_30default_config_static_selectorELNS0_4arch9wavefront6targetE1EEEvSQ_,"axG",@progbits,_ZN7rocprim17ROCPRIM_400000_NS6detail17trampoline_kernelINS0_14default_configENS1_21merge_config_selectorIfNS0_10empty_typeEEEZNS1_10merge_implIS3_N6thrust23THRUST_200600_302600_NS6detail15normal_iteratorINS9_10device_ptrIKfEEEESF_NS9_16discard_iteratorINS9_11use_defaultEEEPS5_SJ_SJ_NS9_4lessIfEEEE10hipError_tPvRmT0_T1_T2_T3_T4_T5_mmT6_P12ihipStream_tbEUlT_E0_NS1_11comp_targetILNS1_3genE5ELNS1_11target_archE942ELNS1_3gpuE9ELNS1_3repE0EEENS1_30default_config_static_selectorELNS0_4arch9wavefront6targetE1EEEvSQ_,comdat
.Lfunc_end345:
	.size	_ZN7rocprim17ROCPRIM_400000_NS6detail17trampoline_kernelINS0_14default_configENS1_21merge_config_selectorIfNS0_10empty_typeEEEZNS1_10merge_implIS3_N6thrust23THRUST_200600_302600_NS6detail15normal_iteratorINS9_10device_ptrIKfEEEESF_NS9_16discard_iteratorINS9_11use_defaultEEEPS5_SJ_SJ_NS9_4lessIfEEEE10hipError_tPvRmT0_T1_T2_T3_T4_T5_mmT6_P12ihipStream_tbEUlT_E0_NS1_11comp_targetILNS1_3genE5ELNS1_11target_archE942ELNS1_3gpuE9ELNS1_3repE0EEENS1_30default_config_static_selectorELNS0_4arch9wavefront6targetE1EEEvSQ_, .Lfunc_end345-_ZN7rocprim17ROCPRIM_400000_NS6detail17trampoline_kernelINS0_14default_configENS1_21merge_config_selectorIfNS0_10empty_typeEEEZNS1_10merge_implIS3_N6thrust23THRUST_200600_302600_NS6detail15normal_iteratorINS9_10device_ptrIKfEEEESF_NS9_16discard_iteratorINS9_11use_defaultEEEPS5_SJ_SJ_NS9_4lessIfEEEE10hipError_tPvRmT0_T1_T2_T3_T4_T5_mmT6_P12ihipStream_tbEUlT_E0_NS1_11comp_targetILNS1_3genE5ELNS1_11target_archE942ELNS1_3gpuE9ELNS1_3repE0EEENS1_30default_config_static_selectorELNS0_4arch9wavefront6targetE1EEEvSQ_
                                        ; -- End function
	.section	.AMDGPU.csdata,"",@progbits
; Kernel info:
; codeLenInByte = 0
; NumSgprs: 4
; NumVgprs: 0
; NumAgprs: 0
; TotalNumVgprs: 0
; ScratchSize: 0
; MemoryBound: 0
; FloatMode: 240
; IeeeMode: 1
; LDSByteSize: 0 bytes/workgroup (compile time only)
; SGPRBlocks: 0
; VGPRBlocks: 0
; NumSGPRsForWavesPerEU: 4
; NumVGPRsForWavesPerEU: 1
; AccumOffset: 4
; Occupancy: 8
; WaveLimiterHint : 0
; COMPUTE_PGM_RSRC2:SCRATCH_EN: 0
; COMPUTE_PGM_RSRC2:USER_SGPR: 6
; COMPUTE_PGM_RSRC2:TRAP_HANDLER: 0
; COMPUTE_PGM_RSRC2:TGID_X_EN: 1
; COMPUTE_PGM_RSRC2:TGID_Y_EN: 0
; COMPUTE_PGM_RSRC2:TGID_Z_EN: 0
; COMPUTE_PGM_RSRC2:TIDIG_COMP_CNT: 0
; COMPUTE_PGM_RSRC3_GFX90A:ACCUM_OFFSET: 0
; COMPUTE_PGM_RSRC3_GFX90A:TG_SPLIT: 0
	.section	.text._ZN7rocprim17ROCPRIM_400000_NS6detail17trampoline_kernelINS0_14default_configENS1_21merge_config_selectorIfNS0_10empty_typeEEEZNS1_10merge_implIS3_N6thrust23THRUST_200600_302600_NS6detail15normal_iteratorINS9_10device_ptrIKfEEEESF_NS9_16discard_iteratorINS9_11use_defaultEEEPS5_SJ_SJ_NS9_4lessIfEEEE10hipError_tPvRmT0_T1_T2_T3_T4_T5_mmT6_P12ihipStream_tbEUlT_E0_NS1_11comp_targetILNS1_3genE4ELNS1_11target_archE910ELNS1_3gpuE8ELNS1_3repE0EEENS1_30default_config_static_selectorELNS0_4arch9wavefront6targetE1EEEvSQ_,"axG",@progbits,_ZN7rocprim17ROCPRIM_400000_NS6detail17trampoline_kernelINS0_14default_configENS1_21merge_config_selectorIfNS0_10empty_typeEEEZNS1_10merge_implIS3_N6thrust23THRUST_200600_302600_NS6detail15normal_iteratorINS9_10device_ptrIKfEEEESF_NS9_16discard_iteratorINS9_11use_defaultEEEPS5_SJ_SJ_NS9_4lessIfEEEE10hipError_tPvRmT0_T1_T2_T3_T4_T5_mmT6_P12ihipStream_tbEUlT_E0_NS1_11comp_targetILNS1_3genE4ELNS1_11target_archE910ELNS1_3gpuE8ELNS1_3repE0EEENS1_30default_config_static_selectorELNS0_4arch9wavefront6targetE1EEEvSQ_,comdat
	.protected	_ZN7rocprim17ROCPRIM_400000_NS6detail17trampoline_kernelINS0_14default_configENS1_21merge_config_selectorIfNS0_10empty_typeEEEZNS1_10merge_implIS3_N6thrust23THRUST_200600_302600_NS6detail15normal_iteratorINS9_10device_ptrIKfEEEESF_NS9_16discard_iteratorINS9_11use_defaultEEEPS5_SJ_SJ_NS9_4lessIfEEEE10hipError_tPvRmT0_T1_T2_T3_T4_T5_mmT6_P12ihipStream_tbEUlT_E0_NS1_11comp_targetILNS1_3genE4ELNS1_11target_archE910ELNS1_3gpuE8ELNS1_3repE0EEENS1_30default_config_static_selectorELNS0_4arch9wavefront6targetE1EEEvSQ_ ; -- Begin function _ZN7rocprim17ROCPRIM_400000_NS6detail17trampoline_kernelINS0_14default_configENS1_21merge_config_selectorIfNS0_10empty_typeEEEZNS1_10merge_implIS3_N6thrust23THRUST_200600_302600_NS6detail15normal_iteratorINS9_10device_ptrIKfEEEESF_NS9_16discard_iteratorINS9_11use_defaultEEEPS5_SJ_SJ_NS9_4lessIfEEEE10hipError_tPvRmT0_T1_T2_T3_T4_T5_mmT6_P12ihipStream_tbEUlT_E0_NS1_11comp_targetILNS1_3genE4ELNS1_11target_archE910ELNS1_3gpuE8ELNS1_3repE0EEENS1_30default_config_static_selectorELNS0_4arch9wavefront6targetE1EEEvSQ_
	.globl	_ZN7rocprim17ROCPRIM_400000_NS6detail17trampoline_kernelINS0_14default_configENS1_21merge_config_selectorIfNS0_10empty_typeEEEZNS1_10merge_implIS3_N6thrust23THRUST_200600_302600_NS6detail15normal_iteratorINS9_10device_ptrIKfEEEESF_NS9_16discard_iteratorINS9_11use_defaultEEEPS5_SJ_SJ_NS9_4lessIfEEEE10hipError_tPvRmT0_T1_T2_T3_T4_T5_mmT6_P12ihipStream_tbEUlT_E0_NS1_11comp_targetILNS1_3genE4ELNS1_11target_archE910ELNS1_3gpuE8ELNS1_3repE0EEENS1_30default_config_static_selectorELNS0_4arch9wavefront6targetE1EEEvSQ_
	.p2align	8
	.type	_ZN7rocprim17ROCPRIM_400000_NS6detail17trampoline_kernelINS0_14default_configENS1_21merge_config_selectorIfNS0_10empty_typeEEEZNS1_10merge_implIS3_N6thrust23THRUST_200600_302600_NS6detail15normal_iteratorINS9_10device_ptrIKfEEEESF_NS9_16discard_iteratorINS9_11use_defaultEEEPS5_SJ_SJ_NS9_4lessIfEEEE10hipError_tPvRmT0_T1_T2_T3_T4_T5_mmT6_P12ihipStream_tbEUlT_E0_NS1_11comp_targetILNS1_3genE4ELNS1_11target_archE910ELNS1_3gpuE8ELNS1_3repE0EEENS1_30default_config_static_selectorELNS0_4arch9wavefront6targetE1EEEvSQ_,@function
_ZN7rocprim17ROCPRIM_400000_NS6detail17trampoline_kernelINS0_14default_configENS1_21merge_config_selectorIfNS0_10empty_typeEEEZNS1_10merge_implIS3_N6thrust23THRUST_200600_302600_NS6detail15normal_iteratorINS9_10device_ptrIKfEEEESF_NS9_16discard_iteratorINS9_11use_defaultEEEPS5_SJ_SJ_NS9_4lessIfEEEE10hipError_tPvRmT0_T1_T2_T3_T4_T5_mmT6_P12ihipStream_tbEUlT_E0_NS1_11comp_targetILNS1_3genE4ELNS1_11target_archE910ELNS1_3gpuE8ELNS1_3repE0EEENS1_30default_config_static_selectorELNS0_4arch9wavefront6targetE1EEEvSQ_: ; @_ZN7rocprim17ROCPRIM_400000_NS6detail17trampoline_kernelINS0_14default_configENS1_21merge_config_selectorIfNS0_10empty_typeEEEZNS1_10merge_implIS3_N6thrust23THRUST_200600_302600_NS6detail15normal_iteratorINS9_10device_ptrIKfEEEESF_NS9_16discard_iteratorINS9_11use_defaultEEEPS5_SJ_SJ_NS9_4lessIfEEEE10hipError_tPvRmT0_T1_T2_T3_T4_T5_mmT6_P12ihipStream_tbEUlT_E0_NS1_11comp_targetILNS1_3genE4ELNS1_11target_archE910ELNS1_3gpuE8ELNS1_3repE0EEENS1_30default_config_static_selectorELNS0_4arch9wavefront6targetE1EEEvSQ_
; %bb.0:
	s_load_dwordx4 s[0:3], s[4:5], 0x48
	s_load_dwordx4 s[8:11], s[4:5], 0x8
	s_load_dwordx2 s[12:13], s[4:5], 0x18
	s_mul_i32 s20, s6, 0xa00
	s_mov_b32 s17, 0
	s_waitcnt lgkmcnt(0)
	s_add_i32 s21, s2, s0
	s_add_i32 s0, s21, 0x9ff
	s_mul_hi_u32 s0, s0, 0xcccccccd
	s_lshr_b32 s0, s0, 11
	s_min_u32 s1, s6, s0
	s_lshl_b32 s1, s1, 2
	s_load_dword s16, s[8:9], s1 offset:0x0
	s_add_i32 s6, s6, 1
	s_min_u32 s0, s6, s0
	s_lshl_b32 s0, s0, 2
	s_load_dword s6, s[8:9], s0 offset:0x0
	s_add_i32 s0, s20, 0xa00
	s_min_u32 s7, s21, s0
	s_waitcnt lgkmcnt(0)
	s_sub_i32 s2, s20, s16
	s_lshl_b64 s[0:1], s[16:17], 2
	s_add_u32 s0, s10, s0
	s_mov_b32 s3, s17
	s_addc_u32 s1, s11, s1
	s_lshl_b64 s[4:5], s[2:3], 2
	s_add_u32 s9, s12, s4
	s_addc_u32 s10, s13, s5
	s_add_i32 s2, s2, s6
	s_sub_i32 s16, s6, s16
	s_sub_i32 s8, s7, s2
	s_add_u32 s2, s8, s16
	s_addc_u32 s3, 0, 0
	v_mov_b32_e32 v1, 0
	v_cmp_le_u32_e32 vcc, s16, v0
	s_and_saveexec_b64 s[4:5], vcc
	s_xor_b64 s[4:5], exec, s[4:5]
	s_cbranch_execz .LBB346_4
; %bb.1:
	v_cmp_gt_u64_e32 vcc, s[2:3], v[0:1]
	s_and_saveexec_b64 s[6:7], vcc
	s_cbranch_execz .LBB346_3
; %bb.2:
	v_mov_b32_e32 v1, s17
	v_subrev_co_u32_e32 v2, vcc, s16, v0
	v_subb_co_u32_e32 v3, vcc, 0, v1, vcc
	v_lshlrev_b64 v[2:3], 2, v[2:3]
	v_mov_b32_e32 v1, s10
	v_add_co_u32_e32 v2, vcc, s9, v2
	v_addc_co_u32_e32 v3, vcc, v1, v3, vcc
	global_load_dword v1, v[2:3], off
	v_lshlrev_b32_e32 v2, 2, v0
	s_waitcnt vmcnt(0)
	ds_write_b32 v2, v1
.LBB346_3:
	s_or_b64 exec, exec, s[6:7]
.LBB346_4:
	s_or_saveexec_b64 s[4:5], s[4:5]
	v_lshlrev_b32_e32 v1, 2, v0
	s_xor_b64 exec, exec, s[4:5]
	s_cbranch_execz .LBB346_6
; %bb.5:
	global_load_dword v2, v1, s[0:1]
	s_waitcnt vmcnt(0)
	ds_write_b32 v1, v2
.LBB346_6:
	s_or_b64 exec, exec, s[4:5]
	v_or_b32_e32 v2, 0x100, v0
	v_cmp_le_u32_e32 vcc, s16, v2
	s_and_saveexec_b64 s[4:5], vcc
	s_xor_b64 s[4:5], exec, s[4:5]
	s_cbranch_execz .LBB346_10
; %bb.7:
	v_mov_b32_e32 v3, 0
	v_cmp_gt_u64_e32 vcc, s[2:3], v[2:3]
	s_and_saveexec_b64 s[6:7], vcc
	s_cbranch_execz .LBB346_9
; %bb.8:
	v_mov_b32_e32 v3, s17
	v_subrev_co_u32_e32 v2, vcc, s16, v0
	v_subb_co_u32_e32 v3, vcc, 0, v3, vcc
	v_lshlrev_b64 v[2:3], 2, v[2:3]
	v_mov_b32_e32 v4, s10
	v_add_co_u32_e32 v2, vcc, s9, v2
	v_addc_co_u32_e32 v3, vcc, v4, v3, vcc
	global_load_dword v2, v[2:3], off offset:1024
	s_waitcnt vmcnt(0)
	ds_write_b32 v1, v2 offset:1024
.LBB346_9:
	s_or_b64 exec, exec, s[6:7]
.LBB346_10:
	s_andn2_saveexec_b64 s[4:5], s[4:5]
	s_cbranch_execz .LBB346_12
; %bb.11:
	global_load_dword v2, v1, s[0:1] offset:1024
	s_waitcnt vmcnt(0)
	ds_write_b32 v1, v2 offset:1024
.LBB346_12:
	s_or_b64 exec, exec, s[4:5]
	v_or_b32_e32 v2, 0x200, v0
	v_cmp_le_u32_e32 vcc, s16, v2
	s_and_saveexec_b64 s[4:5], vcc
	s_xor_b64 s[4:5], exec, s[4:5]
	s_cbranch_execz .LBB346_16
; %bb.13:
	v_mov_b32_e32 v3, 0
	v_cmp_gt_u64_e32 vcc, s[2:3], v[2:3]
	s_and_saveexec_b64 s[6:7], vcc
	s_cbranch_execz .LBB346_15
; %bb.14:
	v_mov_b32_e32 v3, s17
	v_subrev_co_u32_e32 v2, vcc, s16, v0
	v_subb_co_u32_e32 v3, vcc, 0, v3, vcc
	v_lshlrev_b64 v[2:3], 2, v[2:3]
	v_mov_b32_e32 v4, s10
	v_add_co_u32_e32 v2, vcc, s9, v2
	v_addc_co_u32_e32 v3, vcc, v4, v3, vcc
	global_load_dword v2, v[2:3], off offset:2048
	s_waitcnt vmcnt(0)
	ds_write_b32 v1, v2 offset:2048
.LBB346_15:
	s_or_b64 exec, exec, s[6:7]
.LBB346_16:
	s_andn2_saveexec_b64 s[4:5], s[4:5]
	s_cbranch_execz .LBB346_18
; %bb.17:
	global_load_dword v2, v1, s[0:1] offset:2048
	s_waitcnt vmcnt(0)
	ds_write_b32 v1, v2 offset:2048
.LBB346_18:
	s_or_b64 exec, exec, s[4:5]
	v_or_b32_e32 v2, 0x300, v0
	v_cmp_le_u32_e32 vcc, s16, v2
	s_and_saveexec_b64 s[4:5], vcc
	s_xor_b64 s[4:5], exec, s[4:5]
	s_cbranch_execz .LBB346_22
; %bb.19:
	v_mov_b32_e32 v3, 0
	v_cmp_gt_u64_e32 vcc, s[2:3], v[2:3]
	s_and_saveexec_b64 s[6:7], vcc
	s_cbranch_execz .LBB346_21
; %bb.20:
	v_mov_b32_e32 v3, s17
	v_subrev_co_u32_e32 v2, vcc, s16, v0
	v_subb_co_u32_e32 v3, vcc, 0, v3, vcc
	v_lshlrev_b64 v[2:3], 2, v[2:3]
	v_mov_b32_e32 v4, s10
	v_add_co_u32_e32 v2, vcc, s9, v2
	v_addc_co_u32_e32 v3, vcc, v4, v3, vcc
	global_load_dword v2, v[2:3], off offset:3072
	s_waitcnt vmcnt(0)
	ds_write_b32 v1, v2 offset:3072
.LBB346_21:
	s_or_b64 exec, exec, s[6:7]
.LBB346_22:
	s_andn2_saveexec_b64 s[4:5], s[4:5]
	s_cbranch_execz .LBB346_24
; %bb.23:
	global_load_dword v2, v1, s[0:1] offset:3072
	s_waitcnt vmcnt(0)
	ds_write_b32 v1, v2 offset:3072
.LBB346_24:
	s_or_b64 exec, exec, s[4:5]
	v_or_b32_e32 v2, 0x400, v0
	v_mov_b32_e32 v3, 0
	v_cmp_le_u32_e32 vcc, s16, v2
	s_and_saveexec_b64 s[4:5], vcc
	s_xor_b64 s[4:5], exec, s[4:5]
	s_cbranch_execz .LBB346_28
; %bb.25:
	v_cmp_gt_u64_e32 vcc, s[2:3], v[2:3]
	s_and_saveexec_b64 s[6:7], vcc
	s_cbranch_execz .LBB346_27
; %bb.26:
	v_mov_b32_e32 v3, s17
	v_subrev_co_u32_e32 v2, vcc, s16, v2
	v_subb_co_u32_e32 v3, vcc, 0, v3, vcc
	v_lshlrev_b64 v[2:3], 2, v[2:3]
	v_mov_b32_e32 v4, s10
	v_add_co_u32_e32 v2, vcc, s9, v2
	v_addc_co_u32_e32 v3, vcc, v4, v3, vcc
	global_load_dword v2, v[2:3], off
	s_waitcnt vmcnt(0)
	ds_write_b32 v1, v2 offset:4096
.LBB346_27:
	s_or_b64 exec, exec, s[6:7]
                                        ; implicit-def: $vgpr2_vgpr3
.LBB346_28:
	s_andn2_saveexec_b64 s[4:5], s[4:5]
	s_cbranch_execz .LBB346_30
; %bb.29:
	v_lshlrev_b32_e32 v2, 2, v2
	global_load_dword v2, v2, s[0:1]
	s_waitcnt vmcnt(0)
	ds_write_b32 v1, v2 offset:4096
.LBB346_30:
	s_or_b64 exec, exec, s[4:5]
	v_or_b32_e32 v2, 0x500, v0
	v_mov_b32_e32 v3, 0
	v_cmp_le_u32_e32 vcc, s16, v2
	s_and_saveexec_b64 s[4:5], vcc
	s_xor_b64 s[4:5], exec, s[4:5]
	s_cbranch_execz .LBB346_34
; %bb.31:
	v_cmp_gt_u64_e32 vcc, s[2:3], v[2:3]
	s_and_saveexec_b64 s[6:7], vcc
	s_cbranch_execz .LBB346_33
; %bb.32:
	v_mov_b32_e32 v3, s17
	v_subrev_co_u32_e32 v2, vcc, s16, v2
	v_subb_co_u32_e32 v3, vcc, 0, v3, vcc
	v_lshlrev_b64 v[2:3], 2, v[2:3]
	v_mov_b32_e32 v4, s10
	v_add_co_u32_e32 v2, vcc, s9, v2
	v_addc_co_u32_e32 v3, vcc, v4, v3, vcc
	global_load_dword v2, v[2:3], off
	s_waitcnt vmcnt(0)
	ds_write_b32 v1, v2 offset:5120
.LBB346_33:
	s_or_b64 exec, exec, s[6:7]
                                        ; implicit-def: $vgpr2_vgpr3
.LBB346_34:
	s_andn2_saveexec_b64 s[4:5], s[4:5]
	s_cbranch_execz .LBB346_36
; %bb.35:
	v_lshlrev_b32_e32 v2, 2, v2
	global_load_dword v2, v2, s[0:1]
	s_waitcnt vmcnt(0)
	ds_write_b32 v1, v2 offset:5120
.LBB346_36:
	;; [unrolled: 34-line block ×5, first 2 shown]
	s_or_b64 exec, exec, s[4:5]
	v_or_b32_e32 v2, 0x900, v0
	v_mov_b32_e32 v3, 0
	v_cmp_le_u32_e32 vcc, s16, v2
	s_and_saveexec_b64 s[4:5], vcc
	s_xor_b64 s[4:5], exec, s[4:5]
	s_cbranch_execz .LBB346_58
; %bb.55:
	v_cmp_gt_u64_e32 vcc, s[2:3], v[2:3]
	s_and_saveexec_b64 s[2:3], vcc
	s_cbranch_execz .LBB346_57
; %bb.56:
	v_mov_b32_e32 v3, s17
	v_subrev_co_u32_e32 v2, vcc, s16, v2
	v_subb_co_u32_e32 v3, vcc, 0, v3, vcc
	v_lshlrev_b64 v[2:3], 2, v[2:3]
	v_mov_b32_e32 v4, s10
	v_add_co_u32_e32 v2, vcc, s9, v2
	v_addc_co_u32_e32 v3, vcc, v4, v3, vcc
	global_load_dword v2, v[2:3], off
	s_waitcnt vmcnt(0)
	ds_write_b32 v1, v2 offset:9216
.LBB346_57:
	s_or_b64 exec, exec, s[2:3]
                                        ; implicit-def: $vgpr2_vgpr3
                                        ; implicit-def: $vgpr1
.LBB346_58:
	s_andn2_saveexec_b64 s[2:3], s[4:5]
	s_cbranch_execz .LBB346_60
; %bb.59:
	v_lshlrev_b32_e32 v2, 2, v2
	global_load_dword v2, v2, s[0:1]
	s_waitcnt vmcnt(0)
	ds_write_b32 v1, v2 offset:9216
.LBB346_60:
	s_or_b64 exec, exec, s[2:3]
	v_mul_u32_u24_e32 v0, 10, v0
	v_sub_u32_e64 v8, v0, s8 clamp
	v_min_u32_e32 v1, s16, v0
	v_cmp_lt_u32_e32 vcc, v8, v1
	v_lshlrev_b32_e32 v14, 2, v0
	s_waitcnt lgkmcnt(0)
	s_barrier
	s_and_saveexec_b64 s[0:1], vcc
	s_cbranch_execz .LBB346_64
; %bb.61:
	v_lshl_add_u32 v2, s16, 2, v14
	s_mov_b64 s[2:3], 0
.LBB346_62:                             ; =>This Inner Loop Header: Depth=1
	v_add_u32_e32 v3, v1, v8
	v_lshrrev_b32_e32 v3, 1, v3
	v_not_b32_e32 v4, v3
	v_lshlrev_b32_e32 v5, 2, v3
	v_lshl_add_u32 v4, v4, 2, v2
	ds_read_b32 v5, v5
	ds_read_b32 v4, v4
	v_add_u32_e32 v6, 1, v3
	s_waitcnt lgkmcnt(0)
	v_cmp_lt_f32_e32 vcc, v4, v5
	v_cndmask_b32_e32 v1, v1, v3, vcc
	v_cndmask_b32_e32 v8, v6, v8, vcc
	v_cmp_ge_u32_e32 vcc, v8, v1
	s_or_b64 s[2:3], vcc, s[2:3]
	s_andn2_b64 exec, exec, s[2:3]
	s_cbranch_execnz .LBB346_62
; %bb.63:
	s_or_b64 exec, exec, s[2:3]
.LBB346_64:
	s_or_b64 exec, exec, s[0:1]
	v_add_u32_e32 v0, s16, v0
	s_add_i32 s17, s8, s16
	v_sub_u32_e32 v10, v0, v8
	v_cmp_ge_u32_e32 vcc, s16, v8
	v_cmp_ge_u32_e64 s[0:1], s17, v10
	s_or_b64 s[0:1], vcc, s[0:1]
                                        ; implicit-def: $vgpr11
                                        ; implicit-def: $vgpr13
                                        ; implicit-def: $vgpr9
	s_and_saveexec_b64 s[18:19], s[0:1]
                                        ; implicit-def: $vgpr4_vgpr5_vgpr6_vgpr7
                                        ; implicit-def: $vgpr0_vgpr1_vgpr2_vgpr3
	s_cbranch_execz .LBB346_70
; %bb.65:
	v_cmp_gt_u32_e32 vcc, s16, v8
                                        ; implicit-def: $vgpr0
	s_and_saveexec_b64 s[0:1], vcc
	s_cbranch_execz .LBB346_67
; %bb.66:
	v_lshlrev_b32_e32 v0, 2, v8
	ds_read_b32 v0, v0
.LBB346_67:
	s_or_b64 exec, exec, s[0:1]
	v_cmp_le_u32_e64 s[0:1], s17, v10
	v_cmp_gt_u32_e64 s[2:3], s17, v10
                                        ; implicit-def: $vgpr1
	s_and_saveexec_b64 s[4:5], s[2:3]
	s_cbranch_execz .LBB346_69
; %bb.68:
	v_lshlrev_b32_e32 v1, 2, v10
	ds_read_b32 v1, v1
.LBB346_69:
	s_or_b64 exec, exec, s[4:5]
	s_waitcnt lgkmcnt(0)
	v_cmp_nlt_f32_e64 s[2:3], v1, v0
	s_and_b64 s[2:3], vcc, s[2:3]
	s_or_b64 vcc, s[0:1], s[2:3]
	v_mov_b32_e32 v3, s17
	v_mov_b32_e32 v5, s16
	v_cndmask_b32_e32 v2, v10, v8, vcc
	v_cndmask_b32_e32 v4, v3, v5, vcc
	v_add_u32_e32 v2, 1, v2
	v_add_u32_e32 v4, -1, v4
	v_min_u32_e32 v4, v2, v4
	v_lshlrev_b32_e32 v4, 2, v4
	ds_read_b32 v4, v4
	v_cndmask_b32_e32 v7, v2, v10, vcc
	v_cndmask_b32_e32 v2, v8, v2, vcc
	v_cmp_gt_u32_e64 s[2:3], s16, v2
	v_cmp_le_u32_e64 s[0:1], s17, v7
	s_waitcnt lgkmcnt(0)
	v_cndmask_b32_e32 v6, v4, v1, vcc
	v_cndmask_b32_e32 v4, v0, v4, vcc
	v_cmp_nlt_f32_e64 s[4:5], v6, v4
	s_and_b64 s[2:3], s[2:3], s[4:5]
	s_or_b64 s[0:1], s[0:1], s[2:3]
	v_cndmask_b32_e64 v8, v7, v2, s[0:1]
	v_cndmask_b32_e64 v9, v3, v5, s[0:1]
	v_add_u32_e32 v8, 1, v8
	v_add_u32_e32 v9, -1, v9
	v_min_u32_e32 v9, v8, v9
	v_lshlrev_b32_e32 v9, 2, v9
	ds_read_b32 v9, v9
	v_cndmask_b32_e64 v2, v2, v8, s[0:1]
	v_cndmask_b32_e64 v7, v8, v7, s[0:1]
	v_cmp_gt_u32_e64 s[4:5], s16, v2
	v_cmp_le_u32_e64 s[2:3], s17, v7
	s_waitcnt lgkmcnt(0)
	v_cndmask_b32_e64 v10, v9, v6, s[0:1]
	v_cndmask_b32_e64 v9, v4, v9, s[0:1]
	v_cmp_nlt_f32_e64 s[6:7], v10, v9
	s_and_b64 s[4:5], s[4:5], s[6:7]
	s_or_b64 s[2:3], s[2:3], s[4:5]
	v_cndmask_b32_e64 v8, v7, v2, s[2:3]
	v_cndmask_b32_e64 v11, v3, v5, s[2:3]
	v_add_u32_e32 v8, 1, v8
	v_add_u32_e32 v11, -1, v11
	v_min_u32_e32 v11, v8, v11
	v_lshlrev_b32_e32 v11, 2, v11
	ds_read_b32 v11, v11
	v_cndmask_b32_e64 v2, v2, v8, s[2:3]
	v_cndmask_b32_e64 v7, v8, v7, s[2:3]
	v_cmp_gt_u32_e64 s[6:7], s16, v2
	v_cmp_le_u32_e64 s[4:5], s17, v7
	s_waitcnt lgkmcnt(0)
	v_cndmask_b32_e64 v12, v11, v10, s[2:3]
	v_cndmask_b32_e64 v11, v9, v11, s[2:3]
	;; [unrolled: 17-line block ×5, first 2 shown]
	v_cmp_nlt_f32_e64 s[14:15], v19, v18
	s_and_b64 s[12:13], s[12:13], s[14:15]
	s_or_b64 s[10:11], s[10:11], s[12:13]
	v_cndmask_b32_e64 v8, v7, v2, s[10:11]
	v_cndmask_b32_e64 v20, v3, v5, s[10:11]
	v_add_u32_e32 v8, 1, v8
	v_add_u32_e32 v20, -1, v20
	v_min_u32_e32 v20, v8, v20
	v_lshlrev_b32_e32 v20, 2, v20
	ds_read_b32 v20, v20
	v_cndmask_b32_e64 v2, v2, v8, s[10:11]
	v_cndmask_b32_e64 v7, v8, v7, s[10:11]
	v_cmp_gt_u32_e64 s[12:13], s16, v2
	v_cndmask_b32_e32 v0, v1, v0, vcc
	s_waitcnt lgkmcnt(0)
	v_cndmask_b32_e64 v21, v20, v19, s[10:11]
	v_cndmask_b32_e64 v20, v18, v20, s[10:11]
	v_cmp_nlt_f32_e64 s[14:15], v21, v20
	v_cmp_le_u32_e32 vcc, s17, v7
	s_and_b64 s[12:13], s[12:13], s[14:15]
	s_or_b64 vcc, vcc, s[12:13]
	v_cndmask_b32_e32 v1, v7, v2, vcc
	v_cndmask_b32_e32 v8, v3, v5, vcc
	v_add_u32_e32 v22, 1, v1
	v_add_u32_e32 v1, -1, v8
	v_min_u32_e32 v1, v22, v1
	v_lshlrev_b32_e32 v1, 2, v1
	ds_read_b32 v23, v1
	v_cndmask_b32_e64 v1, v6, v4, s[0:1]
	v_cndmask_b32_e64 v8, v10, v9, s[2:3]
	;; [unrolled: 1-line block ×3, first 2 shown]
	v_cndmask_b32_e32 v2, v2, v22, vcc
	s_waitcnt lgkmcnt(0)
	v_cndmask_b32_e32 v6, v23, v21, vcc
	v_cndmask_b32_e32 v11, v20, v23, vcc
	;; [unrolled: 1-line block ×3, first 2 shown]
	v_cmp_gt_u32_e64 s[2:3], s16, v2
	v_cmp_nlt_f32_e64 s[4:5], v6, v11
	v_cmp_le_u32_e64 s[0:1], s17, v7
	s_and_b64 s[2:3], s[2:3], s[4:5]
	s_or_b64 s[0:1], s[0:1], s[2:3]
	v_cndmask_b32_e64 v10, v7, v2, s[0:1]
	v_cndmask_b32_e64 v3, v3, v5, s[0:1]
	;; [unrolled: 1-line block ×3, first 2 shown]
	v_add_u32_e32 v15, 1, v10
	v_add_u32_e32 v3, -1, v3
	v_min_u32_e32 v3, v15, v3
	v_lshlrev_b32_e32 v3, 2, v3
	ds_read_b32 v3, v3
	v_cndmask_b32_e64 v10, v6, v11, s[0:1]
	v_cndmask_b32_e64 v2, v2, v15, s[0:1]
	;; [unrolled: 1-line block ×3, first 2 shown]
	v_cndmask_b32_e32 v13, v21, v20, vcc
	s_waitcnt lgkmcnt(0)
	v_cndmask_b32_e64 v6, v3, v6, s[0:1]
	v_cndmask_b32_e64 v3, v11, v3, s[0:1]
	v_cmp_gt_u32_e64 s[0:1], s16, v2
	v_cmp_nlt_f32_e64 s[2:3], v6, v3
	v_cmp_le_u32_e32 vcc, s17, v7
	s_and_b64 s[0:1], s[0:1], s[2:3]
	s_or_b64 vcc, vcc, s[0:1]
	v_cndmask_b32_e64 v5, v17, v16, s[8:9]
	v_cndmask_b32_e64 v12, v19, v18, s[10:11]
	v_cndmask_b32_e32 v11, v6, v3, vcc
.LBB346_70:
	s_or_b64 exec, exec, s[18:19]
	s_sub_i32 s0, s21, s20
	s_cmpk_gt_u32 s0, 0x9ff
	s_mov_b64 s[0:1], -1
	s_barrier
	ds_write2_b64 v14, v[0:1], v[8:9] offset1:1
	ds_write2_b64 v14, v[4:5], v[12:13] offset0:2 offset1:3
	ds_write_b64 v14, v[10:11] offset:32
	s_waitcnt lgkmcnt(0)
	s_cbranch_scc1 .LBB346_73
; %bb.71:
	s_andn2_b64 vcc, exec, s[0:1]
	s_cbranch_vccz .LBB346_74
.LBB346_72:
	s_endpgm
.LBB346_73:
	s_barrier
	s_cbranch_execnz .LBB346_72
.LBB346_74:
	s_barrier
	s_endpgm
	.section	.rodata,"a",@progbits
	.p2align	6, 0x0
	.amdhsa_kernel _ZN7rocprim17ROCPRIM_400000_NS6detail17trampoline_kernelINS0_14default_configENS1_21merge_config_selectorIfNS0_10empty_typeEEEZNS1_10merge_implIS3_N6thrust23THRUST_200600_302600_NS6detail15normal_iteratorINS9_10device_ptrIKfEEEESF_NS9_16discard_iteratorINS9_11use_defaultEEEPS5_SJ_SJ_NS9_4lessIfEEEE10hipError_tPvRmT0_T1_T2_T3_T4_T5_mmT6_P12ihipStream_tbEUlT_E0_NS1_11comp_targetILNS1_3genE4ELNS1_11target_archE910ELNS1_3gpuE8ELNS1_3repE0EEENS1_30default_config_static_selectorELNS0_4arch9wavefront6targetE1EEEvSQ_
		.amdhsa_group_segment_fixed_size 10256
		.amdhsa_private_segment_fixed_size 0
		.amdhsa_kernarg_size 96
		.amdhsa_user_sgpr_count 6
		.amdhsa_user_sgpr_private_segment_buffer 1
		.amdhsa_user_sgpr_dispatch_ptr 0
		.amdhsa_user_sgpr_queue_ptr 0
		.amdhsa_user_sgpr_kernarg_segment_ptr 1
		.amdhsa_user_sgpr_dispatch_id 0
		.amdhsa_user_sgpr_flat_scratch_init 0
		.amdhsa_user_sgpr_kernarg_preload_length 0
		.amdhsa_user_sgpr_kernarg_preload_offset 0
		.amdhsa_user_sgpr_private_segment_size 0
		.amdhsa_uses_dynamic_stack 0
		.amdhsa_system_sgpr_private_segment_wavefront_offset 0
		.amdhsa_system_sgpr_workgroup_id_x 1
		.amdhsa_system_sgpr_workgroup_id_y 0
		.amdhsa_system_sgpr_workgroup_id_z 0
		.amdhsa_system_sgpr_workgroup_info 0
		.amdhsa_system_vgpr_workitem_id 0
		.amdhsa_next_free_vgpr 24
		.amdhsa_next_free_sgpr 22
		.amdhsa_accum_offset 24
		.amdhsa_reserve_vcc 1
		.amdhsa_reserve_flat_scratch 0
		.amdhsa_float_round_mode_32 0
		.amdhsa_float_round_mode_16_64 0
		.amdhsa_float_denorm_mode_32 3
		.amdhsa_float_denorm_mode_16_64 3
		.amdhsa_dx10_clamp 1
		.amdhsa_ieee_mode 1
		.amdhsa_fp16_overflow 0
		.amdhsa_tg_split 0
		.amdhsa_exception_fp_ieee_invalid_op 0
		.amdhsa_exception_fp_denorm_src 0
		.amdhsa_exception_fp_ieee_div_zero 0
		.amdhsa_exception_fp_ieee_overflow 0
		.amdhsa_exception_fp_ieee_underflow 0
		.amdhsa_exception_fp_ieee_inexact 0
		.amdhsa_exception_int_div_zero 0
	.end_amdhsa_kernel
	.section	.text._ZN7rocprim17ROCPRIM_400000_NS6detail17trampoline_kernelINS0_14default_configENS1_21merge_config_selectorIfNS0_10empty_typeEEEZNS1_10merge_implIS3_N6thrust23THRUST_200600_302600_NS6detail15normal_iteratorINS9_10device_ptrIKfEEEESF_NS9_16discard_iteratorINS9_11use_defaultEEEPS5_SJ_SJ_NS9_4lessIfEEEE10hipError_tPvRmT0_T1_T2_T3_T4_T5_mmT6_P12ihipStream_tbEUlT_E0_NS1_11comp_targetILNS1_3genE4ELNS1_11target_archE910ELNS1_3gpuE8ELNS1_3repE0EEENS1_30default_config_static_selectorELNS0_4arch9wavefront6targetE1EEEvSQ_,"axG",@progbits,_ZN7rocprim17ROCPRIM_400000_NS6detail17trampoline_kernelINS0_14default_configENS1_21merge_config_selectorIfNS0_10empty_typeEEEZNS1_10merge_implIS3_N6thrust23THRUST_200600_302600_NS6detail15normal_iteratorINS9_10device_ptrIKfEEEESF_NS9_16discard_iteratorINS9_11use_defaultEEEPS5_SJ_SJ_NS9_4lessIfEEEE10hipError_tPvRmT0_T1_T2_T3_T4_T5_mmT6_P12ihipStream_tbEUlT_E0_NS1_11comp_targetILNS1_3genE4ELNS1_11target_archE910ELNS1_3gpuE8ELNS1_3repE0EEENS1_30default_config_static_selectorELNS0_4arch9wavefront6targetE1EEEvSQ_,comdat
.Lfunc_end346:
	.size	_ZN7rocprim17ROCPRIM_400000_NS6detail17trampoline_kernelINS0_14default_configENS1_21merge_config_selectorIfNS0_10empty_typeEEEZNS1_10merge_implIS3_N6thrust23THRUST_200600_302600_NS6detail15normal_iteratorINS9_10device_ptrIKfEEEESF_NS9_16discard_iteratorINS9_11use_defaultEEEPS5_SJ_SJ_NS9_4lessIfEEEE10hipError_tPvRmT0_T1_T2_T3_T4_T5_mmT6_P12ihipStream_tbEUlT_E0_NS1_11comp_targetILNS1_3genE4ELNS1_11target_archE910ELNS1_3gpuE8ELNS1_3repE0EEENS1_30default_config_static_selectorELNS0_4arch9wavefront6targetE1EEEvSQ_, .Lfunc_end346-_ZN7rocprim17ROCPRIM_400000_NS6detail17trampoline_kernelINS0_14default_configENS1_21merge_config_selectorIfNS0_10empty_typeEEEZNS1_10merge_implIS3_N6thrust23THRUST_200600_302600_NS6detail15normal_iteratorINS9_10device_ptrIKfEEEESF_NS9_16discard_iteratorINS9_11use_defaultEEEPS5_SJ_SJ_NS9_4lessIfEEEE10hipError_tPvRmT0_T1_T2_T3_T4_T5_mmT6_P12ihipStream_tbEUlT_E0_NS1_11comp_targetILNS1_3genE4ELNS1_11target_archE910ELNS1_3gpuE8ELNS1_3repE0EEENS1_30default_config_static_selectorELNS0_4arch9wavefront6targetE1EEEvSQ_
                                        ; -- End function
	.section	.AMDGPU.csdata,"",@progbits
; Kernel info:
; codeLenInByte = 2808
; NumSgprs: 26
; NumVgprs: 24
; NumAgprs: 0
; TotalNumVgprs: 24
; ScratchSize: 0
; MemoryBound: 0
; FloatMode: 240
; IeeeMode: 1
; LDSByteSize: 10256 bytes/workgroup (compile time only)
; SGPRBlocks: 3
; VGPRBlocks: 2
; NumSGPRsForWavesPerEU: 26
; NumVGPRsForWavesPerEU: 24
; AccumOffset: 24
; Occupancy: 6
; WaveLimiterHint : 1
; COMPUTE_PGM_RSRC2:SCRATCH_EN: 0
; COMPUTE_PGM_RSRC2:USER_SGPR: 6
; COMPUTE_PGM_RSRC2:TRAP_HANDLER: 0
; COMPUTE_PGM_RSRC2:TGID_X_EN: 1
; COMPUTE_PGM_RSRC2:TGID_Y_EN: 0
; COMPUTE_PGM_RSRC2:TGID_Z_EN: 0
; COMPUTE_PGM_RSRC2:TIDIG_COMP_CNT: 0
; COMPUTE_PGM_RSRC3_GFX90A:ACCUM_OFFSET: 5
; COMPUTE_PGM_RSRC3_GFX90A:TG_SPLIT: 0
	.section	.text._ZN7rocprim17ROCPRIM_400000_NS6detail17trampoline_kernelINS0_14default_configENS1_21merge_config_selectorIfNS0_10empty_typeEEEZNS1_10merge_implIS3_N6thrust23THRUST_200600_302600_NS6detail15normal_iteratorINS9_10device_ptrIKfEEEESF_NS9_16discard_iteratorINS9_11use_defaultEEEPS5_SJ_SJ_NS9_4lessIfEEEE10hipError_tPvRmT0_T1_T2_T3_T4_T5_mmT6_P12ihipStream_tbEUlT_E0_NS1_11comp_targetILNS1_3genE3ELNS1_11target_archE908ELNS1_3gpuE7ELNS1_3repE0EEENS1_30default_config_static_selectorELNS0_4arch9wavefront6targetE1EEEvSQ_,"axG",@progbits,_ZN7rocprim17ROCPRIM_400000_NS6detail17trampoline_kernelINS0_14default_configENS1_21merge_config_selectorIfNS0_10empty_typeEEEZNS1_10merge_implIS3_N6thrust23THRUST_200600_302600_NS6detail15normal_iteratorINS9_10device_ptrIKfEEEESF_NS9_16discard_iteratorINS9_11use_defaultEEEPS5_SJ_SJ_NS9_4lessIfEEEE10hipError_tPvRmT0_T1_T2_T3_T4_T5_mmT6_P12ihipStream_tbEUlT_E0_NS1_11comp_targetILNS1_3genE3ELNS1_11target_archE908ELNS1_3gpuE7ELNS1_3repE0EEENS1_30default_config_static_selectorELNS0_4arch9wavefront6targetE1EEEvSQ_,comdat
	.protected	_ZN7rocprim17ROCPRIM_400000_NS6detail17trampoline_kernelINS0_14default_configENS1_21merge_config_selectorIfNS0_10empty_typeEEEZNS1_10merge_implIS3_N6thrust23THRUST_200600_302600_NS6detail15normal_iteratorINS9_10device_ptrIKfEEEESF_NS9_16discard_iteratorINS9_11use_defaultEEEPS5_SJ_SJ_NS9_4lessIfEEEE10hipError_tPvRmT0_T1_T2_T3_T4_T5_mmT6_P12ihipStream_tbEUlT_E0_NS1_11comp_targetILNS1_3genE3ELNS1_11target_archE908ELNS1_3gpuE7ELNS1_3repE0EEENS1_30default_config_static_selectorELNS0_4arch9wavefront6targetE1EEEvSQ_ ; -- Begin function _ZN7rocprim17ROCPRIM_400000_NS6detail17trampoline_kernelINS0_14default_configENS1_21merge_config_selectorIfNS0_10empty_typeEEEZNS1_10merge_implIS3_N6thrust23THRUST_200600_302600_NS6detail15normal_iteratorINS9_10device_ptrIKfEEEESF_NS9_16discard_iteratorINS9_11use_defaultEEEPS5_SJ_SJ_NS9_4lessIfEEEE10hipError_tPvRmT0_T1_T2_T3_T4_T5_mmT6_P12ihipStream_tbEUlT_E0_NS1_11comp_targetILNS1_3genE3ELNS1_11target_archE908ELNS1_3gpuE7ELNS1_3repE0EEENS1_30default_config_static_selectorELNS0_4arch9wavefront6targetE1EEEvSQ_
	.globl	_ZN7rocprim17ROCPRIM_400000_NS6detail17trampoline_kernelINS0_14default_configENS1_21merge_config_selectorIfNS0_10empty_typeEEEZNS1_10merge_implIS3_N6thrust23THRUST_200600_302600_NS6detail15normal_iteratorINS9_10device_ptrIKfEEEESF_NS9_16discard_iteratorINS9_11use_defaultEEEPS5_SJ_SJ_NS9_4lessIfEEEE10hipError_tPvRmT0_T1_T2_T3_T4_T5_mmT6_P12ihipStream_tbEUlT_E0_NS1_11comp_targetILNS1_3genE3ELNS1_11target_archE908ELNS1_3gpuE7ELNS1_3repE0EEENS1_30default_config_static_selectorELNS0_4arch9wavefront6targetE1EEEvSQ_
	.p2align	8
	.type	_ZN7rocprim17ROCPRIM_400000_NS6detail17trampoline_kernelINS0_14default_configENS1_21merge_config_selectorIfNS0_10empty_typeEEEZNS1_10merge_implIS3_N6thrust23THRUST_200600_302600_NS6detail15normal_iteratorINS9_10device_ptrIKfEEEESF_NS9_16discard_iteratorINS9_11use_defaultEEEPS5_SJ_SJ_NS9_4lessIfEEEE10hipError_tPvRmT0_T1_T2_T3_T4_T5_mmT6_P12ihipStream_tbEUlT_E0_NS1_11comp_targetILNS1_3genE3ELNS1_11target_archE908ELNS1_3gpuE7ELNS1_3repE0EEENS1_30default_config_static_selectorELNS0_4arch9wavefront6targetE1EEEvSQ_,@function
_ZN7rocprim17ROCPRIM_400000_NS6detail17trampoline_kernelINS0_14default_configENS1_21merge_config_selectorIfNS0_10empty_typeEEEZNS1_10merge_implIS3_N6thrust23THRUST_200600_302600_NS6detail15normal_iteratorINS9_10device_ptrIKfEEEESF_NS9_16discard_iteratorINS9_11use_defaultEEEPS5_SJ_SJ_NS9_4lessIfEEEE10hipError_tPvRmT0_T1_T2_T3_T4_T5_mmT6_P12ihipStream_tbEUlT_E0_NS1_11comp_targetILNS1_3genE3ELNS1_11target_archE908ELNS1_3gpuE7ELNS1_3repE0EEENS1_30default_config_static_selectorELNS0_4arch9wavefront6targetE1EEEvSQ_: ; @_ZN7rocprim17ROCPRIM_400000_NS6detail17trampoline_kernelINS0_14default_configENS1_21merge_config_selectorIfNS0_10empty_typeEEEZNS1_10merge_implIS3_N6thrust23THRUST_200600_302600_NS6detail15normal_iteratorINS9_10device_ptrIKfEEEESF_NS9_16discard_iteratorINS9_11use_defaultEEEPS5_SJ_SJ_NS9_4lessIfEEEE10hipError_tPvRmT0_T1_T2_T3_T4_T5_mmT6_P12ihipStream_tbEUlT_E0_NS1_11comp_targetILNS1_3genE3ELNS1_11target_archE908ELNS1_3gpuE7ELNS1_3repE0EEENS1_30default_config_static_selectorELNS0_4arch9wavefront6targetE1EEEvSQ_
; %bb.0:
	.section	.rodata,"a",@progbits
	.p2align	6, 0x0
	.amdhsa_kernel _ZN7rocprim17ROCPRIM_400000_NS6detail17trampoline_kernelINS0_14default_configENS1_21merge_config_selectorIfNS0_10empty_typeEEEZNS1_10merge_implIS3_N6thrust23THRUST_200600_302600_NS6detail15normal_iteratorINS9_10device_ptrIKfEEEESF_NS9_16discard_iteratorINS9_11use_defaultEEEPS5_SJ_SJ_NS9_4lessIfEEEE10hipError_tPvRmT0_T1_T2_T3_T4_T5_mmT6_P12ihipStream_tbEUlT_E0_NS1_11comp_targetILNS1_3genE3ELNS1_11target_archE908ELNS1_3gpuE7ELNS1_3repE0EEENS1_30default_config_static_selectorELNS0_4arch9wavefront6targetE1EEEvSQ_
		.amdhsa_group_segment_fixed_size 0
		.amdhsa_private_segment_fixed_size 0
		.amdhsa_kernarg_size 96
		.amdhsa_user_sgpr_count 6
		.amdhsa_user_sgpr_private_segment_buffer 1
		.amdhsa_user_sgpr_dispatch_ptr 0
		.amdhsa_user_sgpr_queue_ptr 0
		.amdhsa_user_sgpr_kernarg_segment_ptr 1
		.amdhsa_user_sgpr_dispatch_id 0
		.amdhsa_user_sgpr_flat_scratch_init 0
		.amdhsa_user_sgpr_kernarg_preload_length 0
		.amdhsa_user_sgpr_kernarg_preload_offset 0
		.amdhsa_user_sgpr_private_segment_size 0
		.amdhsa_uses_dynamic_stack 0
		.amdhsa_system_sgpr_private_segment_wavefront_offset 0
		.amdhsa_system_sgpr_workgroup_id_x 1
		.amdhsa_system_sgpr_workgroup_id_y 0
		.amdhsa_system_sgpr_workgroup_id_z 0
		.amdhsa_system_sgpr_workgroup_info 0
		.amdhsa_system_vgpr_workitem_id 0
		.amdhsa_next_free_vgpr 1
		.amdhsa_next_free_sgpr 0
		.amdhsa_accum_offset 4
		.amdhsa_reserve_vcc 0
		.amdhsa_reserve_flat_scratch 0
		.amdhsa_float_round_mode_32 0
		.amdhsa_float_round_mode_16_64 0
		.amdhsa_float_denorm_mode_32 3
		.amdhsa_float_denorm_mode_16_64 3
		.amdhsa_dx10_clamp 1
		.amdhsa_ieee_mode 1
		.amdhsa_fp16_overflow 0
		.amdhsa_tg_split 0
		.amdhsa_exception_fp_ieee_invalid_op 0
		.amdhsa_exception_fp_denorm_src 0
		.amdhsa_exception_fp_ieee_div_zero 0
		.amdhsa_exception_fp_ieee_overflow 0
		.amdhsa_exception_fp_ieee_underflow 0
		.amdhsa_exception_fp_ieee_inexact 0
		.amdhsa_exception_int_div_zero 0
	.end_amdhsa_kernel
	.section	.text._ZN7rocprim17ROCPRIM_400000_NS6detail17trampoline_kernelINS0_14default_configENS1_21merge_config_selectorIfNS0_10empty_typeEEEZNS1_10merge_implIS3_N6thrust23THRUST_200600_302600_NS6detail15normal_iteratorINS9_10device_ptrIKfEEEESF_NS9_16discard_iteratorINS9_11use_defaultEEEPS5_SJ_SJ_NS9_4lessIfEEEE10hipError_tPvRmT0_T1_T2_T3_T4_T5_mmT6_P12ihipStream_tbEUlT_E0_NS1_11comp_targetILNS1_3genE3ELNS1_11target_archE908ELNS1_3gpuE7ELNS1_3repE0EEENS1_30default_config_static_selectorELNS0_4arch9wavefront6targetE1EEEvSQ_,"axG",@progbits,_ZN7rocprim17ROCPRIM_400000_NS6detail17trampoline_kernelINS0_14default_configENS1_21merge_config_selectorIfNS0_10empty_typeEEEZNS1_10merge_implIS3_N6thrust23THRUST_200600_302600_NS6detail15normal_iteratorINS9_10device_ptrIKfEEEESF_NS9_16discard_iteratorINS9_11use_defaultEEEPS5_SJ_SJ_NS9_4lessIfEEEE10hipError_tPvRmT0_T1_T2_T3_T4_T5_mmT6_P12ihipStream_tbEUlT_E0_NS1_11comp_targetILNS1_3genE3ELNS1_11target_archE908ELNS1_3gpuE7ELNS1_3repE0EEENS1_30default_config_static_selectorELNS0_4arch9wavefront6targetE1EEEvSQ_,comdat
.Lfunc_end347:
	.size	_ZN7rocprim17ROCPRIM_400000_NS6detail17trampoline_kernelINS0_14default_configENS1_21merge_config_selectorIfNS0_10empty_typeEEEZNS1_10merge_implIS3_N6thrust23THRUST_200600_302600_NS6detail15normal_iteratorINS9_10device_ptrIKfEEEESF_NS9_16discard_iteratorINS9_11use_defaultEEEPS5_SJ_SJ_NS9_4lessIfEEEE10hipError_tPvRmT0_T1_T2_T3_T4_T5_mmT6_P12ihipStream_tbEUlT_E0_NS1_11comp_targetILNS1_3genE3ELNS1_11target_archE908ELNS1_3gpuE7ELNS1_3repE0EEENS1_30default_config_static_selectorELNS0_4arch9wavefront6targetE1EEEvSQ_, .Lfunc_end347-_ZN7rocprim17ROCPRIM_400000_NS6detail17trampoline_kernelINS0_14default_configENS1_21merge_config_selectorIfNS0_10empty_typeEEEZNS1_10merge_implIS3_N6thrust23THRUST_200600_302600_NS6detail15normal_iteratorINS9_10device_ptrIKfEEEESF_NS9_16discard_iteratorINS9_11use_defaultEEEPS5_SJ_SJ_NS9_4lessIfEEEE10hipError_tPvRmT0_T1_T2_T3_T4_T5_mmT6_P12ihipStream_tbEUlT_E0_NS1_11comp_targetILNS1_3genE3ELNS1_11target_archE908ELNS1_3gpuE7ELNS1_3repE0EEENS1_30default_config_static_selectorELNS0_4arch9wavefront6targetE1EEEvSQ_
                                        ; -- End function
	.section	.AMDGPU.csdata,"",@progbits
; Kernel info:
; codeLenInByte = 0
; NumSgprs: 4
; NumVgprs: 0
; NumAgprs: 0
; TotalNumVgprs: 0
; ScratchSize: 0
; MemoryBound: 0
; FloatMode: 240
; IeeeMode: 1
; LDSByteSize: 0 bytes/workgroup (compile time only)
; SGPRBlocks: 0
; VGPRBlocks: 0
; NumSGPRsForWavesPerEU: 4
; NumVGPRsForWavesPerEU: 1
; AccumOffset: 4
; Occupancy: 8
; WaveLimiterHint : 0
; COMPUTE_PGM_RSRC2:SCRATCH_EN: 0
; COMPUTE_PGM_RSRC2:USER_SGPR: 6
; COMPUTE_PGM_RSRC2:TRAP_HANDLER: 0
; COMPUTE_PGM_RSRC2:TGID_X_EN: 1
; COMPUTE_PGM_RSRC2:TGID_Y_EN: 0
; COMPUTE_PGM_RSRC2:TGID_Z_EN: 0
; COMPUTE_PGM_RSRC2:TIDIG_COMP_CNT: 0
; COMPUTE_PGM_RSRC3_GFX90A:ACCUM_OFFSET: 0
; COMPUTE_PGM_RSRC3_GFX90A:TG_SPLIT: 0
	.section	.text._ZN7rocprim17ROCPRIM_400000_NS6detail17trampoline_kernelINS0_14default_configENS1_21merge_config_selectorIfNS0_10empty_typeEEEZNS1_10merge_implIS3_N6thrust23THRUST_200600_302600_NS6detail15normal_iteratorINS9_10device_ptrIKfEEEESF_NS9_16discard_iteratorINS9_11use_defaultEEEPS5_SJ_SJ_NS9_4lessIfEEEE10hipError_tPvRmT0_T1_T2_T3_T4_T5_mmT6_P12ihipStream_tbEUlT_E0_NS1_11comp_targetILNS1_3genE2ELNS1_11target_archE906ELNS1_3gpuE6ELNS1_3repE0EEENS1_30default_config_static_selectorELNS0_4arch9wavefront6targetE1EEEvSQ_,"axG",@progbits,_ZN7rocprim17ROCPRIM_400000_NS6detail17trampoline_kernelINS0_14default_configENS1_21merge_config_selectorIfNS0_10empty_typeEEEZNS1_10merge_implIS3_N6thrust23THRUST_200600_302600_NS6detail15normal_iteratorINS9_10device_ptrIKfEEEESF_NS9_16discard_iteratorINS9_11use_defaultEEEPS5_SJ_SJ_NS9_4lessIfEEEE10hipError_tPvRmT0_T1_T2_T3_T4_T5_mmT6_P12ihipStream_tbEUlT_E0_NS1_11comp_targetILNS1_3genE2ELNS1_11target_archE906ELNS1_3gpuE6ELNS1_3repE0EEENS1_30default_config_static_selectorELNS0_4arch9wavefront6targetE1EEEvSQ_,comdat
	.protected	_ZN7rocprim17ROCPRIM_400000_NS6detail17trampoline_kernelINS0_14default_configENS1_21merge_config_selectorIfNS0_10empty_typeEEEZNS1_10merge_implIS3_N6thrust23THRUST_200600_302600_NS6detail15normal_iteratorINS9_10device_ptrIKfEEEESF_NS9_16discard_iteratorINS9_11use_defaultEEEPS5_SJ_SJ_NS9_4lessIfEEEE10hipError_tPvRmT0_T1_T2_T3_T4_T5_mmT6_P12ihipStream_tbEUlT_E0_NS1_11comp_targetILNS1_3genE2ELNS1_11target_archE906ELNS1_3gpuE6ELNS1_3repE0EEENS1_30default_config_static_selectorELNS0_4arch9wavefront6targetE1EEEvSQ_ ; -- Begin function _ZN7rocprim17ROCPRIM_400000_NS6detail17trampoline_kernelINS0_14default_configENS1_21merge_config_selectorIfNS0_10empty_typeEEEZNS1_10merge_implIS3_N6thrust23THRUST_200600_302600_NS6detail15normal_iteratorINS9_10device_ptrIKfEEEESF_NS9_16discard_iteratorINS9_11use_defaultEEEPS5_SJ_SJ_NS9_4lessIfEEEE10hipError_tPvRmT0_T1_T2_T3_T4_T5_mmT6_P12ihipStream_tbEUlT_E0_NS1_11comp_targetILNS1_3genE2ELNS1_11target_archE906ELNS1_3gpuE6ELNS1_3repE0EEENS1_30default_config_static_selectorELNS0_4arch9wavefront6targetE1EEEvSQ_
	.globl	_ZN7rocprim17ROCPRIM_400000_NS6detail17trampoline_kernelINS0_14default_configENS1_21merge_config_selectorIfNS0_10empty_typeEEEZNS1_10merge_implIS3_N6thrust23THRUST_200600_302600_NS6detail15normal_iteratorINS9_10device_ptrIKfEEEESF_NS9_16discard_iteratorINS9_11use_defaultEEEPS5_SJ_SJ_NS9_4lessIfEEEE10hipError_tPvRmT0_T1_T2_T3_T4_T5_mmT6_P12ihipStream_tbEUlT_E0_NS1_11comp_targetILNS1_3genE2ELNS1_11target_archE906ELNS1_3gpuE6ELNS1_3repE0EEENS1_30default_config_static_selectorELNS0_4arch9wavefront6targetE1EEEvSQ_
	.p2align	8
	.type	_ZN7rocprim17ROCPRIM_400000_NS6detail17trampoline_kernelINS0_14default_configENS1_21merge_config_selectorIfNS0_10empty_typeEEEZNS1_10merge_implIS3_N6thrust23THRUST_200600_302600_NS6detail15normal_iteratorINS9_10device_ptrIKfEEEESF_NS9_16discard_iteratorINS9_11use_defaultEEEPS5_SJ_SJ_NS9_4lessIfEEEE10hipError_tPvRmT0_T1_T2_T3_T4_T5_mmT6_P12ihipStream_tbEUlT_E0_NS1_11comp_targetILNS1_3genE2ELNS1_11target_archE906ELNS1_3gpuE6ELNS1_3repE0EEENS1_30default_config_static_selectorELNS0_4arch9wavefront6targetE1EEEvSQ_,@function
_ZN7rocprim17ROCPRIM_400000_NS6detail17trampoline_kernelINS0_14default_configENS1_21merge_config_selectorIfNS0_10empty_typeEEEZNS1_10merge_implIS3_N6thrust23THRUST_200600_302600_NS6detail15normal_iteratorINS9_10device_ptrIKfEEEESF_NS9_16discard_iteratorINS9_11use_defaultEEEPS5_SJ_SJ_NS9_4lessIfEEEE10hipError_tPvRmT0_T1_T2_T3_T4_T5_mmT6_P12ihipStream_tbEUlT_E0_NS1_11comp_targetILNS1_3genE2ELNS1_11target_archE906ELNS1_3gpuE6ELNS1_3repE0EEENS1_30default_config_static_selectorELNS0_4arch9wavefront6targetE1EEEvSQ_: ; @_ZN7rocprim17ROCPRIM_400000_NS6detail17trampoline_kernelINS0_14default_configENS1_21merge_config_selectorIfNS0_10empty_typeEEEZNS1_10merge_implIS3_N6thrust23THRUST_200600_302600_NS6detail15normal_iteratorINS9_10device_ptrIKfEEEESF_NS9_16discard_iteratorINS9_11use_defaultEEEPS5_SJ_SJ_NS9_4lessIfEEEE10hipError_tPvRmT0_T1_T2_T3_T4_T5_mmT6_P12ihipStream_tbEUlT_E0_NS1_11comp_targetILNS1_3genE2ELNS1_11target_archE906ELNS1_3gpuE6ELNS1_3repE0EEENS1_30default_config_static_selectorELNS0_4arch9wavefront6targetE1EEEvSQ_
; %bb.0:
	.section	.rodata,"a",@progbits
	.p2align	6, 0x0
	.amdhsa_kernel _ZN7rocprim17ROCPRIM_400000_NS6detail17trampoline_kernelINS0_14default_configENS1_21merge_config_selectorIfNS0_10empty_typeEEEZNS1_10merge_implIS3_N6thrust23THRUST_200600_302600_NS6detail15normal_iteratorINS9_10device_ptrIKfEEEESF_NS9_16discard_iteratorINS9_11use_defaultEEEPS5_SJ_SJ_NS9_4lessIfEEEE10hipError_tPvRmT0_T1_T2_T3_T4_T5_mmT6_P12ihipStream_tbEUlT_E0_NS1_11comp_targetILNS1_3genE2ELNS1_11target_archE906ELNS1_3gpuE6ELNS1_3repE0EEENS1_30default_config_static_selectorELNS0_4arch9wavefront6targetE1EEEvSQ_
		.amdhsa_group_segment_fixed_size 0
		.amdhsa_private_segment_fixed_size 0
		.amdhsa_kernarg_size 96
		.amdhsa_user_sgpr_count 6
		.amdhsa_user_sgpr_private_segment_buffer 1
		.amdhsa_user_sgpr_dispatch_ptr 0
		.amdhsa_user_sgpr_queue_ptr 0
		.amdhsa_user_sgpr_kernarg_segment_ptr 1
		.amdhsa_user_sgpr_dispatch_id 0
		.amdhsa_user_sgpr_flat_scratch_init 0
		.amdhsa_user_sgpr_kernarg_preload_length 0
		.amdhsa_user_sgpr_kernarg_preload_offset 0
		.amdhsa_user_sgpr_private_segment_size 0
		.amdhsa_uses_dynamic_stack 0
		.amdhsa_system_sgpr_private_segment_wavefront_offset 0
		.amdhsa_system_sgpr_workgroup_id_x 1
		.amdhsa_system_sgpr_workgroup_id_y 0
		.amdhsa_system_sgpr_workgroup_id_z 0
		.amdhsa_system_sgpr_workgroup_info 0
		.amdhsa_system_vgpr_workitem_id 0
		.amdhsa_next_free_vgpr 1
		.amdhsa_next_free_sgpr 0
		.amdhsa_accum_offset 4
		.amdhsa_reserve_vcc 0
		.amdhsa_reserve_flat_scratch 0
		.amdhsa_float_round_mode_32 0
		.amdhsa_float_round_mode_16_64 0
		.amdhsa_float_denorm_mode_32 3
		.amdhsa_float_denorm_mode_16_64 3
		.amdhsa_dx10_clamp 1
		.amdhsa_ieee_mode 1
		.amdhsa_fp16_overflow 0
		.amdhsa_tg_split 0
		.amdhsa_exception_fp_ieee_invalid_op 0
		.amdhsa_exception_fp_denorm_src 0
		.amdhsa_exception_fp_ieee_div_zero 0
		.amdhsa_exception_fp_ieee_overflow 0
		.amdhsa_exception_fp_ieee_underflow 0
		.amdhsa_exception_fp_ieee_inexact 0
		.amdhsa_exception_int_div_zero 0
	.end_amdhsa_kernel
	.section	.text._ZN7rocprim17ROCPRIM_400000_NS6detail17trampoline_kernelINS0_14default_configENS1_21merge_config_selectorIfNS0_10empty_typeEEEZNS1_10merge_implIS3_N6thrust23THRUST_200600_302600_NS6detail15normal_iteratorINS9_10device_ptrIKfEEEESF_NS9_16discard_iteratorINS9_11use_defaultEEEPS5_SJ_SJ_NS9_4lessIfEEEE10hipError_tPvRmT0_T1_T2_T3_T4_T5_mmT6_P12ihipStream_tbEUlT_E0_NS1_11comp_targetILNS1_3genE2ELNS1_11target_archE906ELNS1_3gpuE6ELNS1_3repE0EEENS1_30default_config_static_selectorELNS0_4arch9wavefront6targetE1EEEvSQ_,"axG",@progbits,_ZN7rocprim17ROCPRIM_400000_NS6detail17trampoline_kernelINS0_14default_configENS1_21merge_config_selectorIfNS0_10empty_typeEEEZNS1_10merge_implIS3_N6thrust23THRUST_200600_302600_NS6detail15normal_iteratorINS9_10device_ptrIKfEEEESF_NS9_16discard_iteratorINS9_11use_defaultEEEPS5_SJ_SJ_NS9_4lessIfEEEE10hipError_tPvRmT0_T1_T2_T3_T4_T5_mmT6_P12ihipStream_tbEUlT_E0_NS1_11comp_targetILNS1_3genE2ELNS1_11target_archE906ELNS1_3gpuE6ELNS1_3repE0EEENS1_30default_config_static_selectorELNS0_4arch9wavefront6targetE1EEEvSQ_,comdat
.Lfunc_end348:
	.size	_ZN7rocprim17ROCPRIM_400000_NS6detail17trampoline_kernelINS0_14default_configENS1_21merge_config_selectorIfNS0_10empty_typeEEEZNS1_10merge_implIS3_N6thrust23THRUST_200600_302600_NS6detail15normal_iteratorINS9_10device_ptrIKfEEEESF_NS9_16discard_iteratorINS9_11use_defaultEEEPS5_SJ_SJ_NS9_4lessIfEEEE10hipError_tPvRmT0_T1_T2_T3_T4_T5_mmT6_P12ihipStream_tbEUlT_E0_NS1_11comp_targetILNS1_3genE2ELNS1_11target_archE906ELNS1_3gpuE6ELNS1_3repE0EEENS1_30default_config_static_selectorELNS0_4arch9wavefront6targetE1EEEvSQ_, .Lfunc_end348-_ZN7rocprim17ROCPRIM_400000_NS6detail17trampoline_kernelINS0_14default_configENS1_21merge_config_selectorIfNS0_10empty_typeEEEZNS1_10merge_implIS3_N6thrust23THRUST_200600_302600_NS6detail15normal_iteratorINS9_10device_ptrIKfEEEESF_NS9_16discard_iteratorINS9_11use_defaultEEEPS5_SJ_SJ_NS9_4lessIfEEEE10hipError_tPvRmT0_T1_T2_T3_T4_T5_mmT6_P12ihipStream_tbEUlT_E0_NS1_11comp_targetILNS1_3genE2ELNS1_11target_archE906ELNS1_3gpuE6ELNS1_3repE0EEENS1_30default_config_static_selectorELNS0_4arch9wavefront6targetE1EEEvSQ_
                                        ; -- End function
	.section	.AMDGPU.csdata,"",@progbits
; Kernel info:
; codeLenInByte = 0
; NumSgprs: 4
; NumVgprs: 0
; NumAgprs: 0
; TotalNumVgprs: 0
; ScratchSize: 0
; MemoryBound: 0
; FloatMode: 240
; IeeeMode: 1
; LDSByteSize: 0 bytes/workgroup (compile time only)
; SGPRBlocks: 0
; VGPRBlocks: 0
; NumSGPRsForWavesPerEU: 4
; NumVGPRsForWavesPerEU: 1
; AccumOffset: 4
; Occupancy: 8
; WaveLimiterHint : 0
; COMPUTE_PGM_RSRC2:SCRATCH_EN: 0
; COMPUTE_PGM_RSRC2:USER_SGPR: 6
; COMPUTE_PGM_RSRC2:TRAP_HANDLER: 0
; COMPUTE_PGM_RSRC2:TGID_X_EN: 1
; COMPUTE_PGM_RSRC2:TGID_Y_EN: 0
; COMPUTE_PGM_RSRC2:TGID_Z_EN: 0
; COMPUTE_PGM_RSRC2:TIDIG_COMP_CNT: 0
; COMPUTE_PGM_RSRC3_GFX90A:ACCUM_OFFSET: 0
; COMPUTE_PGM_RSRC3_GFX90A:TG_SPLIT: 0
	.section	.text._ZN7rocprim17ROCPRIM_400000_NS6detail17trampoline_kernelINS0_14default_configENS1_21merge_config_selectorIfNS0_10empty_typeEEEZNS1_10merge_implIS3_N6thrust23THRUST_200600_302600_NS6detail15normal_iteratorINS9_10device_ptrIKfEEEESF_NS9_16discard_iteratorINS9_11use_defaultEEEPS5_SJ_SJ_NS9_4lessIfEEEE10hipError_tPvRmT0_T1_T2_T3_T4_T5_mmT6_P12ihipStream_tbEUlT_E0_NS1_11comp_targetILNS1_3genE10ELNS1_11target_archE1201ELNS1_3gpuE5ELNS1_3repE0EEENS1_30default_config_static_selectorELNS0_4arch9wavefront6targetE1EEEvSQ_,"axG",@progbits,_ZN7rocprim17ROCPRIM_400000_NS6detail17trampoline_kernelINS0_14default_configENS1_21merge_config_selectorIfNS0_10empty_typeEEEZNS1_10merge_implIS3_N6thrust23THRUST_200600_302600_NS6detail15normal_iteratorINS9_10device_ptrIKfEEEESF_NS9_16discard_iteratorINS9_11use_defaultEEEPS5_SJ_SJ_NS9_4lessIfEEEE10hipError_tPvRmT0_T1_T2_T3_T4_T5_mmT6_P12ihipStream_tbEUlT_E0_NS1_11comp_targetILNS1_3genE10ELNS1_11target_archE1201ELNS1_3gpuE5ELNS1_3repE0EEENS1_30default_config_static_selectorELNS0_4arch9wavefront6targetE1EEEvSQ_,comdat
	.protected	_ZN7rocprim17ROCPRIM_400000_NS6detail17trampoline_kernelINS0_14default_configENS1_21merge_config_selectorIfNS0_10empty_typeEEEZNS1_10merge_implIS3_N6thrust23THRUST_200600_302600_NS6detail15normal_iteratorINS9_10device_ptrIKfEEEESF_NS9_16discard_iteratorINS9_11use_defaultEEEPS5_SJ_SJ_NS9_4lessIfEEEE10hipError_tPvRmT0_T1_T2_T3_T4_T5_mmT6_P12ihipStream_tbEUlT_E0_NS1_11comp_targetILNS1_3genE10ELNS1_11target_archE1201ELNS1_3gpuE5ELNS1_3repE0EEENS1_30default_config_static_selectorELNS0_4arch9wavefront6targetE1EEEvSQ_ ; -- Begin function _ZN7rocprim17ROCPRIM_400000_NS6detail17trampoline_kernelINS0_14default_configENS1_21merge_config_selectorIfNS0_10empty_typeEEEZNS1_10merge_implIS3_N6thrust23THRUST_200600_302600_NS6detail15normal_iteratorINS9_10device_ptrIKfEEEESF_NS9_16discard_iteratorINS9_11use_defaultEEEPS5_SJ_SJ_NS9_4lessIfEEEE10hipError_tPvRmT0_T1_T2_T3_T4_T5_mmT6_P12ihipStream_tbEUlT_E0_NS1_11comp_targetILNS1_3genE10ELNS1_11target_archE1201ELNS1_3gpuE5ELNS1_3repE0EEENS1_30default_config_static_selectorELNS0_4arch9wavefront6targetE1EEEvSQ_
	.globl	_ZN7rocprim17ROCPRIM_400000_NS6detail17trampoline_kernelINS0_14default_configENS1_21merge_config_selectorIfNS0_10empty_typeEEEZNS1_10merge_implIS3_N6thrust23THRUST_200600_302600_NS6detail15normal_iteratorINS9_10device_ptrIKfEEEESF_NS9_16discard_iteratorINS9_11use_defaultEEEPS5_SJ_SJ_NS9_4lessIfEEEE10hipError_tPvRmT0_T1_T2_T3_T4_T5_mmT6_P12ihipStream_tbEUlT_E0_NS1_11comp_targetILNS1_3genE10ELNS1_11target_archE1201ELNS1_3gpuE5ELNS1_3repE0EEENS1_30default_config_static_selectorELNS0_4arch9wavefront6targetE1EEEvSQ_
	.p2align	8
	.type	_ZN7rocprim17ROCPRIM_400000_NS6detail17trampoline_kernelINS0_14default_configENS1_21merge_config_selectorIfNS0_10empty_typeEEEZNS1_10merge_implIS3_N6thrust23THRUST_200600_302600_NS6detail15normal_iteratorINS9_10device_ptrIKfEEEESF_NS9_16discard_iteratorINS9_11use_defaultEEEPS5_SJ_SJ_NS9_4lessIfEEEE10hipError_tPvRmT0_T1_T2_T3_T4_T5_mmT6_P12ihipStream_tbEUlT_E0_NS1_11comp_targetILNS1_3genE10ELNS1_11target_archE1201ELNS1_3gpuE5ELNS1_3repE0EEENS1_30default_config_static_selectorELNS0_4arch9wavefront6targetE1EEEvSQ_,@function
_ZN7rocprim17ROCPRIM_400000_NS6detail17trampoline_kernelINS0_14default_configENS1_21merge_config_selectorIfNS0_10empty_typeEEEZNS1_10merge_implIS3_N6thrust23THRUST_200600_302600_NS6detail15normal_iteratorINS9_10device_ptrIKfEEEESF_NS9_16discard_iteratorINS9_11use_defaultEEEPS5_SJ_SJ_NS9_4lessIfEEEE10hipError_tPvRmT0_T1_T2_T3_T4_T5_mmT6_P12ihipStream_tbEUlT_E0_NS1_11comp_targetILNS1_3genE10ELNS1_11target_archE1201ELNS1_3gpuE5ELNS1_3repE0EEENS1_30default_config_static_selectorELNS0_4arch9wavefront6targetE1EEEvSQ_: ; @_ZN7rocprim17ROCPRIM_400000_NS6detail17trampoline_kernelINS0_14default_configENS1_21merge_config_selectorIfNS0_10empty_typeEEEZNS1_10merge_implIS3_N6thrust23THRUST_200600_302600_NS6detail15normal_iteratorINS9_10device_ptrIKfEEEESF_NS9_16discard_iteratorINS9_11use_defaultEEEPS5_SJ_SJ_NS9_4lessIfEEEE10hipError_tPvRmT0_T1_T2_T3_T4_T5_mmT6_P12ihipStream_tbEUlT_E0_NS1_11comp_targetILNS1_3genE10ELNS1_11target_archE1201ELNS1_3gpuE5ELNS1_3repE0EEENS1_30default_config_static_selectorELNS0_4arch9wavefront6targetE1EEEvSQ_
; %bb.0:
	.section	.rodata,"a",@progbits
	.p2align	6, 0x0
	.amdhsa_kernel _ZN7rocprim17ROCPRIM_400000_NS6detail17trampoline_kernelINS0_14default_configENS1_21merge_config_selectorIfNS0_10empty_typeEEEZNS1_10merge_implIS3_N6thrust23THRUST_200600_302600_NS6detail15normal_iteratorINS9_10device_ptrIKfEEEESF_NS9_16discard_iteratorINS9_11use_defaultEEEPS5_SJ_SJ_NS9_4lessIfEEEE10hipError_tPvRmT0_T1_T2_T3_T4_T5_mmT6_P12ihipStream_tbEUlT_E0_NS1_11comp_targetILNS1_3genE10ELNS1_11target_archE1201ELNS1_3gpuE5ELNS1_3repE0EEENS1_30default_config_static_selectorELNS0_4arch9wavefront6targetE1EEEvSQ_
		.amdhsa_group_segment_fixed_size 0
		.amdhsa_private_segment_fixed_size 0
		.amdhsa_kernarg_size 96
		.amdhsa_user_sgpr_count 6
		.amdhsa_user_sgpr_private_segment_buffer 1
		.amdhsa_user_sgpr_dispatch_ptr 0
		.amdhsa_user_sgpr_queue_ptr 0
		.amdhsa_user_sgpr_kernarg_segment_ptr 1
		.amdhsa_user_sgpr_dispatch_id 0
		.amdhsa_user_sgpr_flat_scratch_init 0
		.amdhsa_user_sgpr_kernarg_preload_length 0
		.amdhsa_user_sgpr_kernarg_preload_offset 0
		.amdhsa_user_sgpr_private_segment_size 0
		.amdhsa_uses_dynamic_stack 0
		.amdhsa_system_sgpr_private_segment_wavefront_offset 0
		.amdhsa_system_sgpr_workgroup_id_x 1
		.amdhsa_system_sgpr_workgroup_id_y 0
		.amdhsa_system_sgpr_workgroup_id_z 0
		.amdhsa_system_sgpr_workgroup_info 0
		.amdhsa_system_vgpr_workitem_id 0
		.amdhsa_next_free_vgpr 1
		.amdhsa_next_free_sgpr 0
		.amdhsa_accum_offset 4
		.amdhsa_reserve_vcc 0
		.amdhsa_reserve_flat_scratch 0
		.amdhsa_float_round_mode_32 0
		.amdhsa_float_round_mode_16_64 0
		.amdhsa_float_denorm_mode_32 3
		.amdhsa_float_denorm_mode_16_64 3
		.amdhsa_dx10_clamp 1
		.amdhsa_ieee_mode 1
		.amdhsa_fp16_overflow 0
		.amdhsa_tg_split 0
		.amdhsa_exception_fp_ieee_invalid_op 0
		.amdhsa_exception_fp_denorm_src 0
		.amdhsa_exception_fp_ieee_div_zero 0
		.amdhsa_exception_fp_ieee_overflow 0
		.amdhsa_exception_fp_ieee_underflow 0
		.amdhsa_exception_fp_ieee_inexact 0
		.amdhsa_exception_int_div_zero 0
	.end_amdhsa_kernel
	.section	.text._ZN7rocprim17ROCPRIM_400000_NS6detail17trampoline_kernelINS0_14default_configENS1_21merge_config_selectorIfNS0_10empty_typeEEEZNS1_10merge_implIS3_N6thrust23THRUST_200600_302600_NS6detail15normal_iteratorINS9_10device_ptrIKfEEEESF_NS9_16discard_iteratorINS9_11use_defaultEEEPS5_SJ_SJ_NS9_4lessIfEEEE10hipError_tPvRmT0_T1_T2_T3_T4_T5_mmT6_P12ihipStream_tbEUlT_E0_NS1_11comp_targetILNS1_3genE10ELNS1_11target_archE1201ELNS1_3gpuE5ELNS1_3repE0EEENS1_30default_config_static_selectorELNS0_4arch9wavefront6targetE1EEEvSQ_,"axG",@progbits,_ZN7rocprim17ROCPRIM_400000_NS6detail17trampoline_kernelINS0_14default_configENS1_21merge_config_selectorIfNS0_10empty_typeEEEZNS1_10merge_implIS3_N6thrust23THRUST_200600_302600_NS6detail15normal_iteratorINS9_10device_ptrIKfEEEESF_NS9_16discard_iteratorINS9_11use_defaultEEEPS5_SJ_SJ_NS9_4lessIfEEEE10hipError_tPvRmT0_T1_T2_T3_T4_T5_mmT6_P12ihipStream_tbEUlT_E0_NS1_11comp_targetILNS1_3genE10ELNS1_11target_archE1201ELNS1_3gpuE5ELNS1_3repE0EEENS1_30default_config_static_selectorELNS0_4arch9wavefront6targetE1EEEvSQ_,comdat
.Lfunc_end349:
	.size	_ZN7rocprim17ROCPRIM_400000_NS6detail17trampoline_kernelINS0_14default_configENS1_21merge_config_selectorIfNS0_10empty_typeEEEZNS1_10merge_implIS3_N6thrust23THRUST_200600_302600_NS6detail15normal_iteratorINS9_10device_ptrIKfEEEESF_NS9_16discard_iteratorINS9_11use_defaultEEEPS5_SJ_SJ_NS9_4lessIfEEEE10hipError_tPvRmT0_T1_T2_T3_T4_T5_mmT6_P12ihipStream_tbEUlT_E0_NS1_11comp_targetILNS1_3genE10ELNS1_11target_archE1201ELNS1_3gpuE5ELNS1_3repE0EEENS1_30default_config_static_selectorELNS0_4arch9wavefront6targetE1EEEvSQ_, .Lfunc_end349-_ZN7rocprim17ROCPRIM_400000_NS6detail17trampoline_kernelINS0_14default_configENS1_21merge_config_selectorIfNS0_10empty_typeEEEZNS1_10merge_implIS3_N6thrust23THRUST_200600_302600_NS6detail15normal_iteratorINS9_10device_ptrIKfEEEESF_NS9_16discard_iteratorINS9_11use_defaultEEEPS5_SJ_SJ_NS9_4lessIfEEEE10hipError_tPvRmT0_T1_T2_T3_T4_T5_mmT6_P12ihipStream_tbEUlT_E0_NS1_11comp_targetILNS1_3genE10ELNS1_11target_archE1201ELNS1_3gpuE5ELNS1_3repE0EEENS1_30default_config_static_selectorELNS0_4arch9wavefront6targetE1EEEvSQ_
                                        ; -- End function
	.section	.AMDGPU.csdata,"",@progbits
; Kernel info:
; codeLenInByte = 0
; NumSgprs: 4
; NumVgprs: 0
; NumAgprs: 0
; TotalNumVgprs: 0
; ScratchSize: 0
; MemoryBound: 0
; FloatMode: 240
; IeeeMode: 1
; LDSByteSize: 0 bytes/workgroup (compile time only)
; SGPRBlocks: 0
; VGPRBlocks: 0
; NumSGPRsForWavesPerEU: 4
; NumVGPRsForWavesPerEU: 1
; AccumOffset: 4
; Occupancy: 8
; WaveLimiterHint : 0
; COMPUTE_PGM_RSRC2:SCRATCH_EN: 0
; COMPUTE_PGM_RSRC2:USER_SGPR: 6
; COMPUTE_PGM_RSRC2:TRAP_HANDLER: 0
; COMPUTE_PGM_RSRC2:TGID_X_EN: 1
; COMPUTE_PGM_RSRC2:TGID_Y_EN: 0
; COMPUTE_PGM_RSRC2:TGID_Z_EN: 0
; COMPUTE_PGM_RSRC2:TIDIG_COMP_CNT: 0
; COMPUTE_PGM_RSRC3_GFX90A:ACCUM_OFFSET: 0
; COMPUTE_PGM_RSRC3_GFX90A:TG_SPLIT: 0
	.section	.text._ZN7rocprim17ROCPRIM_400000_NS6detail17trampoline_kernelINS0_14default_configENS1_21merge_config_selectorIfNS0_10empty_typeEEEZNS1_10merge_implIS3_N6thrust23THRUST_200600_302600_NS6detail15normal_iteratorINS9_10device_ptrIKfEEEESF_NS9_16discard_iteratorINS9_11use_defaultEEEPS5_SJ_SJ_NS9_4lessIfEEEE10hipError_tPvRmT0_T1_T2_T3_T4_T5_mmT6_P12ihipStream_tbEUlT_E0_NS1_11comp_targetILNS1_3genE10ELNS1_11target_archE1200ELNS1_3gpuE4ELNS1_3repE0EEENS1_30default_config_static_selectorELNS0_4arch9wavefront6targetE1EEEvSQ_,"axG",@progbits,_ZN7rocprim17ROCPRIM_400000_NS6detail17trampoline_kernelINS0_14default_configENS1_21merge_config_selectorIfNS0_10empty_typeEEEZNS1_10merge_implIS3_N6thrust23THRUST_200600_302600_NS6detail15normal_iteratorINS9_10device_ptrIKfEEEESF_NS9_16discard_iteratorINS9_11use_defaultEEEPS5_SJ_SJ_NS9_4lessIfEEEE10hipError_tPvRmT0_T1_T2_T3_T4_T5_mmT6_P12ihipStream_tbEUlT_E0_NS1_11comp_targetILNS1_3genE10ELNS1_11target_archE1200ELNS1_3gpuE4ELNS1_3repE0EEENS1_30default_config_static_selectorELNS0_4arch9wavefront6targetE1EEEvSQ_,comdat
	.protected	_ZN7rocprim17ROCPRIM_400000_NS6detail17trampoline_kernelINS0_14default_configENS1_21merge_config_selectorIfNS0_10empty_typeEEEZNS1_10merge_implIS3_N6thrust23THRUST_200600_302600_NS6detail15normal_iteratorINS9_10device_ptrIKfEEEESF_NS9_16discard_iteratorINS9_11use_defaultEEEPS5_SJ_SJ_NS9_4lessIfEEEE10hipError_tPvRmT0_T1_T2_T3_T4_T5_mmT6_P12ihipStream_tbEUlT_E0_NS1_11comp_targetILNS1_3genE10ELNS1_11target_archE1200ELNS1_3gpuE4ELNS1_3repE0EEENS1_30default_config_static_selectorELNS0_4arch9wavefront6targetE1EEEvSQ_ ; -- Begin function _ZN7rocprim17ROCPRIM_400000_NS6detail17trampoline_kernelINS0_14default_configENS1_21merge_config_selectorIfNS0_10empty_typeEEEZNS1_10merge_implIS3_N6thrust23THRUST_200600_302600_NS6detail15normal_iteratorINS9_10device_ptrIKfEEEESF_NS9_16discard_iteratorINS9_11use_defaultEEEPS5_SJ_SJ_NS9_4lessIfEEEE10hipError_tPvRmT0_T1_T2_T3_T4_T5_mmT6_P12ihipStream_tbEUlT_E0_NS1_11comp_targetILNS1_3genE10ELNS1_11target_archE1200ELNS1_3gpuE4ELNS1_3repE0EEENS1_30default_config_static_selectorELNS0_4arch9wavefront6targetE1EEEvSQ_
	.globl	_ZN7rocprim17ROCPRIM_400000_NS6detail17trampoline_kernelINS0_14default_configENS1_21merge_config_selectorIfNS0_10empty_typeEEEZNS1_10merge_implIS3_N6thrust23THRUST_200600_302600_NS6detail15normal_iteratorINS9_10device_ptrIKfEEEESF_NS9_16discard_iteratorINS9_11use_defaultEEEPS5_SJ_SJ_NS9_4lessIfEEEE10hipError_tPvRmT0_T1_T2_T3_T4_T5_mmT6_P12ihipStream_tbEUlT_E0_NS1_11comp_targetILNS1_3genE10ELNS1_11target_archE1200ELNS1_3gpuE4ELNS1_3repE0EEENS1_30default_config_static_selectorELNS0_4arch9wavefront6targetE1EEEvSQ_
	.p2align	8
	.type	_ZN7rocprim17ROCPRIM_400000_NS6detail17trampoline_kernelINS0_14default_configENS1_21merge_config_selectorIfNS0_10empty_typeEEEZNS1_10merge_implIS3_N6thrust23THRUST_200600_302600_NS6detail15normal_iteratorINS9_10device_ptrIKfEEEESF_NS9_16discard_iteratorINS9_11use_defaultEEEPS5_SJ_SJ_NS9_4lessIfEEEE10hipError_tPvRmT0_T1_T2_T3_T4_T5_mmT6_P12ihipStream_tbEUlT_E0_NS1_11comp_targetILNS1_3genE10ELNS1_11target_archE1200ELNS1_3gpuE4ELNS1_3repE0EEENS1_30default_config_static_selectorELNS0_4arch9wavefront6targetE1EEEvSQ_,@function
_ZN7rocprim17ROCPRIM_400000_NS6detail17trampoline_kernelINS0_14default_configENS1_21merge_config_selectorIfNS0_10empty_typeEEEZNS1_10merge_implIS3_N6thrust23THRUST_200600_302600_NS6detail15normal_iteratorINS9_10device_ptrIKfEEEESF_NS9_16discard_iteratorINS9_11use_defaultEEEPS5_SJ_SJ_NS9_4lessIfEEEE10hipError_tPvRmT0_T1_T2_T3_T4_T5_mmT6_P12ihipStream_tbEUlT_E0_NS1_11comp_targetILNS1_3genE10ELNS1_11target_archE1200ELNS1_3gpuE4ELNS1_3repE0EEENS1_30default_config_static_selectorELNS0_4arch9wavefront6targetE1EEEvSQ_: ; @_ZN7rocprim17ROCPRIM_400000_NS6detail17trampoline_kernelINS0_14default_configENS1_21merge_config_selectorIfNS0_10empty_typeEEEZNS1_10merge_implIS3_N6thrust23THRUST_200600_302600_NS6detail15normal_iteratorINS9_10device_ptrIKfEEEESF_NS9_16discard_iteratorINS9_11use_defaultEEEPS5_SJ_SJ_NS9_4lessIfEEEE10hipError_tPvRmT0_T1_T2_T3_T4_T5_mmT6_P12ihipStream_tbEUlT_E0_NS1_11comp_targetILNS1_3genE10ELNS1_11target_archE1200ELNS1_3gpuE4ELNS1_3repE0EEENS1_30default_config_static_selectorELNS0_4arch9wavefront6targetE1EEEvSQ_
; %bb.0:
	.section	.rodata,"a",@progbits
	.p2align	6, 0x0
	.amdhsa_kernel _ZN7rocprim17ROCPRIM_400000_NS6detail17trampoline_kernelINS0_14default_configENS1_21merge_config_selectorIfNS0_10empty_typeEEEZNS1_10merge_implIS3_N6thrust23THRUST_200600_302600_NS6detail15normal_iteratorINS9_10device_ptrIKfEEEESF_NS9_16discard_iteratorINS9_11use_defaultEEEPS5_SJ_SJ_NS9_4lessIfEEEE10hipError_tPvRmT0_T1_T2_T3_T4_T5_mmT6_P12ihipStream_tbEUlT_E0_NS1_11comp_targetILNS1_3genE10ELNS1_11target_archE1200ELNS1_3gpuE4ELNS1_3repE0EEENS1_30default_config_static_selectorELNS0_4arch9wavefront6targetE1EEEvSQ_
		.amdhsa_group_segment_fixed_size 0
		.amdhsa_private_segment_fixed_size 0
		.amdhsa_kernarg_size 96
		.amdhsa_user_sgpr_count 6
		.amdhsa_user_sgpr_private_segment_buffer 1
		.amdhsa_user_sgpr_dispatch_ptr 0
		.amdhsa_user_sgpr_queue_ptr 0
		.amdhsa_user_sgpr_kernarg_segment_ptr 1
		.amdhsa_user_sgpr_dispatch_id 0
		.amdhsa_user_sgpr_flat_scratch_init 0
		.amdhsa_user_sgpr_kernarg_preload_length 0
		.amdhsa_user_sgpr_kernarg_preload_offset 0
		.amdhsa_user_sgpr_private_segment_size 0
		.amdhsa_uses_dynamic_stack 0
		.amdhsa_system_sgpr_private_segment_wavefront_offset 0
		.amdhsa_system_sgpr_workgroup_id_x 1
		.amdhsa_system_sgpr_workgroup_id_y 0
		.amdhsa_system_sgpr_workgroup_id_z 0
		.amdhsa_system_sgpr_workgroup_info 0
		.amdhsa_system_vgpr_workitem_id 0
		.amdhsa_next_free_vgpr 1
		.amdhsa_next_free_sgpr 0
		.amdhsa_accum_offset 4
		.amdhsa_reserve_vcc 0
		.amdhsa_reserve_flat_scratch 0
		.amdhsa_float_round_mode_32 0
		.amdhsa_float_round_mode_16_64 0
		.amdhsa_float_denorm_mode_32 3
		.amdhsa_float_denorm_mode_16_64 3
		.amdhsa_dx10_clamp 1
		.amdhsa_ieee_mode 1
		.amdhsa_fp16_overflow 0
		.amdhsa_tg_split 0
		.amdhsa_exception_fp_ieee_invalid_op 0
		.amdhsa_exception_fp_denorm_src 0
		.amdhsa_exception_fp_ieee_div_zero 0
		.amdhsa_exception_fp_ieee_overflow 0
		.amdhsa_exception_fp_ieee_underflow 0
		.amdhsa_exception_fp_ieee_inexact 0
		.amdhsa_exception_int_div_zero 0
	.end_amdhsa_kernel
	.section	.text._ZN7rocprim17ROCPRIM_400000_NS6detail17trampoline_kernelINS0_14default_configENS1_21merge_config_selectorIfNS0_10empty_typeEEEZNS1_10merge_implIS3_N6thrust23THRUST_200600_302600_NS6detail15normal_iteratorINS9_10device_ptrIKfEEEESF_NS9_16discard_iteratorINS9_11use_defaultEEEPS5_SJ_SJ_NS9_4lessIfEEEE10hipError_tPvRmT0_T1_T2_T3_T4_T5_mmT6_P12ihipStream_tbEUlT_E0_NS1_11comp_targetILNS1_3genE10ELNS1_11target_archE1200ELNS1_3gpuE4ELNS1_3repE0EEENS1_30default_config_static_selectorELNS0_4arch9wavefront6targetE1EEEvSQ_,"axG",@progbits,_ZN7rocprim17ROCPRIM_400000_NS6detail17trampoline_kernelINS0_14default_configENS1_21merge_config_selectorIfNS0_10empty_typeEEEZNS1_10merge_implIS3_N6thrust23THRUST_200600_302600_NS6detail15normal_iteratorINS9_10device_ptrIKfEEEESF_NS9_16discard_iteratorINS9_11use_defaultEEEPS5_SJ_SJ_NS9_4lessIfEEEE10hipError_tPvRmT0_T1_T2_T3_T4_T5_mmT6_P12ihipStream_tbEUlT_E0_NS1_11comp_targetILNS1_3genE10ELNS1_11target_archE1200ELNS1_3gpuE4ELNS1_3repE0EEENS1_30default_config_static_selectorELNS0_4arch9wavefront6targetE1EEEvSQ_,comdat
.Lfunc_end350:
	.size	_ZN7rocprim17ROCPRIM_400000_NS6detail17trampoline_kernelINS0_14default_configENS1_21merge_config_selectorIfNS0_10empty_typeEEEZNS1_10merge_implIS3_N6thrust23THRUST_200600_302600_NS6detail15normal_iteratorINS9_10device_ptrIKfEEEESF_NS9_16discard_iteratorINS9_11use_defaultEEEPS5_SJ_SJ_NS9_4lessIfEEEE10hipError_tPvRmT0_T1_T2_T3_T4_T5_mmT6_P12ihipStream_tbEUlT_E0_NS1_11comp_targetILNS1_3genE10ELNS1_11target_archE1200ELNS1_3gpuE4ELNS1_3repE0EEENS1_30default_config_static_selectorELNS0_4arch9wavefront6targetE1EEEvSQ_, .Lfunc_end350-_ZN7rocprim17ROCPRIM_400000_NS6detail17trampoline_kernelINS0_14default_configENS1_21merge_config_selectorIfNS0_10empty_typeEEEZNS1_10merge_implIS3_N6thrust23THRUST_200600_302600_NS6detail15normal_iteratorINS9_10device_ptrIKfEEEESF_NS9_16discard_iteratorINS9_11use_defaultEEEPS5_SJ_SJ_NS9_4lessIfEEEE10hipError_tPvRmT0_T1_T2_T3_T4_T5_mmT6_P12ihipStream_tbEUlT_E0_NS1_11comp_targetILNS1_3genE10ELNS1_11target_archE1200ELNS1_3gpuE4ELNS1_3repE0EEENS1_30default_config_static_selectorELNS0_4arch9wavefront6targetE1EEEvSQ_
                                        ; -- End function
	.section	.AMDGPU.csdata,"",@progbits
; Kernel info:
; codeLenInByte = 0
; NumSgprs: 4
; NumVgprs: 0
; NumAgprs: 0
; TotalNumVgprs: 0
; ScratchSize: 0
; MemoryBound: 0
; FloatMode: 240
; IeeeMode: 1
; LDSByteSize: 0 bytes/workgroup (compile time only)
; SGPRBlocks: 0
; VGPRBlocks: 0
; NumSGPRsForWavesPerEU: 4
; NumVGPRsForWavesPerEU: 1
; AccumOffset: 4
; Occupancy: 8
; WaveLimiterHint : 0
; COMPUTE_PGM_RSRC2:SCRATCH_EN: 0
; COMPUTE_PGM_RSRC2:USER_SGPR: 6
; COMPUTE_PGM_RSRC2:TRAP_HANDLER: 0
; COMPUTE_PGM_RSRC2:TGID_X_EN: 1
; COMPUTE_PGM_RSRC2:TGID_Y_EN: 0
; COMPUTE_PGM_RSRC2:TGID_Z_EN: 0
; COMPUTE_PGM_RSRC2:TIDIG_COMP_CNT: 0
; COMPUTE_PGM_RSRC3_GFX90A:ACCUM_OFFSET: 0
; COMPUTE_PGM_RSRC3_GFX90A:TG_SPLIT: 0
	.section	.text._ZN7rocprim17ROCPRIM_400000_NS6detail17trampoline_kernelINS0_14default_configENS1_21merge_config_selectorIfNS0_10empty_typeEEEZNS1_10merge_implIS3_N6thrust23THRUST_200600_302600_NS6detail15normal_iteratorINS9_10device_ptrIKfEEEESF_NS9_16discard_iteratorINS9_11use_defaultEEEPS5_SJ_SJ_NS9_4lessIfEEEE10hipError_tPvRmT0_T1_T2_T3_T4_T5_mmT6_P12ihipStream_tbEUlT_E0_NS1_11comp_targetILNS1_3genE9ELNS1_11target_archE1100ELNS1_3gpuE3ELNS1_3repE0EEENS1_30default_config_static_selectorELNS0_4arch9wavefront6targetE1EEEvSQ_,"axG",@progbits,_ZN7rocprim17ROCPRIM_400000_NS6detail17trampoline_kernelINS0_14default_configENS1_21merge_config_selectorIfNS0_10empty_typeEEEZNS1_10merge_implIS3_N6thrust23THRUST_200600_302600_NS6detail15normal_iteratorINS9_10device_ptrIKfEEEESF_NS9_16discard_iteratorINS9_11use_defaultEEEPS5_SJ_SJ_NS9_4lessIfEEEE10hipError_tPvRmT0_T1_T2_T3_T4_T5_mmT6_P12ihipStream_tbEUlT_E0_NS1_11comp_targetILNS1_3genE9ELNS1_11target_archE1100ELNS1_3gpuE3ELNS1_3repE0EEENS1_30default_config_static_selectorELNS0_4arch9wavefront6targetE1EEEvSQ_,comdat
	.protected	_ZN7rocprim17ROCPRIM_400000_NS6detail17trampoline_kernelINS0_14default_configENS1_21merge_config_selectorIfNS0_10empty_typeEEEZNS1_10merge_implIS3_N6thrust23THRUST_200600_302600_NS6detail15normal_iteratorINS9_10device_ptrIKfEEEESF_NS9_16discard_iteratorINS9_11use_defaultEEEPS5_SJ_SJ_NS9_4lessIfEEEE10hipError_tPvRmT0_T1_T2_T3_T4_T5_mmT6_P12ihipStream_tbEUlT_E0_NS1_11comp_targetILNS1_3genE9ELNS1_11target_archE1100ELNS1_3gpuE3ELNS1_3repE0EEENS1_30default_config_static_selectorELNS0_4arch9wavefront6targetE1EEEvSQ_ ; -- Begin function _ZN7rocprim17ROCPRIM_400000_NS6detail17trampoline_kernelINS0_14default_configENS1_21merge_config_selectorIfNS0_10empty_typeEEEZNS1_10merge_implIS3_N6thrust23THRUST_200600_302600_NS6detail15normal_iteratorINS9_10device_ptrIKfEEEESF_NS9_16discard_iteratorINS9_11use_defaultEEEPS5_SJ_SJ_NS9_4lessIfEEEE10hipError_tPvRmT0_T1_T2_T3_T4_T5_mmT6_P12ihipStream_tbEUlT_E0_NS1_11comp_targetILNS1_3genE9ELNS1_11target_archE1100ELNS1_3gpuE3ELNS1_3repE0EEENS1_30default_config_static_selectorELNS0_4arch9wavefront6targetE1EEEvSQ_
	.globl	_ZN7rocprim17ROCPRIM_400000_NS6detail17trampoline_kernelINS0_14default_configENS1_21merge_config_selectorIfNS0_10empty_typeEEEZNS1_10merge_implIS3_N6thrust23THRUST_200600_302600_NS6detail15normal_iteratorINS9_10device_ptrIKfEEEESF_NS9_16discard_iteratorINS9_11use_defaultEEEPS5_SJ_SJ_NS9_4lessIfEEEE10hipError_tPvRmT0_T1_T2_T3_T4_T5_mmT6_P12ihipStream_tbEUlT_E0_NS1_11comp_targetILNS1_3genE9ELNS1_11target_archE1100ELNS1_3gpuE3ELNS1_3repE0EEENS1_30default_config_static_selectorELNS0_4arch9wavefront6targetE1EEEvSQ_
	.p2align	8
	.type	_ZN7rocprim17ROCPRIM_400000_NS6detail17trampoline_kernelINS0_14default_configENS1_21merge_config_selectorIfNS0_10empty_typeEEEZNS1_10merge_implIS3_N6thrust23THRUST_200600_302600_NS6detail15normal_iteratorINS9_10device_ptrIKfEEEESF_NS9_16discard_iteratorINS9_11use_defaultEEEPS5_SJ_SJ_NS9_4lessIfEEEE10hipError_tPvRmT0_T1_T2_T3_T4_T5_mmT6_P12ihipStream_tbEUlT_E0_NS1_11comp_targetILNS1_3genE9ELNS1_11target_archE1100ELNS1_3gpuE3ELNS1_3repE0EEENS1_30default_config_static_selectorELNS0_4arch9wavefront6targetE1EEEvSQ_,@function
_ZN7rocprim17ROCPRIM_400000_NS6detail17trampoline_kernelINS0_14default_configENS1_21merge_config_selectorIfNS0_10empty_typeEEEZNS1_10merge_implIS3_N6thrust23THRUST_200600_302600_NS6detail15normal_iteratorINS9_10device_ptrIKfEEEESF_NS9_16discard_iteratorINS9_11use_defaultEEEPS5_SJ_SJ_NS9_4lessIfEEEE10hipError_tPvRmT0_T1_T2_T3_T4_T5_mmT6_P12ihipStream_tbEUlT_E0_NS1_11comp_targetILNS1_3genE9ELNS1_11target_archE1100ELNS1_3gpuE3ELNS1_3repE0EEENS1_30default_config_static_selectorELNS0_4arch9wavefront6targetE1EEEvSQ_: ; @_ZN7rocprim17ROCPRIM_400000_NS6detail17trampoline_kernelINS0_14default_configENS1_21merge_config_selectorIfNS0_10empty_typeEEEZNS1_10merge_implIS3_N6thrust23THRUST_200600_302600_NS6detail15normal_iteratorINS9_10device_ptrIKfEEEESF_NS9_16discard_iteratorINS9_11use_defaultEEEPS5_SJ_SJ_NS9_4lessIfEEEE10hipError_tPvRmT0_T1_T2_T3_T4_T5_mmT6_P12ihipStream_tbEUlT_E0_NS1_11comp_targetILNS1_3genE9ELNS1_11target_archE1100ELNS1_3gpuE3ELNS1_3repE0EEENS1_30default_config_static_selectorELNS0_4arch9wavefront6targetE1EEEvSQ_
; %bb.0:
	.section	.rodata,"a",@progbits
	.p2align	6, 0x0
	.amdhsa_kernel _ZN7rocprim17ROCPRIM_400000_NS6detail17trampoline_kernelINS0_14default_configENS1_21merge_config_selectorIfNS0_10empty_typeEEEZNS1_10merge_implIS3_N6thrust23THRUST_200600_302600_NS6detail15normal_iteratorINS9_10device_ptrIKfEEEESF_NS9_16discard_iteratorINS9_11use_defaultEEEPS5_SJ_SJ_NS9_4lessIfEEEE10hipError_tPvRmT0_T1_T2_T3_T4_T5_mmT6_P12ihipStream_tbEUlT_E0_NS1_11comp_targetILNS1_3genE9ELNS1_11target_archE1100ELNS1_3gpuE3ELNS1_3repE0EEENS1_30default_config_static_selectorELNS0_4arch9wavefront6targetE1EEEvSQ_
		.amdhsa_group_segment_fixed_size 0
		.amdhsa_private_segment_fixed_size 0
		.amdhsa_kernarg_size 96
		.amdhsa_user_sgpr_count 6
		.amdhsa_user_sgpr_private_segment_buffer 1
		.amdhsa_user_sgpr_dispatch_ptr 0
		.amdhsa_user_sgpr_queue_ptr 0
		.amdhsa_user_sgpr_kernarg_segment_ptr 1
		.amdhsa_user_sgpr_dispatch_id 0
		.amdhsa_user_sgpr_flat_scratch_init 0
		.amdhsa_user_sgpr_kernarg_preload_length 0
		.amdhsa_user_sgpr_kernarg_preload_offset 0
		.amdhsa_user_sgpr_private_segment_size 0
		.amdhsa_uses_dynamic_stack 0
		.amdhsa_system_sgpr_private_segment_wavefront_offset 0
		.amdhsa_system_sgpr_workgroup_id_x 1
		.amdhsa_system_sgpr_workgroup_id_y 0
		.amdhsa_system_sgpr_workgroup_id_z 0
		.amdhsa_system_sgpr_workgroup_info 0
		.amdhsa_system_vgpr_workitem_id 0
		.amdhsa_next_free_vgpr 1
		.amdhsa_next_free_sgpr 0
		.amdhsa_accum_offset 4
		.amdhsa_reserve_vcc 0
		.amdhsa_reserve_flat_scratch 0
		.amdhsa_float_round_mode_32 0
		.amdhsa_float_round_mode_16_64 0
		.amdhsa_float_denorm_mode_32 3
		.amdhsa_float_denorm_mode_16_64 3
		.amdhsa_dx10_clamp 1
		.amdhsa_ieee_mode 1
		.amdhsa_fp16_overflow 0
		.amdhsa_tg_split 0
		.amdhsa_exception_fp_ieee_invalid_op 0
		.amdhsa_exception_fp_denorm_src 0
		.amdhsa_exception_fp_ieee_div_zero 0
		.amdhsa_exception_fp_ieee_overflow 0
		.amdhsa_exception_fp_ieee_underflow 0
		.amdhsa_exception_fp_ieee_inexact 0
		.amdhsa_exception_int_div_zero 0
	.end_amdhsa_kernel
	.section	.text._ZN7rocprim17ROCPRIM_400000_NS6detail17trampoline_kernelINS0_14default_configENS1_21merge_config_selectorIfNS0_10empty_typeEEEZNS1_10merge_implIS3_N6thrust23THRUST_200600_302600_NS6detail15normal_iteratorINS9_10device_ptrIKfEEEESF_NS9_16discard_iteratorINS9_11use_defaultEEEPS5_SJ_SJ_NS9_4lessIfEEEE10hipError_tPvRmT0_T1_T2_T3_T4_T5_mmT6_P12ihipStream_tbEUlT_E0_NS1_11comp_targetILNS1_3genE9ELNS1_11target_archE1100ELNS1_3gpuE3ELNS1_3repE0EEENS1_30default_config_static_selectorELNS0_4arch9wavefront6targetE1EEEvSQ_,"axG",@progbits,_ZN7rocprim17ROCPRIM_400000_NS6detail17trampoline_kernelINS0_14default_configENS1_21merge_config_selectorIfNS0_10empty_typeEEEZNS1_10merge_implIS3_N6thrust23THRUST_200600_302600_NS6detail15normal_iteratorINS9_10device_ptrIKfEEEESF_NS9_16discard_iteratorINS9_11use_defaultEEEPS5_SJ_SJ_NS9_4lessIfEEEE10hipError_tPvRmT0_T1_T2_T3_T4_T5_mmT6_P12ihipStream_tbEUlT_E0_NS1_11comp_targetILNS1_3genE9ELNS1_11target_archE1100ELNS1_3gpuE3ELNS1_3repE0EEENS1_30default_config_static_selectorELNS0_4arch9wavefront6targetE1EEEvSQ_,comdat
.Lfunc_end351:
	.size	_ZN7rocprim17ROCPRIM_400000_NS6detail17trampoline_kernelINS0_14default_configENS1_21merge_config_selectorIfNS0_10empty_typeEEEZNS1_10merge_implIS3_N6thrust23THRUST_200600_302600_NS6detail15normal_iteratorINS9_10device_ptrIKfEEEESF_NS9_16discard_iteratorINS9_11use_defaultEEEPS5_SJ_SJ_NS9_4lessIfEEEE10hipError_tPvRmT0_T1_T2_T3_T4_T5_mmT6_P12ihipStream_tbEUlT_E0_NS1_11comp_targetILNS1_3genE9ELNS1_11target_archE1100ELNS1_3gpuE3ELNS1_3repE0EEENS1_30default_config_static_selectorELNS0_4arch9wavefront6targetE1EEEvSQ_, .Lfunc_end351-_ZN7rocprim17ROCPRIM_400000_NS6detail17trampoline_kernelINS0_14default_configENS1_21merge_config_selectorIfNS0_10empty_typeEEEZNS1_10merge_implIS3_N6thrust23THRUST_200600_302600_NS6detail15normal_iteratorINS9_10device_ptrIKfEEEESF_NS9_16discard_iteratorINS9_11use_defaultEEEPS5_SJ_SJ_NS9_4lessIfEEEE10hipError_tPvRmT0_T1_T2_T3_T4_T5_mmT6_P12ihipStream_tbEUlT_E0_NS1_11comp_targetILNS1_3genE9ELNS1_11target_archE1100ELNS1_3gpuE3ELNS1_3repE0EEENS1_30default_config_static_selectorELNS0_4arch9wavefront6targetE1EEEvSQ_
                                        ; -- End function
	.section	.AMDGPU.csdata,"",@progbits
; Kernel info:
; codeLenInByte = 0
; NumSgprs: 4
; NumVgprs: 0
; NumAgprs: 0
; TotalNumVgprs: 0
; ScratchSize: 0
; MemoryBound: 0
; FloatMode: 240
; IeeeMode: 1
; LDSByteSize: 0 bytes/workgroup (compile time only)
; SGPRBlocks: 0
; VGPRBlocks: 0
; NumSGPRsForWavesPerEU: 4
; NumVGPRsForWavesPerEU: 1
; AccumOffset: 4
; Occupancy: 8
; WaveLimiterHint : 0
; COMPUTE_PGM_RSRC2:SCRATCH_EN: 0
; COMPUTE_PGM_RSRC2:USER_SGPR: 6
; COMPUTE_PGM_RSRC2:TRAP_HANDLER: 0
; COMPUTE_PGM_RSRC2:TGID_X_EN: 1
; COMPUTE_PGM_RSRC2:TGID_Y_EN: 0
; COMPUTE_PGM_RSRC2:TGID_Z_EN: 0
; COMPUTE_PGM_RSRC2:TIDIG_COMP_CNT: 0
; COMPUTE_PGM_RSRC3_GFX90A:ACCUM_OFFSET: 0
; COMPUTE_PGM_RSRC3_GFX90A:TG_SPLIT: 0
	.section	.text._ZN7rocprim17ROCPRIM_400000_NS6detail17trampoline_kernelINS0_14default_configENS1_21merge_config_selectorIfNS0_10empty_typeEEEZNS1_10merge_implIS3_N6thrust23THRUST_200600_302600_NS6detail15normal_iteratorINS9_10device_ptrIKfEEEESF_NS9_16discard_iteratorINS9_11use_defaultEEEPS5_SJ_SJ_NS9_4lessIfEEEE10hipError_tPvRmT0_T1_T2_T3_T4_T5_mmT6_P12ihipStream_tbEUlT_E0_NS1_11comp_targetILNS1_3genE8ELNS1_11target_archE1030ELNS1_3gpuE2ELNS1_3repE0EEENS1_30default_config_static_selectorELNS0_4arch9wavefront6targetE1EEEvSQ_,"axG",@progbits,_ZN7rocprim17ROCPRIM_400000_NS6detail17trampoline_kernelINS0_14default_configENS1_21merge_config_selectorIfNS0_10empty_typeEEEZNS1_10merge_implIS3_N6thrust23THRUST_200600_302600_NS6detail15normal_iteratorINS9_10device_ptrIKfEEEESF_NS9_16discard_iteratorINS9_11use_defaultEEEPS5_SJ_SJ_NS9_4lessIfEEEE10hipError_tPvRmT0_T1_T2_T3_T4_T5_mmT6_P12ihipStream_tbEUlT_E0_NS1_11comp_targetILNS1_3genE8ELNS1_11target_archE1030ELNS1_3gpuE2ELNS1_3repE0EEENS1_30default_config_static_selectorELNS0_4arch9wavefront6targetE1EEEvSQ_,comdat
	.protected	_ZN7rocprim17ROCPRIM_400000_NS6detail17trampoline_kernelINS0_14default_configENS1_21merge_config_selectorIfNS0_10empty_typeEEEZNS1_10merge_implIS3_N6thrust23THRUST_200600_302600_NS6detail15normal_iteratorINS9_10device_ptrIKfEEEESF_NS9_16discard_iteratorINS9_11use_defaultEEEPS5_SJ_SJ_NS9_4lessIfEEEE10hipError_tPvRmT0_T1_T2_T3_T4_T5_mmT6_P12ihipStream_tbEUlT_E0_NS1_11comp_targetILNS1_3genE8ELNS1_11target_archE1030ELNS1_3gpuE2ELNS1_3repE0EEENS1_30default_config_static_selectorELNS0_4arch9wavefront6targetE1EEEvSQ_ ; -- Begin function _ZN7rocprim17ROCPRIM_400000_NS6detail17trampoline_kernelINS0_14default_configENS1_21merge_config_selectorIfNS0_10empty_typeEEEZNS1_10merge_implIS3_N6thrust23THRUST_200600_302600_NS6detail15normal_iteratorINS9_10device_ptrIKfEEEESF_NS9_16discard_iteratorINS9_11use_defaultEEEPS5_SJ_SJ_NS9_4lessIfEEEE10hipError_tPvRmT0_T1_T2_T3_T4_T5_mmT6_P12ihipStream_tbEUlT_E0_NS1_11comp_targetILNS1_3genE8ELNS1_11target_archE1030ELNS1_3gpuE2ELNS1_3repE0EEENS1_30default_config_static_selectorELNS0_4arch9wavefront6targetE1EEEvSQ_
	.globl	_ZN7rocprim17ROCPRIM_400000_NS6detail17trampoline_kernelINS0_14default_configENS1_21merge_config_selectorIfNS0_10empty_typeEEEZNS1_10merge_implIS3_N6thrust23THRUST_200600_302600_NS6detail15normal_iteratorINS9_10device_ptrIKfEEEESF_NS9_16discard_iteratorINS9_11use_defaultEEEPS5_SJ_SJ_NS9_4lessIfEEEE10hipError_tPvRmT0_T1_T2_T3_T4_T5_mmT6_P12ihipStream_tbEUlT_E0_NS1_11comp_targetILNS1_3genE8ELNS1_11target_archE1030ELNS1_3gpuE2ELNS1_3repE0EEENS1_30default_config_static_selectorELNS0_4arch9wavefront6targetE1EEEvSQ_
	.p2align	8
	.type	_ZN7rocprim17ROCPRIM_400000_NS6detail17trampoline_kernelINS0_14default_configENS1_21merge_config_selectorIfNS0_10empty_typeEEEZNS1_10merge_implIS3_N6thrust23THRUST_200600_302600_NS6detail15normal_iteratorINS9_10device_ptrIKfEEEESF_NS9_16discard_iteratorINS9_11use_defaultEEEPS5_SJ_SJ_NS9_4lessIfEEEE10hipError_tPvRmT0_T1_T2_T3_T4_T5_mmT6_P12ihipStream_tbEUlT_E0_NS1_11comp_targetILNS1_3genE8ELNS1_11target_archE1030ELNS1_3gpuE2ELNS1_3repE0EEENS1_30default_config_static_selectorELNS0_4arch9wavefront6targetE1EEEvSQ_,@function
_ZN7rocprim17ROCPRIM_400000_NS6detail17trampoline_kernelINS0_14default_configENS1_21merge_config_selectorIfNS0_10empty_typeEEEZNS1_10merge_implIS3_N6thrust23THRUST_200600_302600_NS6detail15normal_iteratorINS9_10device_ptrIKfEEEESF_NS9_16discard_iteratorINS9_11use_defaultEEEPS5_SJ_SJ_NS9_4lessIfEEEE10hipError_tPvRmT0_T1_T2_T3_T4_T5_mmT6_P12ihipStream_tbEUlT_E0_NS1_11comp_targetILNS1_3genE8ELNS1_11target_archE1030ELNS1_3gpuE2ELNS1_3repE0EEENS1_30default_config_static_selectorELNS0_4arch9wavefront6targetE1EEEvSQ_: ; @_ZN7rocprim17ROCPRIM_400000_NS6detail17trampoline_kernelINS0_14default_configENS1_21merge_config_selectorIfNS0_10empty_typeEEEZNS1_10merge_implIS3_N6thrust23THRUST_200600_302600_NS6detail15normal_iteratorINS9_10device_ptrIKfEEEESF_NS9_16discard_iteratorINS9_11use_defaultEEEPS5_SJ_SJ_NS9_4lessIfEEEE10hipError_tPvRmT0_T1_T2_T3_T4_T5_mmT6_P12ihipStream_tbEUlT_E0_NS1_11comp_targetILNS1_3genE8ELNS1_11target_archE1030ELNS1_3gpuE2ELNS1_3repE0EEENS1_30default_config_static_selectorELNS0_4arch9wavefront6targetE1EEEvSQ_
; %bb.0:
	.section	.rodata,"a",@progbits
	.p2align	6, 0x0
	.amdhsa_kernel _ZN7rocprim17ROCPRIM_400000_NS6detail17trampoline_kernelINS0_14default_configENS1_21merge_config_selectorIfNS0_10empty_typeEEEZNS1_10merge_implIS3_N6thrust23THRUST_200600_302600_NS6detail15normal_iteratorINS9_10device_ptrIKfEEEESF_NS9_16discard_iteratorINS9_11use_defaultEEEPS5_SJ_SJ_NS9_4lessIfEEEE10hipError_tPvRmT0_T1_T2_T3_T4_T5_mmT6_P12ihipStream_tbEUlT_E0_NS1_11comp_targetILNS1_3genE8ELNS1_11target_archE1030ELNS1_3gpuE2ELNS1_3repE0EEENS1_30default_config_static_selectorELNS0_4arch9wavefront6targetE1EEEvSQ_
		.amdhsa_group_segment_fixed_size 0
		.amdhsa_private_segment_fixed_size 0
		.amdhsa_kernarg_size 96
		.amdhsa_user_sgpr_count 6
		.amdhsa_user_sgpr_private_segment_buffer 1
		.amdhsa_user_sgpr_dispatch_ptr 0
		.amdhsa_user_sgpr_queue_ptr 0
		.amdhsa_user_sgpr_kernarg_segment_ptr 1
		.amdhsa_user_sgpr_dispatch_id 0
		.amdhsa_user_sgpr_flat_scratch_init 0
		.amdhsa_user_sgpr_kernarg_preload_length 0
		.amdhsa_user_sgpr_kernarg_preload_offset 0
		.amdhsa_user_sgpr_private_segment_size 0
		.amdhsa_uses_dynamic_stack 0
		.amdhsa_system_sgpr_private_segment_wavefront_offset 0
		.amdhsa_system_sgpr_workgroup_id_x 1
		.amdhsa_system_sgpr_workgroup_id_y 0
		.amdhsa_system_sgpr_workgroup_id_z 0
		.amdhsa_system_sgpr_workgroup_info 0
		.amdhsa_system_vgpr_workitem_id 0
		.amdhsa_next_free_vgpr 1
		.amdhsa_next_free_sgpr 0
		.amdhsa_accum_offset 4
		.amdhsa_reserve_vcc 0
		.amdhsa_reserve_flat_scratch 0
		.amdhsa_float_round_mode_32 0
		.amdhsa_float_round_mode_16_64 0
		.amdhsa_float_denorm_mode_32 3
		.amdhsa_float_denorm_mode_16_64 3
		.amdhsa_dx10_clamp 1
		.amdhsa_ieee_mode 1
		.amdhsa_fp16_overflow 0
		.amdhsa_tg_split 0
		.amdhsa_exception_fp_ieee_invalid_op 0
		.amdhsa_exception_fp_denorm_src 0
		.amdhsa_exception_fp_ieee_div_zero 0
		.amdhsa_exception_fp_ieee_overflow 0
		.amdhsa_exception_fp_ieee_underflow 0
		.amdhsa_exception_fp_ieee_inexact 0
		.amdhsa_exception_int_div_zero 0
	.end_amdhsa_kernel
	.section	.text._ZN7rocprim17ROCPRIM_400000_NS6detail17trampoline_kernelINS0_14default_configENS1_21merge_config_selectorIfNS0_10empty_typeEEEZNS1_10merge_implIS3_N6thrust23THRUST_200600_302600_NS6detail15normal_iteratorINS9_10device_ptrIKfEEEESF_NS9_16discard_iteratorINS9_11use_defaultEEEPS5_SJ_SJ_NS9_4lessIfEEEE10hipError_tPvRmT0_T1_T2_T3_T4_T5_mmT6_P12ihipStream_tbEUlT_E0_NS1_11comp_targetILNS1_3genE8ELNS1_11target_archE1030ELNS1_3gpuE2ELNS1_3repE0EEENS1_30default_config_static_selectorELNS0_4arch9wavefront6targetE1EEEvSQ_,"axG",@progbits,_ZN7rocprim17ROCPRIM_400000_NS6detail17trampoline_kernelINS0_14default_configENS1_21merge_config_selectorIfNS0_10empty_typeEEEZNS1_10merge_implIS3_N6thrust23THRUST_200600_302600_NS6detail15normal_iteratorINS9_10device_ptrIKfEEEESF_NS9_16discard_iteratorINS9_11use_defaultEEEPS5_SJ_SJ_NS9_4lessIfEEEE10hipError_tPvRmT0_T1_T2_T3_T4_T5_mmT6_P12ihipStream_tbEUlT_E0_NS1_11comp_targetILNS1_3genE8ELNS1_11target_archE1030ELNS1_3gpuE2ELNS1_3repE0EEENS1_30default_config_static_selectorELNS0_4arch9wavefront6targetE1EEEvSQ_,comdat
.Lfunc_end352:
	.size	_ZN7rocprim17ROCPRIM_400000_NS6detail17trampoline_kernelINS0_14default_configENS1_21merge_config_selectorIfNS0_10empty_typeEEEZNS1_10merge_implIS3_N6thrust23THRUST_200600_302600_NS6detail15normal_iteratorINS9_10device_ptrIKfEEEESF_NS9_16discard_iteratorINS9_11use_defaultEEEPS5_SJ_SJ_NS9_4lessIfEEEE10hipError_tPvRmT0_T1_T2_T3_T4_T5_mmT6_P12ihipStream_tbEUlT_E0_NS1_11comp_targetILNS1_3genE8ELNS1_11target_archE1030ELNS1_3gpuE2ELNS1_3repE0EEENS1_30default_config_static_selectorELNS0_4arch9wavefront6targetE1EEEvSQ_, .Lfunc_end352-_ZN7rocprim17ROCPRIM_400000_NS6detail17trampoline_kernelINS0_14default_configENS1_21merge_config_selectorIfNS0_10empty_typeEEEZNS1_10merge_implIS3_N6thrust23THRUST_200600_302600_NS6detail15normal_iteratorINS9_10device_ptrIKfEEEESF_NS9_16discard_iteratorINS9_11use_defaultEEEPS5_SJ_SJ_NS9_4lessIfEEEE10hipError_tPvRmT0_T1_T2_T3_T4_T5_mmT6_P12ihipStream_tbEUlT_E0_NS1_11comp_targetILNS1_3genE8ELNS1_11target_archE1030ELNS1_3gpuE2ELNS1_3repE0EEENS1_30default_config_static_selectorELNS0_4arch9wavefront6targetE1EEEvSQ_
                                        ; -- End function
	.section	.AMDGPU.csdata,"",@progbits
; Kernel info:
; codeLenInByte = 0
; NumSgprs: 4
; NumVgprs: 0
; NumAgprs: 0
; TotalNumVgprs: 0
; ScratchSize: 0
; MemoryBound: 0
; FloatMode: 240
; IeeeMode: 1
; LDSByteSize: 0 bytes/workgroup (compile time only)
; SGPRBlocks: 0
; VGPRBlocks: 0
; NumSGPRsForWavesPerEU: 4
; NumVGPRsForWavesPerEU: 1
; AccumOffset: 4
; Occupancy: 8
; WaveLimiterHint : 0
; COMPUTE_PGM_RSRC2:SCRATCH_EN: 0
; COMPUTE_PGM_RSRC2:USER_SGPR: 6
; COMPUTE_PGM_RSRC2:TRAP_HANDLER: 0
; COMPUTE_PGM_RSRC2:TGID_X_EN: 1
; COMPUTE_PGM_RSRC2:TGID_Y_EN: 0
; COMPUTE_PGM_RSRC2:TGID_Z_EN: 0
; COMPUTE_PGM_RSRC2:TIDIG_COMP_CNT: 0
; COMPUTE_PGM_RSRC3_GFX90A:ACCUM_OFFSET: 0
; COMPUTE_PGM_RSRC3_GFX90A:TG_SPLIT: 0
	.section	.text._ZN7rocprim17ROCPRIM_400000_NS6detail17trampoline_kernelINS0_14default_configENS1_21merge_config_selectorIyNS0_10empty_typeEEEZNS1_10merge_implIS3_N6thrust23THRUST_200600_302600_NS6detail15normal_iteratorINS9_10device_ptrIKyEEEESF_NS9_16discard_iteratorINS9_11use_defaultEEEPS5_SJ_SJ_NS9_4lessIyEEEE10hipError_tPvRmT0_T1_T2_T3_T4_T5_mmT6_P12ihipStream_tbEUlT_E_NS1_11comp_targetILNS1_3genE0ELNS1_11target_archE4294967295ELNS1_3gpuE0ELNS1_3repE0EEENS1_30default_config_static_selectorELNS0_4arch9wavefront6targetE1EEEvSQ_,"axG",@progbits,_ZN7rocprim17ROCPRIM_400000_NS6detail17trampoline_kernelINS0_14default_configENS1_21merge_config_selectorIyNS0_10empty_typeEEEZNS1_10merge_implIS3_N6thrust23THRUST_200600_302600_NS6detail15normal_iteratorINS9_10device_ptrIKyEEEESF_NS9_16discard_iteratorINS9_11use_defaultEEEPS5_SJ_SJ_NS9_4lessIyEEEE10hipError_tPvRmT0_T1_T2_T3_T4_T5_mmT6_P12ihipStream_tbEUlT_E_NS1_11comp_targetILNS1_3genE0ELNS1_11target_archE4294967295ELNS1_3gpuE0ELNS1_3repE0EEENS1_30default_config_static_selectorELNS0_4arch9wavefront6targetE1EEEvSQ_,comdat
	.protected	_ZN7rocprim17ROCPRIM_400000_NS6detail17trampoline_kernelINS0_14default_configENS1_21merge_config_selectorIyNS0_10empty_typeEEEZNS1_10merge_implIS3_N6thrust23THRUST_200600_302600_NS6detail15normal_iteratorINS9_10device_ptrIKyEEEESF_NS9_16discard_iteratorINS9_11use_defaultEEEPS5_SJ_SJ_NS9_4lessIyEEEE10hipError_tPvRmT0_T1_T2_T3_T4_T5_mmT6_P12ihipStream_tbEUlT_E_NS1_11comp_targetILNS1_3genE0ELNS1_11target_archE4294967295ELNS1_3gpuE0ELNS1_3repE0EEENS1_30default_config_static_selectorELNS0_4arch9wavefront6targetE1EEEvSQ_ ; -- Begin function _ZN7rocprim17ROCPRIM_400000_NS6detail17trampoline_kernelINS0_14default_configENS1_21merge_config_selectorIyNS0_10empty_typeEEEZNS1_10merge_implIS3_N6thrust23THRUST_200600_302600_NS6detail15normal_iteratorINS9_10device_ptrIKyEEEESF_NS9_16discard_iteratorINS9_11use_defaultEEEPS5_SJ_SJ_NS9_4lessIyEEEE10hipError_tPvRmT0_T1_T2_T3_T4_T5_mmT6_P12ihipStream_tbEUlT_E_NS1_11comp_targetILNS1_3genE0ELNS1_11target_archE4294967295ELNS1_3gpuE0ELNS1_3repE0EEENS1_30default_config_static_selectorELNS0_4arch9wavefront6targetE1EEEvSQ_
	.globl	_ZN7rocprim17ROCPRIM_400000_NS6detail17trampoline_kernelINS0_14default_configENS1_21merge_config_selectorIyNS0_10empty_typeEEEZNS1_10merge_implIS3_N6thrust23THRUST_200600_302600_NS6detail15normal_iteratorINS9_10device_ptrIKyEEEESF_NS9_16discard_iteratorINS9_11use_defaultEEEPS5_SJ_SJ_NS9_4lessIyEEEE10hipError_tPvRmT0_T1_T2_T3_T4_T5_mmT6_P12ihipStream_tbEUlT_E_NS1_11comp_targetILNS1_3genE0ELNS1_11target_archE4294967295ELNS1_3gpuE0ELNS1_3repE0EEENS1_30default_config_static_selectorELNS0_4arch9wavefront6targetE1EEEvSQ_
	.p2align	8
	.type	_ZN7rocprim17ROCPRIM_400000_NS6detail17trampoline_kernelINS0_14default_configENS1_21merge_config_selectorIyNS0_10empty_typeEEEZNS1_10merge_implIS3_N6thrust23THRUST_200600_302600_NS6detail15normal_iteratorINS9_10device_ptrIKyEEEESF_NS9_16discard_iteratorINS9_11use_defaultEEEPS5_SJ_SJ_NS9_4lessIyEEEE10hipError_tPvRmT0_T1_T2_T3_T4_T5_mmT6_P12ihipStream_tbEUlT_E_NS1_11comp_targetILNS1_3genE0ELNS1_11target_archE4294967295ELNS1_3gpuE0ELNS1_3repE0EEENS1_30default_config_static_selectorELNS0_4arch9wavefront6targetE1EEEvSQ_,@function
_ZN7rocprim17ROCPRIM_400000_NS6detail17trampoline_kernelINS0_14default_configENS1_21merge_config_selectorIyNS0_10empty_typeEEEZNS1_10merge_implIS3_N6thrust23THRUST_200600_302600_NS6detail15normal_iteratorINS9_10device_ptrIKyEEEESF_NS9_16discard_iteratorINS9_11use_defaultEEEPS5_SJ_SJ_NS9_4lessIyEEEE10hipError_tPvRmT0_T1_T2_T3_T4_T5_mmT6_P12ihipStream_tbEUlT_E_NS1_11comp_targetILNS1_3genE0ELNS1_11target_archE4294967295ELNS1_3gpuE0ELNS1_3repE0EEENS1_30default_config_static_selectorELNS0_4arch9wavefront6targetE1EEEvSQ_: ; @_ZN7rocprim17ROCPRIM_400000_NS6detail17trampoline_kernelINS0_14default_configENS1_21merge_config_selectorIyNS0_10empty_typeEEEZNS1_10merge_implIS3_N6thrust23THRUST_200600_302600_NS6detail15normal_iteratorINS9_10device_ptrIKyEEEESF_NS9_16discard_iteratorINS9_11use_defaultEEEPS5_SJ_SJ_NS9_4lessIyEEEE10hipError_tPvRmT0_T1_T2_T3_T4_T5_mmT6_P12ihipStream_tbEUlT_E_NS1_11comp_targetILNS1_3genE0ELNS1_11target_archE4294967295ELNS1_3gpuE0ELNS1_3repE0EEENS1_30default_config_static_selectorELNS0_4arch9wavefront6targetE1EEEvSQ_
; %bb.0:
	.section	.rodata,"a",@progbits
	.p2align	6, 0x0
	.amdhsa_kernel _ZN7rocprim17ROCPRIM_400000_NS6detail17trampoline_kernelINS0_14default_configENS1_21merge_config_selectorIyNS0_10empty_typeEEEZNS1_10merge_implIS3_N6thrust23THRUST_200600_302600_NS6detail15normal_iteratorINS9_10device_ptrIKyEEEESF_NS9_16discard_iteratorINS9_11use_defaultEEEPS5_SJ_SJ_NS9_4lessIyEEEE10hipError_tPvRmT0_T1_T2_T3_T4_T5_mmT6_P12ihipStream_tbEUlT_E_NS1_11comp_targetILNS1_3genE0ELNS1_11target_archE4294967295ELNS1_3gpuE0ELNS1_3repE0EEENS1_30default_config_static_selectorELNS0_4arch9wavefront6targetE1EEEvSQ_
		.amdhsa_group_segment_fixed_size 0
		.amdhsa_private_segment_fixed_size 0
		.amdhsa_kernarg_size 48
		.amdhsa_user_sgpr_count 6
		.amdhsa_user_sgpr_private_segment_buffer 1
		.amdhsa_user_sgpr_dispatch_ptr 0
		.amdhsa_user_sgpr_queue_ptr 0
		.amdhsa_user_sgpr_kernarg_segment_ptr 1
		.amdhsa_user_sgpr_dispatch_id 0
		.amdhsa_user_sgpr_flat_scratch_init 0
		.amdhsa_user_sgpr_kernarg_preload_length 0
		.amdhsa_user_sgpr_kernarg_preload_offset 0
		.amdhsa_user_sgpr_private_segment_size 0
		.amdhsa_uses_dynamic_stack 0
		.amdhsa_system_sgpr_private_segment_wavefront_offset 0
		.amdhsa_system_sgpr_workgroup_id_x 1
		.amdhsa_system_sgpr_workgroup_id_y 0
		.amdhsa_system_sgpr_workgroup_id_z 0
		.amdhsa_system_sgpr_workgroup_info 0
		.amdhsa_system_vgpr_workitem_id 0
		.amdhsa_next_free_vgpr 1
		.amdhsa_next_free_sgpr 0
		.amdhsa_accum_offset 4
		.amdhsa_reserve_vcc 0
		.amdhsa_reserve_flat_scratch 0
		.amdhsa_float_round_mode_32 0
		.amdhsa_float_round_mode_16_64 0
		.amdhsa_float_denorm_mode_32 3
		.amdhsa_float_denorm_mode_16_64 3
		.amdhsa_dx10_clamp 1
		.amdhsa_ieee_mode 1
		.amdhsa_fp16_overflow 0
		.amdhsa_tg_split 0
		.amdhsa_exception_fp_ieee_invalid_op 0
		.amdhsa_exception_fp_denorm_src 0
		.amdhsa_exception_fp_ieee_div_zero 0
		.amdhsa_exception_fp_ieee_overflow 0
		.amdhsa_exception_fp_ieee_underflow 0
		.amdhsa_exception_fp_ieee_inexact 0
		.amdhsa_exception_int_div_zero 0
	.end_amdhsa_kernel
	.section	.text._ZN7rocprim17ROCPRIM_400000_NS6detail17trampoline_kernelINS0_14default_configENS1_21merge_config_selectorIyNS0_10empty_typeEEEZNS1_10merge_implIS3_N6thrust23THRUST_200600_302600_NS6detail15normal_iteratorINS9_10device_ptrIKyEEEESF_NS9_16discard_iteratorINS9_11use_defaultEEEPS5_SJ_SJ_NS9_4lessIyEEEE10hipError_tPvRmT0_T1_T2_T3_T4_T5_mmT6_P12ihipStream_tbEUlT_E_NS1_11comp_targetILNS1_3genE0ELNS1_11target_archE4294967295ELNS1_3gpuE0ELNS1_3repE0EEENS1_30default_config_static_selectorELNS0_4arch9wavefront6targetE1EEEvSQ_,"axG",@progbits,_ZN7rocprim17ROCPRIM_400000_NS6detail17trampoline_kernelINS0_14default_configENS1_21merge_config_selectorIyNS0_10empty_typeEEEZNS1_10merge_implIS3_N6thrust23THRUST_200600_302600_NS6detail15normal_iteratorINS9_10device_ptrIKyEEEESF_NS9_16discard_iteratorINS9_11use_defaultEEEPS5_SJ_SJ_NS9_4lessIyEEEE10hipError_tPvRmT0_T1_T2_T3_T4_T5_mmT6_P12ihipStream_tbEUlT_E_NS1_11comp_targetILNS1_3genE0ELNS1_11target_archE4294967295ELNS1_3gpuE0ELNS1_3repE0EEENS1_30default_config_static_selectorELNS0_4arch9wavefront6targetE1EEEvSQ_,comdat
.Lfunc_end353:
	.size	_ZN7rocprim17ROCPRIM_400000_NS6detail17trampoline_kernelINS0_14default_configENS1_21merge_config_selectorIyNS0_10empty_typeEEEZNS1_10merge_implIS3_N6thrust23THRUST_200600_302600_NS6detail15normal_iteratorINS9_10device_ptrIKyEEEESF_NS9_16discard_iteratorINS9_11use_defaultEEEPS5_SJ_SJ_NS9_4lessIyEEEE10hipError_tPvRmT0_T1_T2_T3_T4_T5_mmT6_P12ihipStream_tbEUlT_E_NS1_11comp_targetILNS1_3genE0ELNS1_11target_archE4294967295ELNS1_3gpuE0ELNS1_3repE0EEENS1_30default_config_static_selectorELNS0_4arch9wavefront6targetE1EEEvSQ_, .Lfunc_end353-_ZN7rocprim17ROCPRIM_400000_NS6detail17trampoline_kernelINS0_14default_configENS1_21merge_config_selectorIyNS0_10empty_typeEEEZNS1_10merge_implIS3_N6thrust23THRUST_200600_302600_NS6detail15normal_iteratorINS9_10device_ptrIKyEEEESF_NS9_16discard_iteratorINS9_11use_defaultEEEPS5_SJ_SJ_NS9_4lessIyEEEE10hipError_tPvRmT0_T1_T2_T3_T4_T5_mmT6_P12ihipStream_tbEUlT_E_NS1_11comp_targetILNS1_3genE0ELNS1_11target_archE4294967295ELNS1_3gpuE0ELNS1_3repE0EEENS1_30default_config_static_selectorELNS0_4arch9wavefront6targetE1EEEvSQ_
                                        ; -- End function
	.section	.AMDGPU.csdata,"",@progbits
; Kernel info:
; codeLenInByte = 0
; NumSgprs: 4
; NumVgprs: 0
; NumAgprs: 0
; TotalNumVgprs: 0
; ScratchSize: 0
; MemoryBound: 0
; FloatMode: 240
; IeeeMode: 1
; LDSByteSize: 0 bytes/workgroup (compile time only)
; SGPRBlocks: 0
; VGPRBlocks: 0
; NumSGPRsForWavesPerEU: 4
; NumVGPRsForWavesPerEU: 1
; AccumOffset: 4
; Occupancy: 8
; WaveLimiterHint : 0
; COMPUTE_PGM_RSRC2:SCRATCH_EN: 0
; COMPUTE_PGM_RSRC2:USER_SGPR: 6
; COMPUTE_PGM_RSRC2:TRAP_HANDLER: 0
; COMPUTE_PGM_RSRC2:TGID_X_EN: 1
; COMPUTE_PGM_RSRC2:TGID_Y_EN: 0
; COMPUTE_PGM_RSRC2:TGID_Z_EN: 0
; COMPUTE_PGM_RSRC2:TIDIG_COMP_CNT: 0
; COMPUTE_PGM_RSRC3_GFX90A:ACCUM_OFFSET: 0
; COMPUTE_PGM_RSRC3_GFX90A:TG_SPLIT: 0
	.section	.text._ZN7rocprim17ROCPRIM_400000_NS6detail17trampoline_kernelINS0_14default_configENS1_21merge_config_selectorIyNS0_10empty_typeEEEZNS1_10merge_implIS3_N6thrust23THRUST_200600_302600_NS6detail15normal_iteratorINS9_10device_ptrIKyEEEESF_NS9_16discard_iteratorINS9_11use_defaultEEEPS5_SJ_SJ_NS9_4lessIyEEEE10hipError_tPvRmT0_T1_T2_T3_T4_T5_mmT6_P12ihipStream_tbEUlT_E_NS1_11comp_targetILNS1_3genE5ELNS1_11target_archE942ELNS1_3gpuE9ELNS1_3repE0EEENS1_30default_config_static_selectorELNS0_4arch9wavefront6targetE1EEEvSQ_,"axG",@progbits,_ZN7rocprim17ROCPRIM_400000_NS6detail17trampoline_kernelINS0_14default_configENS1_21merge_config_selectorIyNS0_10empty_typeEEEZNS1_10merge_implIS3_N6thrust23THRUST_200600_302600_NS6detail15normal_iteratorINS9_10device_ptrIKyEEEESF_NS9_16discard_iteratorINS9_11use_defaultEEEPS5_SJ_SJ_NS9_4lessIyEEEE10hipError_tPvRmT0_T1_T2_T3_T4_T5_mmT6_P12ihipStream_tbEUlT_E_NS1_11comp_targetILNS1_3genE5ELNS1_11target_archE942ELNS1_3gpuE9ELNS1_3repE0EEENS1_30default_config_static_selectorELNS0_4arch9wavefront6targetE1EEEvSQ_,comdat
	.protected	_ZN7rocprim17ROCPRIM_400000_NS6detail17trampoline_kernelINS0_14default_configENS1_21merge_config_selectorIyNS0_10empty_typeEEEZNS1_10merge_implIS3_N6thrust23THRUST_200600_302600_NS6detail15normal_iteratorINS9_10device_ptrIKyEEEESF_NS9_16discard_iteratorINS9_11use_defaultEEEPS5_SJ_SJ_NS9_4lessIyEEEE10hipError_tPvRmT0_T1_T2_T3_T4_T5_mmT6_P12ihipStream_tbEUlT_E_NS1_11comp_targetILNS1_3genE5ELNS1_11target_archE942ELNS1_3gpuE9ELNS1_3repE0EEENS1_30default_config_static_selectorELNS0_4arch9wavefront6targetE1EEEvSQ_ ; -- Begin function _ZN7rocprim17ROCPRIM_400000_NS6detail17trampoline_kernelINS0_14default_configENS1_21merge_config_selectorIyNS0_10empty_typeEEEZNS1_10merge_implIS3_N6thrust23THRUST_200600_302600_NS6detail15normal_iteratorINS9_10device_ptrIKyEEEESF_NS9_16discard_iteratorINS9_11use_defaultEEEPS5_SJ_SJ_NS9_4lessIyEEEE10hipError_tPvRmT0_T1_T2_T3_T4_T5_mmT6_P12ihipStream_tbEUlT_E_NS1_11comp_targetILNS1_3genE5ELNS1_11target_archE942ELNS1_3gpuE9ELNS1_3repE0EEENS1_30default_config_static_selectorELNS0_4arch9wavefront6targetE1EEEvSQ_
	.globl	_ZN7rocprim17ROCPRIM_400000_NS6detail17trampoline_kernelINS0_14default_configENS1_21merge_config_selectorIyNS0_10empty_typeEEEZNS1_10merge_implIS3_N6thrust23THRUST_200600_302600_NS6detail15normal_iteratorINS9_10device_ptrIKyEEEESF_NS9_16discard_iteratorINS9_11use_defaultEEEPS5_SJ_SJ_NS9_4lessIyEEEE10hipError_tPvRmT0_T1_T2_T3_T4_T5_mmT6_P12ihipStream_tbEUlT_E_NS1_11comp_targetILNS1_3genE5ELNS1_11target_archE942ELNS1_3gpuE9ELNS1_3repE0EEENS1_30default_config_static_selectorELNS0_4arch9wavefront6targetE1EEEvSQ_
	.p2align	8
	.type	_ZN7rocprim17ROCPRIM_400000_NS6detail17trampoline_kernelINS0_14default_configENS1_21merge_config_selectorIyNS0_10empty_typeEEEZNS1_10merge_implIS3_N6thrust23THRUST_200600_302600_NS6detail15normal_iteratorINS9_10device_ptrIKyEEEESF_NS9_16discard_iteratorINS9_11use_defaultEEEPS5_SJ_SJ_NS9_4lessIyEEEE10hipError_tPvRmT0_T1_T2_T3_T4_T5_mmT6_P12ihipStream_tbEUlT_E_NS1_11comp_targetILNS1_3genE5ELNS1_11target_archE942ELNS1_3gpuE9ELNS1_3repE0EEENS1_30default_config_static_selectorELNS0_4arch9wavefront6targetE1EEEvSQ_,@function
_ZN7rocprim17ROCPRIM_400000_NS6detail17trampoline_kernelINS0_14default_configENS1_21merge_config_selectorIyNS0_10empty_typeEEEZNS1_10merge_implIS3_N6thrust23THRUST_200600_302600_NS6detail15normal_iteratorINS9_10device_ptrIKyEEEESF_NS9_16discard_iteratorINS9_11use_defaultEEEPS5_SJ_SJ_NS9_4lessIyEEEE10hipError_tPvRmT0_T1_T2_T3_T4_T5_mmT6_P12ihipStream_tbEUlT_E_NS1_11comp_targetILNS1_3genE5ELNS1_11target_archE942ELNS1_3gpuE9ELNS1_3repE0EEENS1_30default_config_static_selectorELNS0_4arch9wavefront6targetE1EEEvSQ_: ; @_ZN7rocprim17ROCPRIM_400000_NS6detail17trampoline_kernelINS0_14default_configENS1_21merge_config_selectorIyNS0_10empty_typeEEEZNS1_10merge_implIS3_N6thrust23THRUST_200600_302600_NS6detail15normal_iteratorINS9_10device_ptrIKyEEEESF_NS9_16discard_iteratorINS9_11use_defaultEEEPS5_SJ_SJ_NS9_4lessIyEEEE10hipError_tPvRmT0_T1_T2_T3_T4_T5_mmT6_P12ihipStream_tbEUlT_E_NS1_11comp_targetILNS1_3genE5ELNS1_11target_archE942ELNS1_3gpuE9ELNS1_3repE0EEENS1_30default_config_static_selectorELNS0_4arch9wavefront6targetE1EEEvSQ_
; %bb.0:
	.section	.rodata,"a",@progbits
	.p2align	6, 0x0
	.amdhsa_kernel _ZN7rocprim17ROCPRIM_400000_NS6detail17trampoline_kernelINS0_14default_configENS1_21merge_config_selectorIyNS0_10empty_typeEEEZNS1_10merge_implIS3_N6thrust23THRUST_200600_302600_NS6detail15normal_iteratorINS9_10device_ptrIKyEEEESF_NS9_16discard_iteratorINS9_11use_defaultEEEPS5_SJ_SJ_NS9_4lessIyEEEE10hipError_tPvRmT0_T1_T2_T3_T4_T5_mmT6_P12ihipStream_tbEUlT_E_NS1_11comp_targetILNS1_3genE5ELNS1_11target_archE942ELNS1_3gpuE9ELNS1_3repE0EEENS1_30default_config_static_selectorELNS0_4arch9wavefront6targetE1EEEvSQ_
		.amdhsa_group_segment_fixed_size 0
		.amdhsa_private_segment_fixed_size 0
		.amdhsa_kernarg_size 48
		.amdhsa_user_sgpr_count 6
		.amdhsa_user_sgpr_private_segment_buffer 1
		.amdhsa_user_sgpr_dispatch_ptr 0
		.amdhsa_user_sgpr_queue_ptr 0
		.amdhsa_user_sgpr_kernarg_segment_ptr 1
		.amdhsa_user_sgpr_dispatch_id 0
		.amdhsa_user_sgpr_flat_scratch_init 0
		.amdhsa_user_sgpr_kernarg_preload_length 0
		.amdhsa_user_sgpr_kernarg_preload_offset 0
		.amdhsa_user_sgpr_private_segment_size 0
		.amdhsa_uses_dynamic_stack 0
		.amdhsa_system_sgpr_private_segment_wavefront_offset 0
		.amdhsa_system_sgpr_workgroup_id_x 1
		.amdhsa_system_sgpr_workgroup_id_y 0
		.amdhsa_system_sgpr_workgroup_id_z 0
		.amdhsa_system_sgpr_workgroup_info 0
		.amdhsa_system_vgpr_workitem_id 0
		.amdhsa_next_free_vgpr 1
		.amdhsa_next_free_sgpr 0
		.amdhsa_accum_offset 4
		.amdhsa_reserve_vcc 0
		.amdhsa_reserve_flat_scratch 0
		.amdhsa_float_round_mode_32 0
		.amdhsa_float_round_mode_16_64 0
		.amdhsa_float_denorm_mode_32 3
		.amdhsa_float_denorm_mode_16_64 3
		.amdhsa_dx10_clamp 1
		.amdhsa_ieee_mode 1
		.amdhsa_fp16_overflow 0
		.amdhsa_tg_split 0
		.amdhsa_exception_fp_ieee_invalid_op 0
		.amdhsa_exception_fp_denorm_src 0
		.amdhsa_exception_fp_ieee_div_zero 0
		.amdhsa_exception_fp_ieee_overflow 0
		.amdhsa_exception_fp_ieee_underflow 0
		.amdhsa_exception_fp_ieee_inexact 0
		.amdhsa_exception_int_div_zero 0
	.end_amdhsa_kernel
	.section	.text._ZN7rocprim17ROCPRIM_400000_NS6detail17trampoline_kernelINS0_14default_configENS1_21merge_config_selectorIyNS0_10empty_typeEEEZNS1_10merge_implIS3_N6thrust23THRUST_200600_302600_NS6detail15normal_iteratorINS9_10device_ptrIKyEEEESF_NS9_16discard_iteratorINS9_11use_defaultEEEPS5_SJ_SJ_NS9_4lessIyEEEE10hipError_tPvRmT0_T1_T2_T3_T4_T5_mmT6_P12ihipStream_tbEUlT_E_NS1_11comp_targetILNS1_3genE5ELNS1_11target_archE942ELNS1_3gpuE9ELNS1_3repE0EEENS1_30default_config_static_selectorELNS0_4arch9wavefront6targetE1EEEvSQ_,"axG",@progbits,_ZN7rocprim17ROCPRIM_400000_NS6detail17trampoline_kernelINS0_14default_configENS1_21merge_config_selectorIyNS0_10empty_typeEEEZNS1_10merge_implIS3_N6thrust23THRUST_200600_302600_NS6detail15normal_iteratorINS9_10device_ptrIKyEEEESF_NS9_16discard_iteratorINS9_11use_defaultEEEPS5_SJ_SJ_NS9_4lessIyEEEE10hipError_tPvRmT0_T1_T2_T3_T4_T5_mmT6_P12ihipStream_tbEUlT_E_NS1_11comp_targetILNS1_3genE5ELNS1_11target_archE942ELNS1_3gpuE9ELNS1_3repE0EEENS1_30default_config_static_selectorELNS0_4arch9wavefront6targetE1EEEvSQ_,comdat
.Lfunc_end354:
	.size	_ZN7rocprim17ROCPRIM_400000_NS6detail17trampoline_kernelINS0_14default_configENS1_21merge_config_selectorIyNS0_10empty_typeEEEZNS1_10merge_implIS3_N6thrust23THRUST_200600_302600_NS6detail15normal_iteratorINS9_10device_ptrIKyEEEESF_NS9_16discard_iteratorINS9_11use_defaultEEEPS5_SJ_SJ_NS9_4lessIyEEEE10hipError_tPvRmT0_T1_T2_T3_T4_T5_mmT6_P12ihipStream_tbEUlT_E_NS1_11comp_targetILNS1_3genE5ELNS1_11target_archE942ELNS1_3gpuE9ELNS1_3repE0EEENS1_30default_config_static_selectorELNS0_4arch9wavefront6targetE1EEEvSQ_, .Lfunc_end354-_ZN7rocprim17ROCPRIM_400000_NS6detail17trampoline_kernelINS0_14default_configENS1_21merge_config_selectorIyNS0_10empty_typeEEEZNS1_10merge_implIS3_N6thrust23THRUST_200600_302600_NS6detail15normal_iteratorINS9_10device_ptrIKyEEEESF_NS9_16discard_iteratorINS9_11use_defaultEEEPS5_SJ_SJ_NS9_4lessIyEEEE10hipError_tPvRmT0_T1_T2_T3_T4_T5_mmT6_P12ihipStream_tbEUlT_E_NS1_11comp_targetILNS1_3genE5ELNS1_11target_archE942ELNS1_3gpuE9ELNS1_3repE0EEENS1_30default_config_static_selectorELNS0_4arch9wavefront6targetE1EEEvSQ_
                                        ; -- End function
	.section	.AMDGPU.csdata,"",@progbits
; Kernel info:
; codeLenInByte = 0
; NumSgprs: 4
; NumVgprs: 0
; NumAgprs: 0
; TotalNumVgprs: 0
; ScratchSize: 0
; MemoryBound: 0
; FloatMode: 240
; IeeeMode: 1
; LDSByteSize: 0 bytes/workgroup (compile time only)
; SGPRBlocks: 0
; VGPRBlocks: 0
; NumSGPRsForWavesPerEU: 4
; NumVGPRsForWavesPerEU: 1
; AccumOffset: 4
; Occupancy: 8
; WaveLimiterHint : 0
; COMPUTE_PGM_RSRC2:SCRATCH_EN: 0
; COMPUTE_PGM_RSRC2:USER_SGPR: 6
; COMPUTE_PGM_RSRC2:TRAP_HANDLER: 0
; COMPUTE_PGM_RSRC2:TGID_X_EN: 1
; COMPUTE_PGM_RSRC2:TGID_Y_EN: 0
; COMPUTE_PGM_RSRC2:TGID_Z_EN: 0
; COMPUTE_PGM_RSRC2:TIDIG_COMP_CNT: 0
; COMPUTE_PGM_RSRC3_GFX90A:ACCUM_OFFSET: 0
; COMPUTE_PGM_RSRC3_GFX90A:TG_SPLIT: 0
	.section	.text._ZN7rocprim17ROCPRIM_400000_NS6detail17trampoline_kernelINS0_14default_configENS1_21merge_config_selectorIyNS0_10empty_typeEEEZNS1_10merge_implIS3_N6thrust23THRUST_200600_302600_NS6detail15normal_iteratorINS9_10device_ptrIKyEEEESF_NS9_16discard_iteratorINS9_11use_defaultEEEPS5_SJ_SJ_NS9_4lessIyEEEE10hipError_tPvRmT0_T1_T2_T3_T4_T5_mmT6_P12ihipStream_tbEUlT_E_NS1_11comp_targetILNS1_3genE4ELNS1_11target_archE910ELNS1_3gpuE8ELNS1_3repE0EEENS1_30default_config_static_selectorELNS0_4arch9wavefront6targetE1EEEvSQ_,"axG",@progbits,_ZN7rocprim17ROCPRIM_400000_NS6detail17trampoline_kernelINS0_14default_configENS1_21merge_config_selectorIyNS0_10empty_typeEEEZNS1_10merge_implIS3_N6thrust23THRUST_200600_302600_NS6detail15normal_iteratorINS9_10device_ptrIKyEEEESF_NS9_16discard_iteratorINS9_11use_defaultEEEPS5_SJ_SJ_NS9_4lessIyEEEE10hipError_tPvRmT0_T1_T2_T3_T4_T5_mmT6_P12ihipStream_tbEUlT_E_NS1_11comp_targetILNS1_3genE4ELNS1_11target_archE910ELNS1_3gpuE8ELNS1_3repE0EEENS1_30default_config_static_selectorELNS0_4arch9wavefront6targetE1EEEvSQ_,comdat
	.protected	_ZN7rocprim17ROCPRIM_400000_NS6detail17trampoline_kernelINS0_14default_configENS1_21merge_config_selectorIyNS0_10empty_typeEEEZNS1_10merge_implIS3_N6thrust23THRUST_200600_302600_NS6detail15normal_iteratorINS9_10device_ptrIKyEEEESF_NS9_16discard_iteratorINS9_11use_defaultEEEPS5_SJ_SJ_NS9_4lessIyEEEE10hipError_tPvRmT0_T1_T2_T3_T4_T5_mmT6_P12ihipStream_tbEUlT_E_NS1_11comp_targetILNS1_3genE4ELNS1_11target_archE910ELNS1_3gpuE8ELNS1_3repE0EEENS1_30default_config_static_selectorELNS0_4arch9wavefront6targetE1EEEvSQ_ ; -- Begin function _ZN7rocprim17ROCPRIM_400000_NS6detail17trampoline_kernelINS0_14default_configENS1_21merge_config_selectorIyNS0_10empty_typeEEEZNS1_10merge_implIS3_N6thrust23THRUST_200600_302600_NS6detail15normal_iteratorINS9_10device_ptrIKyEEEESF_NS9_16discard_iteratorINS9_11use_defaultEEEPS5_SJ_SJ_NS9_4lessIyEEEE10hipError_tPvRmT0_T1_T2_T3_T4_T5_mmT6_P12ihipStream_tbEUlT_E_NS1_11comp_targetILNS1_3genE4ELNS1_11target_archE910ELNS1_3gpuE8ELNS1_3repE0EEENS1_30default_config_static_selectorELNS0_4arch9wavefront6targetE1EEEvSQ_
	.globl	_ZN7rocprim17ROCPRIM_400000_NS6detail17trampoline_kernelINS0_14default_configENS1_21merge_config_selectorIyNS0_10empty_typeEEEZNS1_10merge_implIS3_N6thrust23THRUST_200600_302600_NS6detail15normal_iteratorINS9_10device_ptrIKyEEEESF_NS9_16discard_iteratorINS9_11use_defaultEEEPS5_SJ_SJ_NS9_4lessIyEEEE10hipError_tPvRmT0_T1_T2_T3_T4_T5_mmT6_P12ihipStream_tbEUlT_E_NS1_11comp_targetILNS1_3genE4ELNS1_11target_archE910ELNS1_3gpuE8ELNS1_3repE0EEENS1_30default_config_static_selectorELNS0_4arch9wavefront6targetE1EEEvSQ_
	.p2align	8
	.type	_ZN7rocprim17ROCPRIM_400000_NS6detail17trampoline_kernelINS0_14default_configENS1_21merge_config_selectorIyNS0_10empty_typeEEEZNS1_10merge_implIS3_N6thrust23THRUST_200600_302600_NS6detail15normal_iteratorINS9_10device_ptrIKyEEEESF_NS9_16discard_iteratorINS9_11use_defaultEEEPS5_SJ_SJ_NS9_4lessIyEEEE10hipError_tPvRmT0_T1_T2_T3_T4_T5_mmT6_P12ihipStream_tbEUlT_E_NS1_11comp_targetILNS1_3genE4ELNS1_11target_archE910ELNS1_3gpuE8ELNS1_3repE0EEENS1_30default_config_static_selectorELNS0_4arch9wavefront6targetE1EEEvSQ_,@function
_ZN7rocprim17ROCPRIM_400000_NS6detail17trampoline_kernelINS0_14default_configENS1_21merge_config_selectorIyNS0_10empty_typeEEEZNS1_10merge_implIS3_N6thrust23THRUST_200600_302600_NS6detail15normal_iteratorINS9_10device_ptrIKyEEEESF_NS9_16discard_iteratorINS9_11use_defaultEEEPS5_SJ_SJ_NS9_4lessIyEEEE10hipError_tPvRmT0_T1_T2_T3_T4_T5_mmT6_P12ihipStream_tbEUlT_E_NS1_11comp_targetILNS1_3genE4ELNS1_11target_archE910ELNS1_3gpuE8ELNS1_3repE0EEENS1_30default_config_static_selectorELNS0_4arch9wavefront6targetE1EEEvSQ_: ; @_ZN7rocprim17ROCPRIM_400000_NS6detail17trampoline_kernelINS0_14default_configENS1_21merge_config_selectorIyNS0_10empty_typeEEEZNS1_10merge_implIS3_N6thrust23THRUST_200600_302600_NS6detail15normal_iteratorINS9_10device_ptrIKyEEEESF_NS9_16discard_iteratorINS9_11use_defaultEEEPS5_SJ_SJ_NS9_4lessIyEEEE10hipError_tPvRmT0_T1_T2_T3_T4_T5_mmT6_P12ihipStream_tbEUlT_E_NS1_11comp_targetILNS1_3genE4ELNS1_11target_archE910ELNS1_3gpuE8ELNS1_3repE0EEENS1_30default_config_static_selectorELNS0_4arch9wavefront6targetE1EEEvSQ_
; %bb.0:
	s_load_dword s7, s[4:5], 0x28
	s_load_dword s0, s[4:5], 0x3c
	s_load_dwordx4 s[8:11], s[4:5], 0x18
	s_waitcnt lgkmcnt(0)
	v_cvt_f32_u32_e32 v1, s7
	s_and_b32 s0, s0, 0xffff
	s_add_u32 s12, s10, s8
	s_addc_u32 s13, s11, s9
	v_rcp_iflag_f32_e32 v1, v1
	s_sub_i32 s1, 0, s7
	s_mul_i32 s6, s6, s0
	s_add_i32 s0, s7, s12
	v_mul_f32_e32 v1, 0x4f7ffffe, v1
	v_cvt_u32_f32_e32 v1, v1
	s_add_i32 s0, s0, -1
	v_add_u32_e32 v0, s6, v0
	v_readfirstlane_b32 s2, v1
	s_mul_i32 s1, s1, s2
	s_mul_hi_u32 s1, s2, s1
	s_add_i32 s2, s2, s1
	s_mul_hi_u32 s1, s0, s2
	s_mul_i32 s2, s1, s7
	s_sub_i32 s0, s0, s2
	s_add_i32 s3, s1, 1
	s_sub_i32 s2, s0, s7
	s_cmp_ge_u32 s0, s7
	s_cselect_b32 s1, s3, s1
	s_cselect_b32 s0, s2, s0
	s_add_i32 s2, s1, 1
	s_cmp_ge_u32 s0, s7
	s_cselect_b32 s0, s2, s1
	v_cmp_ge_u32_e32 vcc, s0, v0
	s_and_saveexec_b64 s[0:1], vcc
	s_cbranch_execz .LBB355_6
; %bb.1:
	v_mul_lo_u32 v2, v0, s7
	v_mov_b32_e32 v3, 0
	v_mov_b32_e32 v1, s13
	v_cmp_gt_u64_e32 vcc, s[12:13], v[2:3]
	v_cndmask_b32_e64 v7, v1, 0, vcc
	v_mov_b32_e32 v1, s12
	v_cndmask_b32_e32 v6, v1, v2, vcc
	v_mov_b32_e32 v1, s11
	v_subrev_co_u32_e32 v2, vcc, s10, v6
	v_subb_co_u32_e32 v3, vcc, v7, v1, vcc
	s_load_dwordx4 s[0:3], s[4:5], 0x0
	v_cmp_gt_u64_e32 vcc, v[2:3], v[6:7]
	v_cndmask_b32_e64 v3, v3, 0, vcc
	v_cndmask_b32_e64 v2, v2, 0, vcc
	v_mov_b32_e32 v1, s9
	v_cmp_gt_u64_e32 vcc, s[8:9], v[6:7]
	v_cndmask_b32_e32 v5, v1, v7, vcc
	v_mov_b32_e32 v1, s8
	v_cndmask_b32_e32 v4, v1, v6, vcc
	v_cmp_lt_u64_e32 vcc, v[2:3], v[4:5]
	s_and_saveexec_b64 s[6:7], vcc
	s_cbranch_execz .LBB355_5
; %bb.2:
	s_load_dwordx2 s[4:5], s[4:5], 0x10
	v_lshlrev_b64 v[6:7], 3, v[6:7]
	s_waitcnt lgkmcnt(0)
	v_mov_b32_e32 v8, s5
	v_add_co_u32_e32 v1, vcc, s4, v6
	v_addc_co_u32_e32 v6, vcc, v8, v7, vcc
	s_mov_b64 s[4:5], 0
	v_mov_b32_e32 v7, s3
.LBB355_3:                              ; =>This Inner Loop Header: Depth=1
	v_add_co_u32_e32 v8, vcc, v4, v2
	v_addc_co_u32_e32 v9, vcc, v5, v3, vcc
	v_lshrrev_b64 v[8:9], 1, v[8:9]
	v_lshlrev_b64 v[12:13], 3, v[8:9]
	v_not_b32_e32 v11, v9
	v_not_b32_e32 v10, v8
	v_add_co_u32_e32 v12, vcc, s2, v12
	v_addc_co_u32_e32 v13, vcc, v7, v13, vcc
	v_lshlrev_b64 v[10:11], 3, v[10:11]
	v_add_co_u32_e32 v10, vcc, v1, v10
	v_addc_co_u32_e32 v11, vcc, v6, v11, vcc
	global_load_dwordx2 v[12:13], v[12:13], off
	v_add_co_u32_e32 v14, vcc, 1, v8
	global_load_dwordx2 v[10:11], v[10:11], off
	v_addc_co_u32_e32 v15, vcc, 0, v9, vcc
	s_waitcnt vmcnt(0)
	v_cmp_lt_u64_e32 vcc, v[10:11], v[12:13]
	v_cndmask_b32_e32 v5, v5, v9, vcc
	v_cndmask_b32_e32 v4, v4, v8, vcc
	;; [unrolled: 1-line block ×4, first 2 shown]
	v_cmp_ge_u64_e32 vcc, v[2:3], v[4:5]
	s_or_b64 s[4:5], vcc, s[4:5]
	s_andn2_b64 exec, exec, s[4:5]
	s_cbranch_execnz .LBB355_3
; %bb.4:
	s_or_b64 exec, exec, s[4:5]
.LBB355_5:
	s_or_b64 exec, exec, s[6:7]
	v_mov_b32_e32 v1, 0
	v_lshlrev_b64 v[0:1], 2, v[0:1]
	s_waitcnt lgkmcnt(0)
	v_mov_b32_e32 v3, s1
	v_add_co_u32_e32 v0, vcc, s0, v0
	v_addc_co_u32_e32 v1, vcc, v3, v1, vcc
	global_store_dword v[0:1], v2, off
.LBB355_6:
	s_endpgm
	.section	.rodata,"a",@progbits
	.p2align	6, 0x0
	.amdhsa_kernel _ZN7rocprim17ROCPRIM_400000_NS6detail17trampoline_kernelINS0_14default_configENS1_21merge_config_selectorIyNS0_10empty_typeEEEZNS1_10merge_implIS3_N6thrust23THRUST_200600_302600_NS6detail15normal_iteratorINS9_10device_ptrIKyEEEESF_NS9_16discard_iteratorINS9_11use_defaultEEEPS5_SJ_SJ_NS9_4lessIyEEEE10hipError_tPvRmT0_T1_T2_T3_T4_T5_mmT6_P12ihipStream_tbEUlT_E_NS1_11comp_targetILNS1_3genE4ELNS1_11target_archE910ELNS1_3gpuE8ELNS1_3repE0EEENS1_30default_config_static_selectorELNS0_4arch9wavefront6targetE1EEEvSQ_
		.amdhsa_group_segment_fixed_size 0
		.amdhsa_private_segment_fixed_size 0
		.amdhsa_kernarg_size 304
		.amdhsa_user_sgpr_count 6
		.amdhsa_user_sgpr_private_segment_buffer 1
		.amdhsa_user_sgpr_dispatch_ptr 0
		.amdhsa_user_sgpr_queue_ptr 0
		.amdhsa_user_sgpr_kernarg_segment_ptr 1
		.amdhsa_user_sgpr_dispatch_id 0
		.amdhsa_user_sgpr_flat_scratch_init 0
		.amdhsa_user_sgpr_kernarg_preload_length 0
		.amdhsa_user_sgpr_kernarg_preload_offset 0
		.amdhsa_user_sgpr_private_segment_size 0
		.amdhsa_uses_dynamic_stack 0
		.amdhsa_system_sgpr_private_segment_wavefront_offset 0
		.amdhsa_system_sgpr_workgroup_id_x 1
		.amdhsa_system_sgpr_workgroup_id_y 0
		.amdhsa_system_sgpr_workgroup_id_z 0
		.amdhsa_system_sgpr_workgroup_info 0
		.amdhsa_system_vgpr_workitem_id 0
		.amdhsa_next_free_vgpr 16
		.amdhsa_next_free_sgpr 14
		.amdhsa_accum_offset 16
		.amdhsa_reserve_vcc 1
		.amdhsa_reserve_flat_scratch 0
		.amdhsa_float_round_mode_32 0
		.amdhsa_float_round_mode_16_64 0
		.amdhsa_float_denorm_mode_32 3
		.amdhsa_float_denorm_mode_16_64 3
		.amdhsa_dx10_clamp 1
		.amdhsa_ieee_mode 1
		.amdhsa_fp16_overflow 0
		.amdhsa_tg_split 0
		.amdhsa_exception_fp_ieee_invalid_op 0
		.amdhsa_exception_fp_denorm_src 0
		.amdhsa_exception_fp_ieee_div_zero 0
		.amdhsa_exception_fp_ieee_overflow 0
		.amdhsa_exception_fp_ieee_underflow 0
		.amdhsa_exception_fp_ieee_inexact 0
		.amdhsa_exception_int_div_zero 0
	.end_amdhsa_kernel
	.section	.text._ZN7rocprim17ROCPRIM_400000_NS6detail17trampoline_kernelINS0_14default_configENS1_21merge_config_selectorIyNS0_10empty_typeEEEZNS1_10merge_implIS3_N6thrust23THRUST_200600_302600_NS6detail15normal_iteratorINS9_10device_ptrIKyEEEESF_NS9_16discard_iteratorINS9_11use_defaultEEEPS5_SJ_SJ_NS9_4lessIyEEEE10hipError_tPvRmT0_T1_T2_T3_T4_T5_mmT6_P12ihipStream_tbEUlT_E_NS1_11comp_targetILNS1_3genE4ELNS1_11target_archE910ELNS1_3gpuE8ELNS1_3repE0EEENS1_30default_config_static_selectorELNS0_4arch9wavefront6targetE1EEEvSQ_,"axG",@progbits,_ZN7rocprim17ROCPRIM_400000_NS6detail17trampoline_kernelINS0_14default_configENS1_21merge_config_selectorIyNS0_10empty_typeEEEZNS1_10merge_implIS3_N6thrust23THRUST_200600_302600_NS6detail15normal_iteratorINS9_10device_ptrIKyEEEESF_NS9_16discard_iteratorINS9_11use_defaultEEEPS5_SJ_SJ_NS9_4lessIyEEEE10hipError_tPvRmT0_T1_T2_T3_T4_T5_mmT6_P12ihipStream_tbEUlT_E_NS1_11comp_targetILNS1_3genE4ELNS1_11target_archE910ELNS1_3gpuE8ELNS1_3repE0EEENS1_30default_config_static_selectorELNS0_4arch9wavefront6targetE1EEEvSQ_,comdat
.Lfunc_end355:
	.size	_ZN7rocprim17ROCPRIM_400000_NS6detail17trampoline_kernelINS0_14default_configENS1_21merge_config_selectorIyNS0_10empty_typeEEEZNS1_10merge_implIS3_N6thrust23THRUST_200600_302600_NS6detail15normal_iteratorINS9_10device_ptrIKyEEEESF_NS9_16discard_iteratorINS9_11use_defaultEEEPS5_SJ_SJ_NS9_4lessIyEEEE10hipError_tPvRmT0_T1_T2_T3_T4_T5_mmT6_P12ihipStream_tbEUlT_E_NS1_11comp_targetILNS1_3genE4ELNS1_11target_archE910ELNS1_3gpuE8ELNS1_3repE0EEENS1_30default_config_static_selectorELNS0_4arch9wavefront6targetE1EEEvSQ_, .Lfunc_end355-_ZN7rocprim17ROCPRIM_400000_NS6detail17trampoline_kernelINS0_14default_configENS1_21merge_config_selectorIyNS0_10empty_typeEEEZNS1_10merge_implIS3_N6thrust23THRUST_200600_302600_NS6detail15normal_iteratorINS9_10device_ptrIKyEEEESF_NS9_16discard_iteratorINS9_11use_defaultEEEPS5_SJ_SJ_NS9_4lessIyEEEE10hipError_tPvRmT0_T1_T2_T3_T4_T5_mmT6_P12ihipStream_tbEUlT_E_NS1_11comp_targetILNS1_3genE4ELNS1_11target_archE910ELNS1_3gpuE8ELNS1_3repE0EEENS1_30default_config_static_selectorELNS0_4arch9wavefront6targetE1EEEvSQ_
                                        ; -- End function
	.section	.AMDGPU.csdata,"",@progbits
; Kernel info:
; codeLenInByte = 472
; NumSgprs: 18
; NumVgprs: 16
; NumAgprs: 0
; TotalNumVgprs: 16
; ScratchSize: 0
; MemoryBound: 0
; FloatMode: 240
; IeeeMode: 1
; LDSByteSize: 0 bytes/workgroup (compile time only)
; SGPRBlocks: 2
; VGPRBlocks: 1
; NumSGPRsForWavesPerEU: 18
; NumVGPRsForWavesPerEU: 16
; AccumOffset: 16
; Occupancy: 8
; WaveLimiterHint : 0
; COMPUTE_PGM_RSRC2:SCRATCH_EN: 0
; COMPUTE_PGM_RSRC2:USER_SGPR: 6
; COMPUTE_PGM_RSRC2:TRAP_HANDLER: 0
; COMPUTE_PGM_RSRC2:TGID_X_EN: 1
; COMPUTE_PGM_RSRC2:TGID_Y_EN: 0
; COMPUTE_PGM_RSRC2:TGID_Z_EN: 0
; COMPUTE_PGM_RSRC2:TIDIG_COMP_CNT: 0
; COMPUTE_PGM_RSRC3_GFX90A:ACCUM_OFFSET: 3
; COMPUTE_PGM_RSRC3_GFX90A:TG_SPLIT: 0
	.section	.text._ZN7rocprim17ROCPRIM_400000_NS6detail17trampoline_kernelINS0_14default_configENS1_21merge_config_selectorIyNS0_10empty_typeEEEZNS1_10merge_implIS3_N6thrust23THRUST_200600_302600_NS6detail15normal_iteratorINS9_10device_ptrIKyEEEESF_NS9_16discard_iteratorINS9_11use_defaultEEEPS5_SJ_SJ_NS9_4lessIyEEEE10hipError_tPvRmT0_T1_T2_T3_T4_T5_mmT6_P12ihipStream_tbEUlT_E_NS1_11comp_targetILNS1_3genE3ELNS1_11target_archE908ELNS1_3gpuE7ELNS1_3repE0EEENS1_30default_config_static_selectorELNS0_4arch9wavefront6targetE1EEEvSQ_,"axG",@progbits,_ZN7rocprim17ROCPRIM_400000_NS6detail17trampoline_kernelINS0_14default_configENS1_21merge_config_selectorIyNS0_10empty_typeEEEZNS1_10merge_implIS3_N6thrust23THRUST_200600_302600_NS6detail15normal_iteratorINS9_10device_ptrIKyEEEESF_NS9_16discard_iteratorINS9_11use_defaultEEEPS5_SJ_SJ_NS9_4lessIyEEEE10hipError_tPvRmT0_T1_T2_T3_T4_T5_mmT6_P12ihipStream_tbEUlT_E_NS1_11comp_targetILNS1_3genE3ELNS1_11target_archE908ELNS1_3gpuE7ELNS1_3repE0EEENS1_30default_config_static_selectorELNS0_4arch9wavefront6targetE1EEEvSQ_,comdat
	.protected	_ZN7rocprim17ROCPRIM_400000_NS6detail17trampoline_kernelINS0_14default_configENS1_21merge_config_selectorIyNS0_10empty_typeEEEZNS1_10merge_implIS3_N6thrust23THRUST_200600_302600_NS6detail15normal_iteratorINS9_10device_ptrIKyEEEESF_NS9_16discard_iteratorINS9_11use_defaultEEEPS5_SJ_SJ_NS9_4lessIyEEEE10hipError_tPvRmT0_T1_T2_T3_T4_T5_mmT6_P12ihipStream_tbEUlT_E_NS1_11comp_targetILNS1_3genE3ELNS1_11target_archE908ELNS1_3gpuE7ELNS1_3repE0EEENS1_30default_config_static_selectorELNS0_4arch9wavefront6targetE1EEEvSQ_ ; -- Begin function _ZN7rocprim17ROCPRIM_400000_NS6detail17trampoline_kernelINS0_14default_configENS1_21merge_config_selectorIyNS0_10empty_typeEEEZNS1_10merge_implIS3_N6thrust23THRUST_200600_302600_NS6detail15normal_iteratorINS9_10device_ptrIKyEEEESF_NS9_16discard_iteratorINS9_11use_defaultEEEPS5_SJ_SJ_NS9_4lessIyEEEE10hipError_tPvRmT0_T1_T2_T3_T4_T5_mmT6_P12ihipStream_tbEUlT_E_NS1_11comp_targetILNS1_3genE3ELNS1_11target_archE908ELNS1_3gpuE7ELNS1_3repE0EEENS1_30default_config_static_selectorELNS0_4arch9wavefront6targetE1EEEvSQ_
	.globl	_ZN7rocprim17ROCPRIM_400000_NS6detail17trampoline_kernelINS0_14default_configENS1_21merge_config_selectorIyNS0_10empty_typeEEEZNS1_10merge_implIS3_N6thrust23THRUST_200600_302600_NS6detail15normal_iteratorINS9_10device_ptrIKyEEEESF_NS9_16discard_iteratorINS9_11use_defaultEEEPS5_SJ_SJ_NS9_4lessIyEEEE10hipError_tPvRmT0_T1_T2_T3_T4_T5_mmT6_P12ihipStream_tbEUlT_E_NS1_11comp_targetILNS1_3genE3ELNS1_11target_archE908ELNS1_3gpuE7ELNS1_3repE0EEENS1_30default_config_static_selectorELNS0_4arch9wavefront6targetE1EEEvSQ_
	.p2align	8
	.type	_ZN7rocprim17ROCPRIM_400000_NS6detail17trampoline_kernelINS0_14default_configENS1_21merge_config_selectorIyNS0_10empty_typeEEEZNS1_10merge_implIS3_N6thrust23THRUST_200600_302600_NS6detail15normal_iteratorINS9_10device_ptrIKyEEEESF_NS9_16discard_iteratorINS9_11use_defaultEEEPS5_SJ_SJ_NS9_4lessIyEEEE10hipError_tPvRmT0_T1_T2_T3_T4_T5_mmT6_P12ihipStream_tbEUlT_E_NS1_11comp_targetILNS1_3genE3ELNS1_11target_archE908ELNS1_3gpuE7ELNS1_3repE0EEENS1_30default_config_static_selectorELNS0_4arch9wavefront6targetE1EEEvSQ_,@function
_ZN7rocprim17ROCPRIM_400000_NS6detail17trampoline_kernelINS0_14default_configENS1_21merge_config_selectorIyNS0_10empty_typeEEEZNS1_10merge_implIS3_N6thrust23THRUST_200600_302600_NS6detail15normal_iteratorINS9_10device_ptrIKyEEEESF_NS9_16discard_iteratorINS9_11use_defaultEEEPS5_SJ_SJ_NS9_4lessIyEEEE10hipError_tPvRmT0_T1_T2_T3_T4_T5_mmT6_P12ihipStream_tbEUlT_E_NS1_11comp_targetILNS1_3genE3ELNS1_11target_archE908ELNS1_3gpuE7ELNS1_3repE0EEENS1_30default_config_static_selectorELNS0_4arch9wavefront6targetE1EEEvSQ_: ; @_ZN7rocprim17ROCPRIM_400000_NS6detail17trampoline_kernelINS0_14default_configENS1_21merge_config_selectorIyNS0_10empty_typeEEEZNS1_10merge_implIS3_N6thrust23THRUST_200600_302600_NS6detail15normal_iteratorINS9_10device_ptrIKyEEEESF_NS9_16discard_iteratorINS9_11use_defaultEEEPS5_SJ_SJ_NS9_4lessIyEEEE10hipError_tPvRmT0_T1_T2_T3_T4_T5_mmT6_P12ihipStream_tbEUlT_E_NS1_11comp_targetILNS1_3genE3ELNS1_11target_archE908ELNS1_3gpuE7ELNS1_3repE0EEENS1_30default_config_static_selectorELNS0_4arch9wavefront6targetE1EEEvSQ_
; %bb.0:
	.section	.rodata,"a",@progbits
	.p2align	6, 0x0
	.amdhsa_kernel _ZN7rocprim17ROCPRIM_400000_NS6detail17trampoline_kernelINS0_14default_configENS1_21merge_config_selectorIyNS0_10empty_typeEEEZNS1_10merge_implIS3_N6thrust23THRUST_200600_302600_NS6detail15normal_iteratorINS9_10device_ptrIKyEEEESF_NS9_16discard_iteratorINS9_11use_defaultEEEPS5_SJ_SJ_NS9_4lessIyEEEE10hipError_tPvRmT0_T1_T2_T3_T4_T5_mmT6_P12ihipStream_tbEUlT_E_NS1_11comp_targetILNS1_3genE3ELNS1_11target_archE908ELNS1_3gpuE7ELNS1_3repE0EEENS1_30default_config_static_selectorELNS0_4arch9wavefront6targetE1EEEvSQ_
		.amdhsa_group_segment_fixed_size 0
		.amdhsa_private_segment_fixed_size 0
		.amdhsa_kernarg_size 48
		.amdhsa_user_sgpr_count 6
		.amdhsa_user_sgpr_private_segment_buffer 1
		.amdhsa_user_sgpr_dispatch_ptr 0
		.amdhsa_user_sgpr_queue_ptr 0
		.amdhsa_user_sgpr_kernarg_segment_ptr 1
		.amdhsa_user_sgpr_dispatch_id 0
		.amdhsa_user_sgpr_flat_scratch_init 0
		.amdhsa_user_sgpr_kernarg_preload_length 0
		.amdhsa_user_sgpr_kernarg_preload_offset 0
		.amdhsa_user_sgpr_private_segment_size 0
		.amdhsa_uses_dynamic_stack 0
		.amdhsa_system_sgpr_private_segment_wavefront_offset 0
		.amdhsa_system_sgpr_workgroup_id_x 1
		.amdhsa_system_sgpr_workgroup_id_y 0
		.amdhsa_system_sgpr_workgroup_id_z 0
		.amdhsa_system_sgpr_workgroup_info 0
		.amdhsa_system_vgpr_workitem_id 0
		.amdhsa_next_free_vgpr 1
		.amdhsa_next_free_sgpr 0
		.amdhsa_accum_offset 4
		.amdhsa_reserve_vcc 0
		.amdhsa_reserve_flat_scratch 0
		.amdhsa_float_round_mode_32 0
		.amdhsa_float_round_mode_16_64 0
		.amdhsa_float_denorm_mode_32 3
		.amdhsa_float_denorm_mode_16_64 3
		.amdhsa_dx10_clamp 1
		.amdhsa_ieee_mode 1
		.amdhsa_fp16_overflow 0
		.amdhsa_tg_split 0
		.amdhsa_exception_fp_ieee_invalid_op 0
		.amdhsa_exception_fp_denorm_src 0
		.amdhsa_exception_fp_ieee_div_zero 0
		.amdhsa_exception_fp_ieee_overflow 0
		.amdhsa_exception_fp_ieee_underflow 0
		.amdhsa_exception_fp_ieee_inexact 0
		.amdhsa_exception_int_div_zero 0
	.end_amdhsa_kernel
	.section	.text._ZN7rocprim17ROCPRIM_400000_NS6detail17trampoline_kernelINS0_14default_configENS1_21merge_config_selectorIyNS0_10empty_typeEEEZNS1_10merge_implIS3_N6thrust23THRUST_200600_302600_NS6detail15normal_iteratorINS9_10device_ptrIKyEEEESF_NS9_16discard_iteratorINS9_11use_defaultEEEPS5_SJ_SJ_NS9_4lessIyEEEE10hipError_tPvRmT0_T1_T2_T3_T4_T5_mmT6_P12ihipStream_tbEUlT_E_NS1_11comp_targetILNS1_3genE3ELNS1_11target_archE908ELNS1_3gpuE7ELNS1_3repE0EEENS1_30default_config_static_selectorELNS0_4arch9wavefront6targetE1EEEvSQ_,"axG",@progbits,_ZN7rocprim17ROCPRIM_400000_NS6detail17trampoline_kernelINS0_14default_configENS1_21merge_config_selectorIyNS0_10empty_typeEEEZNS1_10merge_implIS3_N6thrust23THRUST_200600_302600_NS6detail15normal_iteratorINS9_10device_ptrIKyEEEESF_NS9_16discard_iteratorINS9_11use_defaultEEEPS5_SJ_SJ_NS9_4lessIyEEEE10hipError_tPvRmT0_T1_T2_T3_T4_T5_mmT6_P12ihipStream_tbEUlT_E_NS1_11comp_targetILNS1_3genE3ELNS1_11target_archE908ELNS1_3gpuE7ELNS1_3repE0EEENS1_30default_config_static_selectorELNS0_4arch9wavefront6targetE1EEEvSQ_,comdat
.Lfunc_end356:
	.size	_ZN7rocprim17ROCPRIM_400000_NS6detail17trampoline_kernelINS0_14default_configENS1_21merge_config_selectorIyNS0_10empty_typeEEEZNS1_10merge_implIS3_N6thrust23THRUST_200600_302600_NS6detail15normal_iteratorINS9_10device_ptrIKyEEEESF_NS9_16discard_iteratorINS9_11use_defaultEEEPS5_SJ_SJ_NS9_4lessIyEEEE10hipError_tPvRmT0_T1_T2_T3_T4_T5_mmT6_P12ihipStream_tbEUlT_E_NS1_11comp_targetILNS1_3genE3ELNS1_11target_archE908ELNS1_3gpuE7ELNS1_3repE0EEENS1_30default_config_static_selectorELNS0_4arch9wavefront6targetE1EEEvSQ_, .Lfunc_end356-_ZN7rocprim17ROCPRIM_400000_NS6detail17trampoline_kernelINS0_14default_configENS1_21merge_config_selectorIyNS0_10empty_typeEEEZNS1_10merge_implIS3_N6thrust23THRUST_200600_302600_NS6detail15normal_iteratorINS9_10device_ptrIKyEEEESF_NS9_16discard_iteratorINS9_11use_defaultEEEPS5_SJ_SJ_NS9_4lessIyEEEE10hipError_tPvRmT0_T1_T2_T3_T4_T5_mmT6_P12ihipStream_tbEUlT_E_NS1_11comp_targetILNS1_3genE3ELNS1_11target_archE908ELNS1_3gpuE7ELNS1_3repE0EEENS1_30default_config_static_selectorELNS0_4arch9wavefront6targetE1EEEvSQ_
                                        ; -- End function
	.section	.AMDGPU.csdata,"",@progbits
; Kernel info:
; codeLenInByte = 0
; NumSgprs: 4
; NumVgprs: 0
; NumAgprs: 0
; TotalNumVgprs: 0
; ScratchSize: 0
; MemoryBound: 0
; FloatMode: 240
; IeeeMode: 1
; LDSByteSize: 0 bytes/workgroup (compile time only)
; SGPRBlocks: 0
; VGPRBlocks: 0
; NumSGPRsForWavesPerEU: 4
; NumVGPRsForWavesPerEU: 1
; AccumOffset: 4
; Occupancy: 8
; WaveLimiterHint : 0
; COMPUTE_PGM_RSRC2:SCRATCH_EN: 0
; COMPUTE_PGM_RSRC2:USER_SGPR: 6
; COMPUTE_PGM_RSRC2:TRAP_HANDLER: 0
; COMPUTE_PGM_RSRC2:TGID_X_EN: 1
; COMPUTE_PGM_RSRC2:TGID_Y_EN: 0
; COMPUTE_PGM_RSRC2:TGID_Z_EN: 0
; COMPUTE_PGM_RSRC2:TIDIG_COMP_CNT: 0
; COMPUTE_PGM_RSRC3_GFX90A:ACCUM_OFFSET: 0
; COMPUTE_PGM_RSRC3_GFX90A:TG_SPLIT: 0
	.section	.text._ZN7rocprim17ROCPRIM_400000_NS6detail17trampoline_kernelINS0_14default_configENS1_21merge_config_selectorIyNS0_10empty_typeEEEZNS1_10merge_implIS3_N6thrust23THRUST_200600_302600_NS6detail15normal_iteratorINS9_10device_ptrIKyEEEESF_NS9_16discard_iteratorINS9_11use_defaultEEEPS5_SJ_SJ_NS9_4lessIyEEEE10hipError_tPvRmT0_T1_T2_T3_T4_T5_mmT6_P12ihipStream_tbEUlT_E_NS1_11comp_targetILNS1_3genE2ELNS1_11target_archE906ELNS1_3gpuE6ELNS1_3repE0EEENS1_30default_config_static_selectorELNS0_4arch9wavefront6targetE1EEEvSQ_,"axG",@progbits,_ZN7rocprim17ROCPRIM_400000_NS6detail17trampoline_kernelINS0_14default_configENS1_21merge_config_selectorIyNS0_10empty_typeEEEZNS1_10merge_implIS3_N6thrust23THRUST_200600_302600_NS6detail15normal_iteratorINS9_10device_ptrIKyEEEESF_NS9_16discard_iteratorINS9_11use_defaultEEEPS5_SJ_SJ_NS9_4lessIyEEEE10hipError_tPvRmT0_T1_T2_T3_T4_T5_mmT6_P12ihipStream_tbEUlT_E_NS1_11comp_targetILNS1_3genE2ELNS1_11target_archE906ELNS1_3gpuE6ELNS1_3repE0EEENS1_30default_config_static_selectorELNS0_4arch9wavefront6targetE1EEEvSQ_,comdat
	.protected	_ZN7rocprim17ROCPRIM_400000_NS6detail17trampoline_kernelINS0_14default_configENS1_21merge_config_selectorIyNS0_10empty_typeEEEZNS1_10merge_implIS3_N6thrust23THRUST_200600_302600_NS6detail15normal_iteratorINS9_10device_ptrIKyEEEESF_NS9_16discard_iteratorINS9_11use_defaultEEEPS5_SJ_SJ_NS9_4lessIyEEEE10hipError_tPvRmT0_T1_T2_T3_T4_T5_mmT6_P12ihipStream_tbEUlT_E_NS1_11comp_targetILNS1_3genE2ELNS1_11target_archE906ELNS1_3gpuE6ELNS1_3repE0EEENS1_30default_config_static_selectorELNS0_4arch9wavefront6targetE1EEEvSQ_ ; -- Begin function _ZN7rocprim17ROCPRIM_400000_NS6detail17trampoline_kernelINS0_14default_configENS1_21merge_config_selectorIyNS0_10empty_typeEEEZNS1_10merge_implIS3_N6thrust23THRUST_200600_302600_NS6detail15normal_iteratorINS9_10device_ptrIKyEEEESF_NS9_16discard_iteratorINS9_11use_defaultEEEPS5_SJ_SJ_NS9_4lessIyEEEE10hipError_tPvRmT0_T1_T2_T3_T4_T5_mmT6_P12ihipStream_tbEUlT_E_NS1_11comp_targetILNS1_3genE2ELNS1_11target_archE906ELNS1_3gpuE6ELNS1_3repE0EEENS1_30default_config_static_selectorELNS0_4arch9wavefront6targetE1EEEvSQ_
	.globl	_ZN7rocprim17ROCPRIM_400000_NS6detail17trampoline_kernelINS0_14default_configENS1_21merge_config_selectorIyNS0_10empty_typeEEEZNS1_10merge_implIS3_N6thrust23THRUST_200600_302600_NS6detail15normal_iteratorINS9_10device_ptrIKyEEEESF_NS9_16discard_iteratorINS9_11use_defaultEEEPS5_SJ_SJ_NS9_4lessIyEEEE10hipError_tPvRmT0_T1_T2_T3_T4_T5_mmT6_P12ihipStream_tbEUlT_E_NS1_11comp_targetILNS1_3genE2ELNS1_11target_archE906ELNS1_3gpuE6ELNS1_3repE0EEENS1_30default_config_static_selectorELNS0_4arch9wavefront6targetE1EEEvSQ_
	.p2align	8
	.type	_ZN7rocprim17ROCPRIM_400000_NS6detail17trampoline_kernelINS0_14default_configENS1_21merge_config_selectorIyNS0_10empty_typeEEEZNS1_10merge_implIS3_N6thrust23THRUST_200600_302600_NS6detail15normal_iteratorINS9_10device_ptrIKyEEEESF_NS9_16discard_iteratorINS9_11use_defaultEEEPS5_SJ_SJ_NS9_4lessIyEEEE10hipError_tPvRmT0_T1_T2_T3_T4_T5_mmT6_P12ihipStream_tbEUlT_E_NS1_11comp_targetILNS1_3genE2ELNS1_11target_archE906ELNS1_3gpuE6ELNS1_3repE0EEENS1_30default_config_static_selectorELNS0_4arch9wavefront6targetE1EEEvSQ_,@function
_ZN7rocprim17ROCPRIM_400000_NS6detail17trampoline_kernelINS0_14default_configENS1_21merge_config_selectorIyNS0_10empty_typeEEEZNS1_10merge_implIS3_N6thrust23THRUST_200600_302600_NS6detail15normal_iteratorINS9_10device_ptrIKyEEEESF_NS9_16discard_iteratorINS9_11use_defaultEEEPS5_SJ_SJ_NS9_4lessIyEEEE10hipError_tPvRmT0_T1_T2_T3_T4_T5_mmT6_P12ihipStream_tbEUlT_E_NS1_11comp_targetILNS1_3genE2ELNS1_11target_archE906ELNS1_3gpuE6ELNS1_3repE0EEENS1_30default_config_static_selectorELNS0_4arch9wavefront6targetE1EEEvSQ_: ; @_ZN7rocprim17ROCPRIM_400000_NS6detail17trampoline_kernelINS0_14default_configENS1_21merge_config_selectorIyNS0_10empty_typeEEEZNS1_10merge_implIS3_N6thrust23THRUST_200600_302600_NS6detail15normal_iteratorINS9_10device_ptrIKyEEEESF_NS9_16discard_iteratorINS9_11use_defaultEEEPS5_SJ_SJ_NS9_4lessIyEEEE10hipError_tPvRmT0_T1_T2_T3_T4_T5_mmT6_P12ihipStream_tbEUlT_E_NS1_11comp_targetILNS1_3genE2ELNS1_11target_archE906ELNS1_3gpuE6ELNS1_3repE0EEENS1_30default_config_static_selectorELNS0_4arch9wavefront6targetE1EEEvSQ_
; %bb.0:
	.section	.rodata,"a",@progbits
	.p2align	6, 0x0
	.amdhsa_kernel _ZN7rocprim17ROCPRIM_400000_NS6detail17trampoline_kernelINS0_14default_configENS1_21merge_config_selectorIyNS0_10empty_typeEEEZNS1_10merge_implIS3_N6thrust23THRUST_200600_302600_NS6detail15normal_iteratorINS9_10device_ptrIKyEEEESF_NS9_16discard_iteratorINS9_11use_defaultEEEPS5_SJ_SJ_NS9_4lessIyEEEE10hipError_tPvRmT0_T1_T2_T3_T4_T5_mmT6_P12ihipStream_tbEUlT_E_NS1_11comp_targetILNS1_3genE2ELNS1_11target_archE906ELNS1_3gpuE6ELNS1_3repE0EEENS1_30default_config_static_selectorELNS0_4arch9wavefront6targetE1EEEvSQ_
		.amdhsa_group_segment_fixed_size 0
		.amdhsa_private_segment_fixed_size 0
		.amdhsa_kernarg_size 48
		.amdhsa_user_sgpr_count 6
		.amdhsa_user_sgpr_private_segment_buffer 1
		.amdhsa_user_sgpr_dispatch_ptr 0
		.amdhsa_user_sgpr_queue_ptr 0
		.amdhsa_user_sgpr_kernarg_segment_ptr 1
		.amdhsa_user_sgpr_dispatch_id 0
		.amdhsa_user_sgpr_flat_scratch_init 0
		.amdhsa_user_sgpr_kernarg_preload_length 0
		.amdhsa_user_sgpr_kernarg_preload_offset 0
		.amdhsa_user_sgpr_private_segment_size 0
		.amdhsa_uses_dynamic_stack 0
		.amdhsa_system_sgpr_private_segment_wavefront_offset 0
		.amdhsa_system_sgpr_workgroup_id_x 1
		.amdhsa_system_sgpr_workgroup_id_y 0
		.amdhsa_system_sgpr_workgroup_id_z 0
		.amdhsa_system_sgpr_workgroup_info 0
		.amdhsa_system_vgpr_workitem_id 0
		.amdhsa_next_free_vgpr 1
		.amdhsa_next_free_sgpr 0
		.amdhsa_accum_offset 4
		.amdhsa_reserve_vcc 0
		.amdhsa_reserve_flat_scratch 0
		.amdhsa_float_round_mode_32 0
		.amdhsa_float_round_mode_16_64 0
		.amdhsa_float_denorm_mode_32 3
		.amdhsa_float_denorm_mode_16_64 3
		.amdhsa_dx10_clamp 1
		.amdhsa_ieee_mode 1
		.amdhsa_fp16_overflow 0
		.amdhsa_tg_split 0
		.amdhsa_exception_fp_ieee_invalid_op 0
		.amdhsa_exception_fp_denorm_src 0
		.amdhsa_exception_fp_ieee_div_zero 0
		.amdhsa_exception_fp_ieee_overflow 0
		.amdhsa_exception_fp_ieee_underflow 0
		.amdhsa_exception_fp_ieee_inexact 0
		.amdhsa_exception_int_div_zero 0
	.end_amdhsa_kernel
	.section	.text._ZN7rocprim17ROCPRIM_400000_NS6detail17trampoline_kernelINS0_14default_configENS1_21merge_config_selectorIyNS0_10empty_typeEEEZNS1_10merge_implIS3_N6thrust23THRUST_200600_302600_NS6detail15normal_iteratorINS9_10device_ptrIKyEEEESF_NS9_16discard_iteratorINS9_11use_defaultEEEPS5_SJ_SJ_NS9_4lessIyEEEE10hipError_tPvRmT0_T1_T2_T3_T4_T5_mmT6_P12ihipStream_tbEUlT_E_NS1_11comp_targetILNS1_3genE2ELNS1_11target_archE906ELNS1_3gpuE6ELNS1_3repE0EEENS1_30default_config_static_selectorELNS0_4arch9wavefront6targetE1EEEvSQ_,"axG",@progbits,_ZN7rocprim17ROCPRIM_400000_NS6detail17trampoline_kernelINS0_14default_configENS1_21merge_config_selectorIyNS0_10empty_typeEEEZNS1_10merge_implIS3_N6thrust23THRUST_200600_302600_NS6detail15normal_iteratorINS9_10device_ptrIKyEEEESF_NS9_16discard_iteratorINS9_11use_defaultEEEPS5_SJ_SJ_NS9_4lessIyEEEE10hipError_tPvRmT0_T1_T2_T3_T4_T5_mmT6_P12ihipStream_tbEUlT_E_NS1_11comp_targetILNS1_3genE2ELNS1_11target_archE906ELNS1_3gpuE6ELNS1_3repE0EEENS1_30default_config_static_selectorELNS0_4arch9wavefront6targetE1EEEvSQ_,comdat
.Lfunc_end357:
	.size	_ZN7rocprim17ROCPRIM_400000_NS6detail17trampoline_kernelINS0_14default_configENS1_21merge_config_selectorIyNS0_10empty_typeEEEZNS1_10merge_implIS3_N6thrust23THRUST_200600_302600_NS6detail15normal_iteratorINS9_10device_ptrIKyEEEESF_NS9_16discard_iteratorINS9_11use_defaultEEEPS5_SJ_SJ_NS9_4lessIyEEEE10hipError_tPvRmT0_T1_T2_T3_T4_T5_mmT6_P12ihipStream_tbEUlT_E_NS1_11comp_targetILNS1_3genE2ELNS1_11target_archE906ELNS1_3gpuE6ELNS1_3repE0EEENS1_30default_config_static_selectorELNS0_4arch9wavefront6targetE1EEEvSQ_, .Lfunc_end357-_ZN7rocprim17ROCPRIM_400000_NS6detail17trampoline_kernelINS0_14default_configENS1_21merge_config_selectorIyNS0_10empty_typeEEEZNS1_10merge_implIS3_N6thrust23THRUST_200600_302600_NS6detail15normal_iteratorINS9_10device_ptrIKyEEEESF_NS9_16discard_iteratorINS9_11use_defaultEEEPS5_SJ_SJ_NS9_4lessIyEEEE10hipError_tPvRmT0_T1_T2_T3_T4_T5_mmT6_P12ihipStream_tbEUlT_E_NS1_11comp_targetILNS1_3genE2ELNS1_11target_archE906ELNS1_3gpuE6ELNS1_3repE0EEENS1_30default_config_static_selectorELNS0_4arch9wavefront6targetE1EEEvSQ_
                                        ; -- End function
	.section	.AMDGPU.csdata,"",@progbits
; Kernel info:
; codeLenInByte = 0
; NumSgprs: 4
; NumVgprs: 0
; NumAgprs: 0
; TotalNumVgprs: 0
; ScratchSize: 0
; MemoryBound: 0
; FloatMode: 240
; IeeeMode: 1
; LDSByteSize: 0 bytes/workgroup (compile time only)
; SGPRBlocks: 0
; VGPRBlocks: 0
; NumSGPRsForWavesPerEU: 4
; NumVGPRsForWavesPerEU: 1
; AccumOffset: 4
; Occupancy: 8
; WaveLimiterHint : 0
; COMPUTE_PGM_RSRC2:SCRATCH_EN: 0
; COMPUTE_PGM_RSRC2:USER_SGPR: 6
; COMPUTE_PGM_RSRC2:TRAP_HANDLER: 0
; COMPUTE_PGM_RSRC2:TGID_X_EN: 1
; COMPUTE_PGM_RSRC2:TGID_Y_EN: 0
; COMPUTE_PGM_RSRC2:TGID_Z_EN: 0
; COMPUTE_PGM_RSRC2:TIDIG_COMP_CNT: 0
; COMPUTE_PGM_RSRC3_GFX90A:ACCUM_OFFSET: 0
; COMPUTE_PGM_RSRC3_GFX90A:TG_SPLIT: 0
	.section	.text._ZN7rocprim17ROCPRIM_400000_NS6detail17trampoline_kernelINS0_14default_configENS1_21merge_config_selectorIyNS0_10empty_typeEEEZNS1_10merge_implIS3_N6thrust23THRUST_200600_302600_NS6detail15normal_iteratorINS9_10device_ptrIKyEEEESF_NS9_16discard_iteratorINS9_11use_defaultEEEPS5_SJ_SJ_NS9_4lessIyEEEE10hipError_tPvRmT0_T1_T2_T3_T4_T5_mmT6_P12ihipStream_tbEUlT_E_NS1_11comp_targetILNS1_3genE10ELNS1_11target_archE1201ELNS1_3gpuE5ELNS1_3repE0EEENS1_30default_config_static_selectorELNS0_4arch9wavefront6targetE1EEEvSQ_,"axG",@progbits,_ZN7rocprim17ROCPRIM_400000_NS6detail17trampoline_kernelINS0_14default_configENS1_21merge_config_selectorIyNS0_10empty_typeEEEZNS1_10merge_implIS3_N6thrust23THRUST_200600_302600_NS6detail15normal_iteratorINS9_10device_ptrIKyEEEESF_NS9_16discard_iteratorINS9_11use_defaultEEEPS5_SJ_SJ_NS9_4lessIyEEEE10hipError_tPvRmT0_T1_T2_T3_T4_T5_mmT6_P12ihipStream_tbEUlT_E_NS1_11comp_targetILNS1_3genE10ELNS1_11target_archE1201ELNS1_3gpuE5ELNS1_3repE0EEENS1_30default_config_static_selectorELNS0_4arch9wavefront6targetE1EEEvSQ_,comdat
	.protected	_ZN7rocprim17ROCPRIM_400000_NS6detail17trampoline_kernelINS0_14default_configENS1_21merge_config_selectorIyNS0_10empty_typeEEEZNS1_10merge_implIS3_N6thrust23THRUST_200600_302600_NS6detail15normal_iteratorINS9_10device_ptrIKyEEEESF_NS9_16discard_iteratorINS9_11use_defaultEEEPS5_SJ_SJ_NS9_4lessIyEEEE10hipError_tPvRmT0_T1_T2_T3_T4_T5_mmT6_P12ihipStream_tbEUlT_E_NS1_11comp_targetILNS1_3genE10ELNS1_11target_archE1201ELNS1_3gpuE5ELNS1_3repE0EEENS1_30default_config_static_selectorELNS0_4arch9wavefront6targetE1EEEvSQ_ ; -- Begin function _ZN7rocprim17ROCPRIM_400000_NS6detail17trampoline_kernelINS0_14default_configENS1_21merge_config_selectorIyNS0_10empty_typeEEEZNS1_10merge_implIS3_N6thrust23THRUST_200600_302600_NS6detail15normal_iteratorINS9_10device_ptrIKyEEEESF_NS9_16discard_iteratorINS9_11use_defaultEEEPS5_SJ_SJ_NS9_4lessIyEEEE10hipError_tPvRmT0_T1_T2_T3_T4_T5_mmT6_P12ihipStream_tbEUlT_E_NS1_11comp_targetILNS1_3genE10ELNS1_11target_archE1201ELNS1_3gpuE5ELNS1_3repE0EEENS1_30default_config_static_selectorELNS0_4arch9wavefront6targetE1EEEvSQ_
	.globl	_ZN7rocprim17ROCPRIM_400000_NS6detail17trampoline_kernelINS0_14default_configENS1_21merge_config_selectorIyNS0_10empty_typeEEEZNS1_10merge_implIS3_N6thrust23THRUST_200600_302600_NS6detail15normal_iteratorINS9_10device_ptrIKyEEEESF_NS9_16discard_iteratorINS9_11use_defaultEEEPS5_SJ_SJ_NS9_4lessIyEEEE10hipError_tPvRmT0_T1_T2_T3_T4_T5_mmT6_P12ihipStream_tbEUlT_E_NS1_11comp_targetILNS1_3genE10ELNS1_11target_archE1201ELNS1_3gpuE5ELNS1_3repE0EEENS1_30default_config_static_selectorELNS0_4arch9wavefront6targetE1EEEvSQ_
	.p2align	8
	.type	_ZN7rocprim17ROCPRIM_400000_NS6detail17trampoline_kernelINS0_14default_configENS1_21merge_config_selectorIyNS0_10empty_typeEEEZNS1_10merge_implIS3_N6thrust23THRUST_200600_302600_NS6detail15normal_iteratorINS9_10device_ptrIKyEEEESF_NS9_16discard_iteratorINS9_11use_defaultEEEPS5_SJ_SJ_NS9_4lessIyEEEE10hipError_tPvRmT0_T1_T2_T3_T4_T5_mmT6_P12ihipStream_tbEUlT_E_NS1_11comp_targetILNS1_3genE10ELNS1_11target_archE1201ELNS1_3gpuE5ELNS1_3repE0EEENS1_30default_config_static_selectorELNS0_4arch9wavefront6targetE1EEEvSQ_,@function
_ZN7rocprim17ROCPRIM_400000_NS6detail17trampoline_kernelINS0_14default_configENS1_21merge_config_selectorIyNS0_10empty_typeEEEZNS1_10merge_implIS3_N6thrust23THRUST_200600_302600_NS6detail15normal_iteratorINS9_10device_ptrIKyEEEESF_NS9_16discard_iteratorINS9_11use_defaultEEEPS5_SJ_SJ_NS9_4lessIyEEEE10hipError_tPvRmT0_T1_T2_T3_T4_T5_mmT6_P12ihipStream_tbEUlT_E_NS1_11comp_targetILNS1_3genE10ELNS1_11target_archE1201ELNS1_3gpuE5ELNS1_3repE0EEENS1_30default_config_static_selectorELNS0_4arch9wavefront6targetE1EEEvSQ_: ; @_ZN7rocprim17ROCPRIM_400000_NS6detail17trampoline_kernelINS0_14default_configENS1_21merge_config_selectorIyNS0_10empty_typeEEEZNS1_10merge_implIS3_N6thrust23THRUST_200600_302600_NS6detail15normal_iteratorINS9_10device_ptrIKyEEEESF_NS9_16discard_iteratorINS9_11use_defaultEEEPS5_SJ_SJ_NS9_4lessIyEEEE10hipError_tPvRmT0_T1_T2_T3_T4_T5_mmT6_P12ihipStream_tbEUlT_E_NS1_11comp_targetILNS1_3genE10ELNS1_11target_archE1201ELNS1_3gpuE5ELNS1_3repE0EEENS1_30default_config_static_selectorELNS0_4arch9wavefront6targetE1EEEvSQ_
; %bb.0:
	.section	.rodata,"a",@progbits
	.p2align	6, 0x0
	.amdhsa_kernel _ZN7rocprim17ROCPRIM_400000_NS6detail17trampoline_kernelINS0_14default_configENS1_21merge_config_selectorIyNS0_10empty_typeEEEZNS1_10merge_implIS3_N6thrust23THRUST_200600_302600_NS6detail15normal_iteratorINS9_10device_ptrIKyEEEESF_NS9_16discard_iteratorINS9_11use_defaultEEEPS5_SJ_SJ_NS9_4lessIyEEEE10hipError_tPvRmT0_T1_T2_T3_T4_T5_mmT6_P12ihipStream_tbEUlT_E_NS1_11comp_targetILNS1_3genE10ELNS1_11target_archE1201ELNS1_3gpuE5ELNS1_3repE0EEENS1_30default_config_static_selectorELNS0_4arch9wavefront6targetE1EEEvSQ_
		.amdhsa_group_segment_fixed_size 0
		.amdhsa_private_segment_fixed_size 0
		.amdhsa_kernarg_size 48
		.amdhsa_user_sgpr_count 6
		.amdhsa_user_sgpr_private_segment_buffer 1
		.amdhsa_user_sgpr_dispatch_ptr 0
		.amdhsa_user_sgpr_queue_ptr 0
		.amdhsa_user_sgpr_kernarg_segment_ptr 1
		.amdhsa_user_sgpr_dispatch_id 0
		.amdhsa_user_sgpr_flat_scratch_init 0
		.amdhsa_user_sgpr_kernarg_preload_length 0
		.amdhsa_user_sgpr_kernarg_preload_offset 0
		.amdhsa_user_sgpr_private_segment_size 0
		.amdhsa_uses_dynamic_stack 0
		.amdhsa_system_sgpr_private_segment_wavefront_offset 0
		.amdhsa_system_sgpr_workgroup_id_x 1
		.amdhsa_system_sgpr_workgroup_id_y 0
		.amdhsa_system_sgpr_workgroup_id_z 0
		.amdhsa_system_sgpr_workgroup_info 0
		.amdhsa_system_vgpr_workitem_id 0
		.amdhsa_next_free_vgpr 1
		.amdhsa_next_free_sgpr 0
		.amdhsa_accum_offset 4
		.amdhsa_reserve_vcc 0
		.amdhsa_reserve_flat_scratch 0
		.amdhsa_float_round_mode_32 0
		.amdhsa_float_round_mode_16_64 0
		.amdhsa_float_denorm_mode_32 3
		.amdhsa_float_denorm_mode_16_64 3
		.amdhsa_dx10_clamp 1
		.amdhsa_ieee_mode 1
		.amdhsa_fp16_overflow 0
		.amdhsa_tg_split 0
		.amdhsa_exception_fp_ieee_invalid_op 0
		.amdhsa_exception_fp_denorm_src 0
		.amdhsa_exception_fp_ieee_div_zero 0
		.amdhsa_exception_fp_ieee_overflow 0
		.amdhsa_exception_fp_ieee_underflow 0
		.amdhsa_exception_fp_ieee_inexact 0
		.amdhsa_exception_int_div_zero 0
	.end_amdhsa_kernel
	.section	.text._ZN7rocprim17ROCPRIM_400000_NS6detail17trampoline_kernelINS0_14default_configENS1_21merge_config_selectorIyNS0_10empty_typeEEEZNS1_10merge_implIS3_N6thrust23THRUST_200600_302600_NS6detail15normal_iteratorINS9_10device_ptrIKyEEEESF_NS9_16discard_iteratorINS9_11use_defaultEEEPS5_SJ_SJ_NS9_4lessIyEEEE10hipError_tPvRmT0_T1_T2_T3_T4_T5_mmT6_P12ihipStream_tbEUlT_E_NS1_11comp_targetILNS1_3genE10ELNS1_11target_archE1201ELNS1_3gpuE5ELNS1_3repE0EEENS1_30default_config_static_selectorELNS0_4arch9wavefront6targetE1EEEvSQ_,"axG",@progbits,_ZN7rocprim17ROCPRIM_400000_NS6detail17trampoline_kernelINS0_14default_configENS1_21merge_config_selectorIyNS0_10empty_typeEEEZNS1_10merge_implIS3_N6thrust23THRUST_200600_302600_NS6detail15normal_iteratorINS9_10device_ptrIKyEEEESF_NS9_16discard_iteratorINS9_11use_defaultEEEPS5_SJ_SJ_NS9_4lessIyEEEE10hipError_tPvRmT0_T1_T2_T3_T4_T5_mmT6_P12ihipStream_tbEUlT_E_NS1_11comp_targetILNS1_3genE10ELNS1_11target_archE1201ELNS1_3gpuE5ELNS1_3repE0EEENS1_30default_config_static_selectorELNS0_4arch9wavefront6targetE1EEEvSQ_,comdat
.Lfunc_end358:
	.size	_ZN7rocprim17ROCPRIM_400000_NS6detail17trampoline_kernelINS0_14default_configENS1_21merge_config_selectorIyNS0_10empty_typeEEEZNS1_10merge_implIS3_N6thrust23THRUST_200600_302600_NS6detail15normal_iteratorINS9_10device_ptrIKyEEEESF_NS9_16discard_iteratorINS9_11use_defaultEEEPS5_SJ_SJ_NS9_4lessIyEEEE10hipError_tPvRmT0_T1_T2_T3_T4_T5_mmT6_P12ihipStream_tbEUlT_E_NS1_11comp_targetILNS1_3genE10ELNS1_11target_archE1201ELNS1_3gpuE5ELNS1_3repE0EEENS1_30default_config_static_selectorELNS0_4arch9wavefront6targetE1EEEvSQ_, .Lfunc_end358-_ZN7rocprim17ROCPRIM_400000_NS6detail17trampoline_kernelINS0_14default_configENS1_21merge_config_selectorIyNS0_10empty_typeEEEZNS1_10merge_implIS3_N6thrust23THRUST_200600_302600_NS6detail15normal_iteratorINS9_10device_ptrIKyEEEESF_NS9_16discard_iteratorINS9_11use_defaultEEEPS5_SJ_SJ_NS9_4lessIyEEEE10hipError_tPvRmT0_T1_T2_T3_T4_T5_mmT6_P12ihipStream_tbEUlT_E_NS1_11comp_targetILNS1_3genE10ELNS1_11target_archE1201ELNS1_3gpuE5ELNS1_3repE0EEENS1_30default_config_static_selectorELNS0_4arch9wavefront6targetE1EEEvSQ_
                                        ; -- End function
	.section	.AMDGPU.csdata,"",@progbits
; Kernel info:
; codeLenInByte = 0
; NumSgprs: 4
; NumVgprs: 0
; NumAgprs: 0
; TotalNumVgprs: 0
; ScratchSize: 0
; MemoryBound: 0
; FloatMode: 240
; IeeeMode: 1
; LDSByteSize: 0 bytes/workgroup (compile time only)
; SGPRBlocks: 0
; VGPRBlocks: 0
; NumSGPRsForWavesPerEU: 4
; NumVGPRsForWavesPerEU: 1
; AccumOffset: 4
; Occupancy: 8
; WaveLimiterHint : 0
; COMPUTE_PGM_RSRC2:SCRATCH_EN: 0
; COMPUTE_PGM_RSRC2:USER_SGPR: 6
; COMPUTE_PGM_RSRC2:TRAP_HANDLER: 0
; COMPUTE_PGM_RSRC2:TGID_X_EN: 1
; COMPUTE_PGM_RSRC2:TGID_Y_EN: 0
; COMPUTE_PGM_RSRC2:TGID_Z_EN: 0
; COMPUTE_PGM_RSRC2:TIDIG_COMP_CNT: 0
; COMPUTE_PGM_RSRC3_GFX90A:ACCUM_OFFSET: 0
; COMPUTE_PGM_RSRC3_GFX90A:TG_SPLIT: 0
	.section	.text._ZN7rocprim17ROCPRIM_400000_NS6detail17trampoline_kernelINS0_14default_configENS1_21merge_config_selectorIyNS0_10empty_typeEEEZNS1_10merge_implIS3_N6thrust23THRUST_200600_302600_NS6detail15normal_iteratorINS9_10device_ptrIKyEEEESF_NS9_16discard_iteratorINS9_11use_defaultEEEPS5_SJ_SJ_NS9_4lessIyEEEE10hipError_tPvRmT0_T1_T2_T3_T4_T5_mmT6_P12ihipStream_tbEUlT_E_NS1_11comp_targetILNS1_3genE10ELNS1_11target_archE1200ELNS1_3gpuE4ELNS1_3repE0EEENS1_30default_config_static_selectorELNS0_4arch9wavefront6targetE1EEEvSQ_,"axG",@progbits,_ZN7rocprim17ROCPRIM_400000_NS6detail17trampoline_kernelINS0_14default_configENS1_21merge_config_selectorIyNS0_10empty_typeEEEZNS1_10merge_implIS3_N6thrust23THRUST_200600_302600_NS6detail15normal_iteratorINS9_10device_ptrIKyEEEESF_NS9_16discard_iteratorINS9_11use_defaultEEEPS5_SJ_SJ_NS9_4lessIyEEEE10hipError_tPvRmT0_T1_T2_T3_T4_T5_mmT6_P12ihipStream_tbEUlT_E_NS1_11comp_targetILNS1_3genE10ELNS1_11target_archE1200ELNS1_3gpuE4ELNS1_3repE0EEENS1_30default_config_static_selectorELNS0_4arch9wavefront6targetE1EEEvSQ_,comdat
	.protected	_ZN7rocprim17ROCPRIM_400000_NS6detail17trampoline_kernelINS0_14default_configENS1_21merge_config_selectorIyNS0_10empty_typeEEEZNS1_10merge_implIS3_N6thrust23THRUST_200600_302600_NS6detail15normal_iteratorINS9_10device_ptrIKyEEEESF_NS9_16discard_iteratorINS9_11use_defaultEEEPS5_SJ_SJ_NS9_4lessIyEEEE10hipError_tPvRmT0_T1_T2_T3_T4_T5_mmT6_P12ihipStream_tbEUlT_E_NS1_11comp_targetILNS1_3genE10ELNS1_11target_archE1200ELNS1_3gpuE4ELNS1_3repE0EEENS1_30default_config_static_selectorELNS0_4arch9wavefront6targetE1EEEvSQ_ ; -- Begin function _ZN7rocprim17ROCPRIM_400000_NS6detail17trampoline_kernelINS0_14default_configENS1_21merge_config_selectorIyNS0_10empty_typeEEEZNS1_10merge_implIS3_N6thrust23THRUST_200600_302600_NS6detail15normal_iteratorINS9_10device_ptrIKyEEEESF_NS9_16discard_iteratorINS9_11use_defaultEEEPS5_SJ_SJ_NS9_4lessIyEEEE10hipError_tPvRmT0_T1_T2_T3_T4_T5_mmT6_P12ihipStream_tbEUlT_E_NS1_11comp_targetILNS1_3genE10ELNS1_11target_archE1200ELNS1_3gpuE4ELNS1_3repE0EEENS1_30default_config_static_selectorELNS0_4arch9wavefront6targetE1EEEvSQ_
	.globl	_ZN7rocprim17ROCPRIM_400000_NS6detail17trampoline_kernelINS0_14default_configENS1_21merge_config_selectorIyNS0_10empty_typeEEEZNS1_10merge_implIS3_N6thrust23THRUST_200600_302600_NS6detail15normal_iteratorINS9_10device_ptrIKyEEEESF_NS9_16discard_iteratorINS9_11use_defaultEEEPS5_SJ_SJ_NS9_4lessIyEEEE10hipError_tPvRmT0_T1_T2_T3_T4_T5_mmT6_P12ihipStream_tbEUlT_E_NS1_11comp_targetILNS1_3genE10ELNS1_11target_archE1200ELNS1_3gpuE4ELNS1_3repE0EEENS1_30default_config_static_selectorELNS0_4arch9wavefront6targetE1EEEvSQ_
	.p2align	8
	.type	_ZN7rocprim17ROCPRIM_400000_NS6detail17trampoline_kernelINS0_14default_configENS1_21merge_config_selectorIyNS0_10empty_typeEEEZNS1_10merge_implIS3_N6thrust23THRUST_200600_302600_NS6detail15normal_iteratorINS9_10device_ptrIKyEEEESF_NS9_16discard_iteratorINS9_11use_defaultEEEPS5_SJ_SJ_NS9_4lessIyEEEE10hipError_tPvRmT0_T1_T2_T3_T4_T5_mmT6_P12ihipStream_tbEUlT_E_NS1_11comp_targetILNS1_3genE10ELNS1_11target_archE1200ELNS1_3gpuE4ELNS1_3repE0EEENS1_30default_config_static_selectorELNS0_4arch9wavefront6targetE1EEEvSQ_,@function
_ZN7rocprim17ROCPRIM_400000_NS6detail17trampoline_kernelINS0_14default_configENS1_21merge_config_selectorIyNS0_10empty_typeEEEZNS1_10merge_implIS3_N6thrust23THRUST_200600_302600_NS6detail15normal_iteratorINS9_10device_ptrIKyEEEESF_NS9_16discard_iteratorINS9_11use_defaultEEEPS5_SJ_SJ_NS9_4lessIyEEEE10hipError_tPvRmT0_T1_T2_T3_T4_T5_mmT6_P12ihipStream_tbEUlT_E_NS1_11comp_targetILNS1_3genE10ELNS1_11target_archE1200ELNS1_3gpuE4ELNS1_3repE0EEENS1_30default_config_static_selectorELNS0_4arch9wavefront6targetE1EEEvSQ_: ; @_ZN7rocprim17ROCPRIM_400000_NS6detail17trampoline_kernelINS0_14default_configENS1_21merge_config_selectorIyNS0_10empty_typeEEEZNS1_10merge_implIS3_N6thrust23THRUST_200600_302600_NS6detail15normal_iteratorINS9_10device_ptrIKyEEEESF_NS9_16discard_iteratorINS9_11use_defaultEEEPS5_SJ_SJ_NS9_4lessIyEEEE10hipError_tPvRmT0_T1_T2_T3_T4_T5_mmT6_P12ihipStream_tbEUlT_E_NS1_11comp_targetILNS1_3genE10ELNS1_11target_archE1200ELNS1_3gpuE4ELNS1_3repE0EEENS1_30default_config_static_selectorELNS0_4arch9wavefront6targetE1EEEvSQ_
; %bb.0:
	.section	.rodata,"a",@progbits
	.p2align	6, 0x0
	.amdhsa_kernel _ZN7rocprim17ROCPRIM_400000_NS6detail17trampoline_kernelINS0_14default_configENS1_21merge_config_selectorIyNS0_10empty_typeEEEZNS1_10merge_implIS3_N6thrust23THRUST_200600_302600_NS6detail15normal_iteratorINS9_10device_ptrIKyEEEESF_NS9_16discard_iteratorINS9_11use_defaultEEEPS5_SJ_SJ_NS9_4lessIyEEEE10hipError_tPvRmT0_T1_T2_T3_T4_T5_mmT6_P12ihipStream_tbEUlT_E_NS1_11comp_targetILNS1_3genE10ELNS1_11target_archE1200ELNS1_3gpuE4ELNS1_3repE0EEENS1_30default_config_static_selectorELNS0_4arch9wavefront6targetE1EEEvSQ_
		.amdhsa_group_segment_fixed_size 0
		.amdhsa_private_segment_fixed_size 0
		.amdhsa_kernarg_size 48
		.amdhsa_user_sgpr_count 6
		.amdhsa_user_sgpr_private_segment_buffer 1
		.amdhsa_user_sgpr_dispatch_ptr 0
		.amdhsa_user_sgpr_queue_ptr 0
		.amdhsa_user_sgpr_kernarg_segment_ptr 1
		.amdhsa_user_sgpr_dispatch_id 0
		.amdhsa_user_sgpr_flat_scratch_init 0
		.amdhsa_user_sgpr_kernarg_preload_length 0
		.amdhsa_user_sgpr_kernarg_preload_offset 0
		.amdhsa_user_sgpr_private_segment_size 0
		.amdhsa_uses_dynamic_stack 0
		.amdhsa_system_sgpr_private_segment_wavefront_offset 0
		.amdhsa_system_sgpr_workgroup_id_x 1
		.amdhsa_system_sgpr_workgroup_id_y 0
		.amdhsa_system_sgpr_workgroup_id_z 0
		.amdhsa_system_sgpr_workgroup_info 0
		.amdhsa_system_vgpr_workitem_id 0
		.amdhsa_next_free_vgpr 1
		.amdhsa_next_free_sgpr 0
		.amdhsa_accum_offset 4
		.amdhsa_reserve_vcc 0
		.amdhsa_reserve_flat_scratch 0
		.amdhsa_float_round_mode_32 0
		.amdhsa_float_round_mode_16_64 0
		.amdhsa_float_denorm_mode_32 3
		.amdhsa_float_denorm_mode_16_64 3
		.amdhsa_dx10_clamp 1
		.amdhsa_ieee_mode 1
		.amdhsa_fp16_overflow 0
		.amdhsa_tg_split 0
		.amdhsa_exception_fp_ieee_invalid_op 0
		.amdhsa_exception_fp_denorm_src 0
		.amdhsa_exception_fp_ieee_div_zero 0
		.amdhsa_exception_fp_ieee_overflow 0
		.amdhsa_exception_fp_ieee_underflow 0
		.amdhsa_exception_fp_ieee_inexact 0
		.amdhsa_exception_int_div_zero 0
	.end_amdhsa_kernel
	.section	.text._ZN7rocprim17ROCPRIM_400000_NS6detail17trampoline_kernelINS0_14default_configENS1_21merge_config_selectorIyNS0_10empty_typeEEEZNS1_10merge_implIS3_N6thrust23THRUST_200600_302600_NS6detail15normal_iteratorINS9_10device_ptrIKyEEEESF_NS9_16discard_iteratorINS9_11use_defaultEEEPS5_SJ_SJ_NS9_4lessIyEEEE10hipError_tPvRmT0_T1_T2_T3_T4_T5_mmT6_P12ihipStream_tbEUlT_E_NS1_11comp_targetILNS1_3genE10ELNS1_11target_archE1200ELNS1_3gpuE4ELNS1_3repE0EEENS1_30default_config_static_selectorELNS0_4arch9wavefront6targetE1EEEvSQ_,"axG",@progbits,_ZN7rocprim17ROCPRIM_400000_NS6detail17trampoline_kernelINS0_14default_configENS1_21merge_config_selectorIyNS0_10empty_typeEEEZNS1_10merge_implIS3_N6thrust23THRUST_200600_302600_NS6detail15normal_iteratorINS9_10device_ptrIKyEEEESF_NS9_16discard_iteratorINS9_11use_defaultEEEPS5_SJ_SJ_NS9_4lessIyEEEE10hipError_tPvRmT0_T1_T2_T3_T4_T5_mmT6_P12ihipStream_tbEUlT_E_NS1_11comp_targetILNS1_3genE10ELNS1_11target_archE1200ELNS1_3gpuE4ELNS1_3repE0EEENS1_30default_config_static_selectorELNS0_4arch9wavefront6targetE1EEEvSQ_,comdat
.Lfunc_end359:
	.size	_ZN7rocprim17ROCPRIM_400000_NS6detail17trampoline_kernelINS0_14default_configENS1_21merge_config_selectorIyNS0_10empty_typeEEEZNS1_10merge_implIS3_N6thrust23THRUST_200600_302600_NS6detail15normal_iteratorINS9_10device_ptrIKyEEEESF_NS9_16discard_iteratorINS9_11use_defaultEEEPS5_SJ_SJ_NS9_4lessIyEEEE10hipError_tPvRmT0_T1_T2_T3_T4_T5_mmT6_P12ihipStream_tbEUlT_E_NS1_11comp_targetILNS1_3genE10ELNS1_11target_archE1200ELNS1_3gpuE4ELNS1_3repE0EEENS1_30default_config_static_selectorELNS0_4arch9wavefront6targetE1EEEvSQ_, .Lfunc_end359-_ZN7rocprim17ROCPRIM_400000_NS6detail17trampoline_kernelINS0_14default_configENS1_21merge_config_selectorIyNS0_10empty_typeEEEZNS1_10merge_implIS3_N6thrust23THRUST_200600_302600_NS6detail15normal_iteratorINS9_10device_ptrIKyEEEESF_NS9_16discard_iteratorINS9_11use_defaultEEEPS5_SJ_SJ_NS9_4lessIyEEEE10hipError_tPvRmT0_T1_T2_T3_T4_T5_mmT6_P12ihipStream_tbEUlT_E_NS1_11comp_targetILNS1_3genE10ELNS1_11target_archE1200ELNS1_3gpuE4ELNS1_3repE0EEENS1_30default_config_static_selectorELNS0_4arch9wavefront6targetE1EEEvSQ_
                                        ; -- End function
	.section	.AMDGPU.csdata,"",@progbits
; Kernel info:
; codeLenInByte = 0
; NumSgprs: 4
; NumVgprs: 0
; NumAgprs: 0
; TotalNumVgprs: 0
; ScratchSize: 0
; MemoryBound: 0
; FloatMode: 240
; IeeeMode: 1
; LDSByteSize: 0 bytes/workgroup (compile time only)
; SGPRBlocks: 0
; VGPRBlocks: 0
; NumSGPRsForWavesPerEU: 4
; NumVGPRsForWavesPerEU: 1
; AccumOffset: 4
; Occupancy: 8
; WaveLimiterHint : 0
; COMPUTE_PGM_RSRC2:SCRATCH_EN: 0
; COMPUTE_PGM_RSRC2:USER_SGPR: 6
; COMPUTE_PGM_RSRC2:TRAP_HANDLER: 0
; COMPUTE_PGM_RSRC2:TGID_X_EN: 1
; COMPUTE_PGM_RSRC2:TGID_Y_EN: 0
; COMPUTE_PGM_RSRC2:TGID_Z_EN: 0
; COMPUTE_PGM_RSRC2:TIDIG_COMP_CNT: 0
; COMPUTE_PGM_RSRC3_GFX90A:ACCUM_OFFSET: 0
; COMPUTE_PGM_RSRC3_GFX90A:TG_SPLIT: 0
	.section	.text._ZN7rocprim17ROCPRIM_400000_NS6detail17trampoline_kernelINS0_14default_configENS1_21merge_config_selectorIyNS0_10empty_typeEEEZNS1_10merge_implIS3_N6thrust23THRUST_200600_302600_NS6detail15normal_iteratorINS9_10device_ptrIKyEEEESF_NS9_16discard_iteratorINS9_11use_defaultEEEPS5_SJ_SJ_NS9_4lessIyEEEE10hipError_tPvRmT0_T1_T2_T3_T4_T5_mmT6_P12ihipStream_tbEUlT_E_NS1_11comp_targetILNS1_3genE9ELNS1_11target_archE1100ELNS1_3gpuE3ELNS1_3repE0EEENS1_30default_config_static_selectorELNS0_4arch9wavefront6targetE1EEEvSQ_,"axG",@progbits,_ZN7rocprim17ROCPRIM_400000_NS6detail17trampoline_kernelINS0_14default_configENS1_21merge_config_selectorIyNS0_10empty_typeEEEZNS1_10merge_implIS3_N6thrust23THRUST_200600_302600_NS6detail15normal_iteratorINS9_10device_ptrIKyEEEESF_NS9_16discard_iteratorINS9_11use_defaultEEEPS5_SJ_SJ_NS9_4lessIyEEEE10hipError_tPvRmT0_T1_T2_T3_T4_T5_mmT6_P12ihipStream_tbEUlT_E_NS1_11comp_targetILNS1_3genE9ELNS1_11target_archE1100ELNS1_3gpuE3ELNS1_3repE0EEENS1_30default_config_static_selectorELNS0_4arch9wavefront6targetE1EEEvSQ_,comdat
	.protected	_ZN7rocprim17ROCPRIM_400000_NS6detail17trampoline_kernelINS0_14default_configENS1_21merge_config_selectorIyNS0_10empty_typeEEEZNS1_10merge_implIS3_N6thrust23THRUST_200600_302600_NS6detail15normal_iteratorINS9_10device_ptrIKyEEEESF_NS9_16discard_iteratorINS9_11use_defaultEEEPS5_SJ_SJ_NS9_4lessIyEEEE10hipError_tPvRmT0_T1_T2_T3_T4_T5_mmT6_P12ihipStream_tbEUlT_E_NS1_11comp_targetILNS1_3genE9ELNS1_11target_archE1100ELNS1_3gpuE3ELNS1_3repE0EEENS1_30default_config_static_selectorELNS0_4arch9wavefront6targetE1EEEvSQ_ ; -- Begin function _ZN7rocprim17ROCPRIM_400000_NS6detail17trampoline_kernelINS0_14default_configENS1_21merge_config_selectorIyNS0_10empty_typeEEEZNS1_10merge_implIS3_N6thrust23THRUST_200600_302600_NS6detail15normal_iteratorINS9_10device_ptrIKyEEEESF_NS9_16discard_iteratorINS9_11use_defaultEEEPS5_SJ_SJ_NS9_4lessIyEEEE10hipError_tPvRmT0_T1_T2_T3_T4_T5_mmT6_P12ihipStream_tbEUlT_E_NS1_11comp_targetILNS1_3genE9ELNS1_11target_archE1100ELNS1_3gpuE3ELNS1_3repE0EEENS1_30default_config_static_selectorELNS0_4arch9wavefront6targetE1EEEvSQ_
	.globl	_ZN7rocprim17ROCPRIM_400000_NS6detail17trampoline_kernelINS0_14default_configENS1_21merge_config_selectorIyNS0_10empty_typeEEEZNS1_10merge_implIS3_N6thrust23THRUST_200600_302600_NS6detail15normal_iteratorINS9_10device_ptrIKyEEEESF_NS9_16discard_iteratorINS9_11use_defaultEEEPS5_SJ_SJ_NS9_4lessIyEEEE10hipError_tPvRmT0_T1_T2_T3_T4_T5_mmT6_P12ihipStream_tbEUlT_E_NS1_11comp_targetILNS1_3genE9ELNS1_11target_archE1100ELNS1_3gpuE3ELNS1_3repE0EEENS1_30default_config_static_selectorELNS0_4arch9wavefront6targetE1EEEvSQ_
	.p2align	8
	.type	_ZN7rocprim17ROCPRIM_400000_NS6detail17trampoline_kernelINS0_14default_configENS1_21merge_config_selectorIyNS0_10empty_typeEEEZNS1_10merge_implIS3_N6thrust23THRUST_200600_302600_NS6detail15normal_iteratorINS9_10device_ptrIKyEEEESF_NS9_16discard_iteratorINS9_11use_defaultEEEPS5_SJ_SJ_NS9_4lessIyEEEE10hipError_tPvRmT0_T1_T2_T3_T4_T5_mmT6_P12ihipStream_tbEUlT_E_NS1_11comp_targetILNS1_3genE9ELNS1_11target_archE1100ELNS1_3gpuE3ELNS1_3repE0EEENS1_30default_config_static_selectorELNS0_4arch9wavefront6targetE1EEEvSQ_,@function
_ZN7rocprim17ROCPRIM_400000_NS6detail17trampoline_kernelINS0_14default_configENS1_21merge_config_selectorIyNS0_10empty_typeEEEZNS1_10merge_implIS3_N6thrust23THRUST_200600_302600_NS6detail15normal_iteratorINS9_10device_ptrIKyEEEESF_NS9_16discard_iteratorINS9_11use_defaultEEEPS5_SJ_SJ_NS9_4lessIyEEEE10hipError_tPvRmT0_T1_T2_T3_T4_T5_mmT6_P12ihipStream_tbEUlT_E_NS1_11comp_targetILNS1_3genE9ELNS1_11target_archE1100ELNS1_3gpuE3ELNS1_3repE0EEENS1_30default_config_static_selectorELNS0_4arch9wavefront6targetE1EEEvSQ_: ; @_ZN7rocprim17ROCPRIM_400000_NS6detail17trampoline_kernelINS0_14default_configENS1_21merge_config_selectorIyNS0_10empty_typeEEEZNS1_10merge_implIS3_N6thrust23THRUST_200600_302600_NS6detail15normal_iteratorINS9_10device_ptrIKyEEEESF_NS9_16discard_iteratorINS9_11use_defaultEEEPS5_SJ_SJ_NS9_4lessIyEEEE10hipError_tPvRmT0_T1_T2_T3_T4_T5_mmT6_P12ihipStream_tbEUlT_E_NS1_11comp_targetILNS1_3genE9ELNS1_11target_archE1100ELNS1_3gpuE3ELNS1_3repE0EEENS1_30default_config_static_selectorELNS0_4arch9wavefront6targetE1EEEvSQ_
; %bb.0:
	.section	.rodata,"a",@progbits
	.p2align	6, 0x0
	.amdhsa_kernel _ZN7rocprim17ROCPRIM_400000_NS6detail17trampoline_kernelINS0_14default_configENS1_21merge_config_selectorIyNS0_10empty_typeEEEZNS1_10merge_implIS3_N6thrust23THRUST_200600_302600_NS6detail15normal_iteratorINS9_10device_ptrIKyEEEESF_NS9_16discard_iteratorINS9_11use_defaultEEEPS5_SJ_SJ_NS9_4lessIyEEEE10hipError_tPvRmT0_T1_T2_T3_T4_T5_mmT6_P12ihipStream_tbEUlT_E_NS1_11comp_targetILNS1_3genE9ELNS1_11target_archE1100ELNS1_3gpuE3ELNS1_3repE0EEENS1_30default_config_static_selectorELNS0_4arch9wavefront6targetE1EEEvSQ_
		.amdhsa_group_segment_fixed_size 0
		.amdhsa_private_segment_fixed_size 0
		.amdhsa_kernarg_size 48
		.amdhsa_user_sgpr_count 6
		.amdhsa_user_sgpr_private_segment_buffer 1
		.amdhsa_user_sgpr_dispatch_ptr 0
		.amdhsa_user_sgpr_queue_ptr 0
		.amdhsa_user_sgpr_kernarg_segment_ptr 1
		.amdhsa_user_sgpr_dispatch_id 0
		.amdhsa_user_sgpr_flat_scratch_init 0
		.amdhsa_user_sgpr_kernarg_preload_length 0
		.amdhsa_user_sgpr_kernarg_preload_offset 0
		.amdhsa_user_sgpr_private_segment_size 0
		.amdhsa_uses_dynamic_stack 0
		.amdhsa_system_sgpr_private_segment_wavefront_offset 0
		.amdhsa_system_sgpr_workgroup_id_x 1
		.amdhsa_system_sgpr_workgroup_id_y 0
		.amdhsa_system_sgpr_workgroup_id_z 0
		.amdhsa_system_sgpr_workgroup_info 0
		.amdhsa_system_vgpr_workitem_id 0
		.amdhsa_next_free_vgpr 1
		.amdhsa_next_free_sgpr 0
		.amdhsa_accum_offset 4
		.amdhsa_reserve_vcc 0
		.amdhsa_reserve_flat_scratch 0
		.amdhsa_float_round_mode_32 0
		.amdhsa_float_round_mode_16_64 0
		.amdhsa_float_denorm_mode_32 3
		.amdhsa_float_denorm_mode_16_64 3
		.amdhsa_dx10_clamp 1
		.amdhsa_ieee_mode 1
		.amdhsa_fp16_overflow 0
		.amdhsa_tg_split 0
		.amdhsa_exception_fp_ieee_invalid_op 0
		.amdhsa_exception_fp_denorm_src 0
		.amdhsa_exception_fp_ieee_div_zero 0
		.amdhsa_exception_fp_ieee_overflow 0
		.amdhsa_exception_fp_ieee_underflow 0
		.amdhsa_exception_fp_ieee_inexact 0
		.amdhsa_exception_int_div_zero 0
	.end_amdhsa_kernel
	.section	.text._ZN7rocprim17ROCPRIM_400000_NS6detail17trampoline_kernelINS0_14default_configENS1_21merge_config_selectorIyNS0_10empty_typeEEEZNS1_10merge_implIS3_N6thrust23THRUST_200600_302600_NS6detail15normal_iteratorINS9_10device_ptrIKyEEEESF_NS9_16discard_iteratorINS9_11use_defaultEEEPS5_SJ_SJ_NS9_4lessIyEEEE10hipError_tPvRmT0_T1_T2_T3_T4_T5_mmT6_P12ihipStream_tbEUlT_E_NS1_11comp_targetILNS1_3genE9ELNS1_11target_archE1100ELNS1_3gpuE3ELNS1_3repE0EEENS1_30default_config_static_selectorELNS0_4arch9wavefront6targetE1EEEvSQ_,"axG",@progbits,_ZN7rocprim17ROCPRIM_400000_NS6detail17trampoline_kernelINS0_14default_configENS1_21merge_config_selectorIyNS0_10empty_typeEEEZNS1_10merge_implIS3_N6thrust23THRUST_200600_302600_NS6detail15normal_iteratorINS9_10device_ptrIKyEEEESF_NS9_16discard_iteratorINS9_11use_defaultEEEPS5_SJ_SJ_NS9_4lessIyEEEE10hipError_tPvRmT0_T1_T2_T3_T4_T5_mmT6_P12ihipStream_tbEUlT_E_NS1_11comp_targetILNS1_3genE9ELNS1_11target_archE1100ELNS1_3gpuE3ELNS1_3repE0EEENS1_30default_config_static_selectorELNS0_4arch9wavefront6targetE1EEEvSQ_,comdat
.Lfunc_end360:
	.size	_ZN7rocprim17ROCPRIM_400000_NS6detail17trampoline_kernelINS0_14default_configENS1_21merge_config_selectorIyNS0_10empty_typeEEEZNS1_10merge_implIS3_N6thrust23THRUST_200600_302600_NS6detail15normal_iteratorINS9_10device_ptrIKyEEEESF_NS9_16discard_iteratorINS9_11use_defaultEEEPS5_SJ_SJ_NS9_4lessIyEEEE10hipError_tPvRmT0_T1_T2_T3_T4_T5_mmT6_P12ihipStream_tbEUlT_E_NS1_11comp_targetILNS1_3genE9ELNS1_11target_archE1100ELNS1_3gpuE3ELNS1_3repE0EEENS1_30default_config_static_selectorELNS0_4arch9wavefront6targetE1EEEvSQ_, .Lfunc_end360-_ZN7rocprim17ROCPRIM_400000_NS6detail17trampoline_kernelINS0_14default_configENS1_21merge_config_selectorIyNS0_10empty_typeEEEZNS1_10merge_implIS3_N6thrust23THRUST_200600_302600_NS6detail15normal_iteratorINS9_10device_ptrIKyEEEESF_NS9_16discard_iteratorINS9_11use_defaultEEEPS5_SJ_SJ_NS9_4lessIyEEEE10hipError_tPvRmT0_T1_T2_T3_T4_T5_mmT6_P12ihipStream_tbEUlT_E_NS1_11comp_targetILNS1_3genE9ELNS1_11target_archE1100ELNS1_3gpuE3ELNS1_3repE0EEENS1_30default_config_static_selectorELNS0_4arch9wavefront6targetE1EEEvSQ_
                                        ; -- End function
	.section	.AMDGPU.csdata,"",@progbits
; Kernel info:
; codeLenInByte = 0
; NumSgprs: 4
; NumVgprs: 0
; NumAgprs: 0
; TotalNumVgprs: 0
; ScratchSize: 0
; MemoryBound: 0
; FloatMode: 240
; IeeeMode: 1
; LDSByteSize: 0 bytes/workgroup (compile time only)
; SGPRBlocks: 0
; VGPRBlocks: 0
; NumSGPRsForWavesPerEU: 4
; NumVGPRsForWavesPerEU: 1
; AccumOffset: 4
; Occupancy: 8
; WaveLimiterHint : 0
; COMPUTE_PGM_RSRC2:SCRATCH_EN: 0
; COMPUTE_PGM_RSRC2:USER_SGPR: 6
; COMPUTE_PGM_RSRC2:TRAP_HANDLER: 0
; COMPUTE_PGM_RSRC2:TGID_X_EN: 1
; COMPUTE_PGM_RSRC2:TGID_Y_EN: 0
; COMPUTE_PGM_RSRC2:TGID_Z_EN: 0
; COMPUTE_PGM_RSRC2:TIDIG_COMP_CNT: 0
; COMPUTE_PGM_RSRC3_GFX90A:ACCUM_OFFSET: 0
; COMPUTE_PGM_RSRC3_GFX90A:TG_SPLIT: 0
	.section	.text._ZN7rocprim17ROCPRIM_400000_NS6detail17trampoline_kernelINS0_14default_configENS1_21merge_config_selectorIyNS0_10empty_typeEEEZNS1_10merge_implIS3_N6thrust23THRUST_200600_302600_NS6detail15normal_iteratorINS9_10device_ptrIKyEEEESF_NS9_16discard_iteratorINS9_11use_defaultEEEPS5_SJ_SJ_NS9_4lessIyEEEE10hipError_tPvRmT0_T1_T2_T3_T4_T5_mmT6_P12ihipStream_tbEUlT_E_NS1_11comp_targetILNS1_3genE8ELNS1_11target_archE1030ELNS1_3gpuE2ELNS1_3repE0EEENS1_30default_config_static_selectorELNS0_4arch9wavefront6targetE1EEEvSQ_,"axG",@progbits,_ZN7rocprim17ROCPRIM_400000_NS6detail17trampoline_kernelINS0_14default_configENS1_21merge_config_selectorIyNS0_10empty_typeEEEZNS1_10merge_implIS3_N6thrust23THRUST_200600_302600_NS6detail15normal_iteratorINS9_10device_ptrIKyEEEESF_NS9_16discard_iteratorINS9_11use_defaultEEEPS5_SJ_SJ_NS9_4lessIyEEEE10hipError_tPvRmT0_T1_T2_T3_T4_T5_mmT6_P12ihipStream_tbEUlT_E_NS1_11comp_targetILNS1_3genE8ELNS1_11target_archE1030ELNS1_3gpuE2ELNS1_3repE0EEENS1_30default_config_static_selectorELNS0_4arch9wavefront6targetE1EEEvSQ_,comdat
	.protected	_ZN7rocprim17ROCPRIM_400000_NS6detail17trampoline_kernelINS0_14default_configENS1_21merge_config_selectorIyNS0_10empty_typeEEEZNS1_10merge_implIS3_N6thrust23THRUST_200600_302600_NS6detail15normal_iteratorINS9_10device_ptrIKyEEEESF_NS9_16discard_iteratorINS9_11use_defaultEEEPS5_SJ_SJ_NS9_4lessIyEEEE10hipError_tPvRmT0_T1_T2_T3_T4_T5_mmT6_P12ihipStream_tbEUlT_E_NS1_11comp_targetILNS1_3genE8ELNS1_11target_archE1030ELNS1_3gpuE2ELNS1_3repE0EEENS1_30default_config_static_selectorELNS0_4arch9wavefront6targetE1EEEvSQ_ ; -- Begin function _ZN7rocprim17ROCPRIM_400000_NS6detail17trampoline_kernelINS0_14default_configENS1_21merge_config_selectorIyNS0_10empty_typeEEEZNS1_10merge_implIS3_N6thrust23THRUST_200600_302600_NS6detail15normal_iteratorINS9_10device_ptrIKyEEEESF_NS9_16discard_iteratorINS9_11use_defaultEEEPS5_SJ_SJ_NS9_4lessIyEEEE10hipError_tPvRmT0_T1_T2_T3_T4_T5_mmT6_P12ihipStream_tbEUlT_E_NS1_11comp_targetILNS1_3genE8ELNS1_11target_archE1030ELNS1_3gpuE2ELNS1_3repE0EEENS1_30default_config_static_selectorELNS0_4arch9wavefront6targetE1EEEvSQ_
	.globl	_ZN7rocprim17ROCPRIM_400000_NS6detail17trampoline_kernelINS0_14default_configENS1_21merge_config_selectorIyNS0_10empty_typeEEEZNS1_10merge_implIS3_N6thrust23THRUST_200600_302600_NS6detail15normal_iteratorINS9_10device_ptrIKyEEEESF_NS9_16discard_iteratorINS9_11use_defaultEEEPS5_SJ_SJ_NS9_4lessIyEEEE10hipError_tPvRmT0_T1_T2_T3_T4_T5_mmT6_P12ihipStream_tbEUlT_E_NS1_11comp_targetILNS1_3genE8ELNS1_11target_archE1030ELNS1_3gpuE2ELNS1_3repE0EEENS1_30default_config_static_selectorELNS0_4arch9wavefront6targetE1EEEvSQ_
	.p2align	8
	.type	_ZN7rocprim17ROCPRIM_400000_NS6detail17trampoline_kernelINS0_14default_configENS1_21merge_config_selectorIyNS0_10empty_typeEEEZNS1_10merge_implIS3_N6thrust23THRUST_200600_302600_NS6detail15normal_iteratorINS9_10device_ptrIKyEEEESF_NS9_16discard_iteratorINS9_11use_defaultEEEPS5_SJ_SJ_NS9_4lessIyEEEE10hipError_tPvRmT0_T1_T2_T3_T4_T5_mmT6_P12ihipStream_tbEUlT_E_NS1_11comp_targetILNS1_3genE8ELNS1_11target_archE1030ELNS1_3gpuE2ELNS1_3repE0EEENS1_30default_config_static_selectorELNS0_4arch9wavefront6targetE1EEEvSQ_,@function
_ZN7rocprim17ROCPRIM_400000_NS6detail17trampoline_kernelINS0_14default_configENS1_21merge_config_selectorIyNS0_10empty_typeEEEZNS1_10merge_implIS3_N6thrust23THRUST_200600_302600_NS6detail15normal_iteratorINS9_10device_ptrIKyEEEESF_NS9_16discard_iteratorINS9_11use_defaultEEEPS5_SJ_SJ_NS9_4lessIyEEEE10hipError_tPvRmT0_T1_T2_T3_T4_T5_mmT6_P12ihipStream_tbEUlT_E_NS1_11comp_targetILNS1_3genE8ELNS1_11target_archE1030ELNS1_3gpuE2ELNS1_3repE0EEENS1_30default_config_static_selectorELNS0_4arch9wavefront6targetE1EEEvSQ_: ; @_ZN7rocprim17ROCPRIM_400000_NS6detail17trampoline_kernelINS0_14default_configENS1_21merge_config_selectorIyNS0_10empty_typeEEEZNS1_10merge_implIS3_N6thrust23THRUST_200600_302600_NS6detail15normal_iteratorINS9_10device_ptrIKyEEEESF_NS9_16discard_iteratorINS9_11use_defaultEEEPS5_SJ_SJ_NS9_4lessIyEEEE10hipError_tPvRmT0_T1_T2_T3_T4_T5_mmT6_P12ihipStream_tbEUlT_E_NS1_11comp_targetILNS1_3genE8ELNS1_11target_archE1030ELNS1_3gpuE2ELNS1_3repE0EEENS1_30default_config_static_selectorELNS0_4arch9wavefront6targetE1EEEvSQ_
; %bb.0:
	.section	.rodata,"a",@progbits
	.p2align	6, 0x0
	.amdhsa_kernel _ZN7rocprim17ROCPRIM_400000_NS6detail17trampoline_kernelINS0_14default_configENS1_21merge_config_selectorIyNS0_10empty_typeEEEZNS1_10merge_implIS3_N6thrust23THRUST_200600_302600_NS6detail15normal_iteratorINS9_10device_ptrIKyEEEESF_NS9_16discard_iteratorINS9_11use_defaultEEEPS5_SJ_SJ_NS9_4lessIyEEEE10hipError_tPvRmT0_T1_T2_T3_T4_T5_mmT6_P12ihipStream_tbEUlT_E_NS1_11comp_targetILNS1_3genE8ELNS1_11target_archE1030ELNS1_3gpuE2ELNS1_3repE0EEENS1_30default_config_static_selectorELNS0_4arch9wavefront6targetE1EEEvSQ_
		.amdhsa_group_segment_fixed_size 0
		.amdhsa_private_segment_fixed_size 0
		.amdhsa_kernarg_size 48
		.amdhsa_user_sgpr_count 6
		.amdhsa_user_sgpr_private_segment_buffer 1
		.amdhsa_user_sgpr_dispatch_ptr 0
		.amdhsa_user_sgpr_queue_ptr 0
		.amdhsa_user_sgpr_kernarg_segment_ptr 1
		.amdhsa_user_sgpr_dispatch_id 0
		.amdhsa_user_sgpr_flat_scratch_init 0
		.amdhsa_user_sgpr_kernarg_preload_length 0
		.amdhsa_user_sgpr_kernarg_preload_offset 0
		.amdhsa_user_sgpr_private_segment_size 0
		.amdhsa_uses_dynamic_stack 0
		.amdhsa_system_sgpr_private_segment_wavefront_offset 0
		.amdhsa_system_sgpr_workgroup_id_x 1
		.amdhsa_system_sgpr_workgroup_id_y 0
		.amdhsa_system_sgpr_workgroup_id_z 0
		.amdhsa_system_sgpr_workgroup_info 0
		.amdhsa_system_vgpr_workitem_id 0
		.amdhsa_next_free_vgpr 1
		.amdhsa_next_free_sgpr 0
		.amdhsa_accum_offset 4
		.amdhsa_reserve_vcc 0
		.amdhsa_reserve_flat_scratch 0
		.amdhsa_float_round_mode_32 0
		.amdhsa_float_round_mode_16_64 0
		.amdhsa_float_denorm_mode_32 3
		.amdhsa_float_denorm_mode_16_64 3
		.amdhsa_dx10_clamp 1
		.amdhsa_ieee_mode 1
		.amdhsa_fp16_overflow 0
		.amdhsa_tg_split 0
		.amdhsa_exception_fp_ieee_invalid_op 0
		.amdhsa_exception_fp_denorm_src 0
		.amdhsa_exception_fp_ieee_div_zero 0
		.amdhsa_exception_fp_ieee_overflow 0
		.amdhsa_exception_fp_ieee_underflow 0
		.amdhsa_exception_fp_ieee_inexact 0
		.amdhsa_exception_int_div_zero 0
	.end_amdhsa_kernel
	.section	.text._ZN7rocprim17ROCPRIM_400000_NS6detail17trampoline_kernelINS0_14default_configENS1_21merge_config_selectorIyNS0_10empty_typeEEEZNS1_10merge_implIS3_N6thrust23THRUST_200600_302600_NS6detail15normal_iteratorINS9_10device_ptrIKyEEEESF_NS9_16discard_iteratorINS9_11use_defaultEEEPS5_SJ_SJ_NS9_4lessIyEEEE10hipError_tPvRmT0_T1_T2_T3_T4_T5_mmT6_P12ihipStream_tbEUlT_E_NS1_11comp_targetILNS1_3genE8ELNS1_11target_archE1030ELNS1_3gpuE2ELNS1_3repE0EEENS1_30default_config_static_selectorELNS0_4arch9wavefront6targetE1EEEvSQ_,"axG",@progbits,_ZN7rocprim17ROCPRIM_400000_NS6detail17trampoline_kernelINS0_14default_configENS1_21merge_config_selectorIyNS0_10empty_typeEEEZNS1_10merge_implIS3_N6thrust23THRUST_200600_302600_NS6detail15normal_iteratorINS9_10device_ptrIKyEEEESF_NS9_16discard_iteratorINS9_11use_defaultEEEPS5_SJ_SJ_NS9_4lessIyEEEE10hipError_tPvRmT0_T1_T2_T3_T4_T5_mmT6_P12ihipStream_tbEUlT_E_NS1_11comp_targetILNS1_3genE8ELNS1_11target_archE1030ELNS1_3gpuE2ELNS1_3repE0EEENS1_30default_config_static_selectorELNS0_4arch9wavefront6targetE1EEEvSQ_,comdat
.Lfunc_end361:
	.size	_ZN7rocprim17ROCPRIM_400000_NS6detail17trampoline_kernelINS0_14default_configENS1_21merge_config_selectorIyNS0_10empty_typeEEEZNS1_10merge_implIS3_N6thrust23THRUST_200600_302600_NS6detail15normal_iteratorINS9_10device_ptrIKyEEEESF_NS9_16discard_iteratorINS9_11use_defaultEEEPS5_SJ_SJ_NS9_4lessIyEEEE10hipError_tPvRmT0_T1_T2_T3_T4_T5_mmT6_P12ihipStream_tbEUlT_E_NS1_11comp_targetILNS1_3genE8ELNS1_11target_archE1030ELNS1_3gpuE2ELNS1_3repE0EEENS1_30default_config_static_selectorELNS0_4arch9wavefront6targetE1EEEvSQ_, .Lfunc_end361-_ZN7rocprim17ROCPRIM_400000_NS6detail17trampoline_kernelINS0_14default_configENS1_21merge_config_selectorIyNS0_10empty_typeEEEZNS1_10merge_implIS3_N6thrust23THRUST_200600_302600_NS6detail15normal_iteratorINS9_10device_ptrIKyEEEESF_NS9_16discard_iteratorINS9_11use_defaultEEEPS5_SJ_SJ_NS9_4lessIyEEEE10hipError_tPvRmT0_T1_T2_T3_T4_T5_mmT6_P12ihipStream_tbEUlT_E_NS1_11comp_targetILNS1_3genE8ELNS1_11target_archE1030ELNS1_3gpuE2ELNS1_3repE0EEENS1_30default_config_static_selectorELNS0_4arch9wavefront6targetE1EEEvSQ_
                                        ; -- End function
	.section	.AMDGPU.csdata,"",@progbits
; Kernel info:
; codeLenInByte = 0
; NumSgprs: 4
; NumVgprs: 0
; NumAgprs: 0
; TotalNumVgprs: 0
; ScratchSize: 0
; MemoryBound: 0
; FloatMode: 240
; IeeeMode: 1
; LDSByteSize: 0 bytes/workgroup (compile time only)
; SGPRBlocks: 0
; VGPRBlocks: 0
; NumSGPRsForWavesPerEU: 4
; NumVGPRsForWavesPerEU: 1
; AccumOffset: 4
; Occupancy: 8
; WaveLimiterHint : 0
; COMPUTE_PGM_RSRC2:SCRATCH_EN: 0
; COMPUTE_PGM_RSRC2:USER_SGPR: 6
; COMPUTE_PGM_RSRC2:TRAP_HANDLER: 0
; COMPUTE_PGM_RSRC2:TGID_X_EN: 1
; COMPUTE_PGM_RSRC2:TGID_Y_EN: 0
; COMPUTE_PGM_RSRC2:TGID_Z_EN: 0
; COMPUTE_PGM_RSRC2:TIDIG_COMP_CNT: 0
; COMPUTE_PGM_RSRC3_GFX90A:ACCUM_OFFSET: 0
; COMPUTE_PGM_RSRC3_GFX90A:TG_SPLIT: 0
	.section	.text._ZN7rocprim17ROCPRIM_400000_NS6detail17trampoline_kernelINS0_14default_configENS1_21merge_config_selectorIyNS0_10empty_typeEEEZNS1_10merge_implIS3_N6thrust23THRUST_200600_302600_NS6detail15normal_iteratorINS9_10device_ptrIKyEEEESF_NS9_16discard_iteratorINS9_11use_defaultEEEPS5_SJ_SJ_NS9_4lessIyEEEE10hipError_tPvRmT0_T1_T2_T3_T4_T5_mmT6_P12ihipStream_tbEUlT_E0_NS1_11comp_targetILNS1_3genE0ELNS1_11target_archE4294967295ELNS1_3gpuE0ELNS1_3repE0EEENS1_30default_config_static_selectorELNS0_4arch9wavefront6targetE1EEEvSQ_,"axG",@progbits,_ZN7rocprim17ROCPRIM_400000_NS6detail17trampoline_kernelINS0_14default_configENS1_21merge_config_selectorIyNS0_10empty_typeEEEZNS1_10merge_implIS3_N6thrust23THRUST_200600_302600_NS6detail15normal_iteratorINS9_10device_ptrIKyEEEESF_NS9_16discard_iteratorINS9_11use_defaultEEEPS5_SJ_SJ_NS9_4lessIyEEEE10hipError_tPvRmT0_T1_T2_T3_T4_T5_mmT6_P12ihipStream_tbEUlT_E0_NS1_11comp_targetILNS1_3genE0ELNS1_11target_archE4294967295ELNS1_3gpuE0ELNS1_3repE0EEENS1_30default_config_static_selectorELNS0_4arch9wavefront6targetE1EEEvSQ_,comdat
	.protected	_ZN7rocprim17ROCPRIM_400000_NS6detail17trampoline_kernelINS0_14default_configENS1_21merge_config_selectorIyNS0_10empty_typeEEEZNS1_10merge_implIS3_N6thrust23THRUST_200600_302600_NS6detail15normal_iteratorINS9_10device_ptrIKyEEEESF_NS9_16discard_iteratorINS9_11use_defaultEEEPS5_SJ_SJ_NS9_4lessIyEEEE10hipError_tPvRmT0_T1_T2_T3_T4_T5_mmT6_P12ihipStream_tbEUlT_E0_NS1_11comp_targetILNS1_3genE0ELNS1_11target_archE4294967295ELNS1_3gpuE0ELNS1_3repE0EEENS1_30default_config_static_selectorELNS0_4arch9wavefront6targetE1EEEvSQ_ ; -- Begin function _ZN7rocprim17ROCPRIM_400000_NS6detail17trampoline_kernelINS0_14default_configENS1_21merge_config_selectorIyNS0_10empty_typeEEEZNS1_10merge_implIS3_N6thrust23THRUST_200600_302600_NS6detail15normal_iteratorINS9_10device_ptrIKyEEEESF_NS9_16discard_iteratorINS9_11use_defaultEEEPS5_SJ_SJ_NS9_4lessIyEEEE10hipError_tPvRmT0_T1_T2_T3_T4_T5_mmT6_P12ihipStream_tbEUlT_E0_NS1_11comp_targetILNS1_3genE0ELNS1_11target_archE4294967295ELNS1_3gpuE0ELNS1_3repE0EEENS1_30default_config_static_selectorELNS0_4arch9wavefront6targetE1EEEvSQ_
	.globl	_ZN7rocprim17ROCPRIM_400000_NS6detail17trampoline_kernelINS0_14default_configENS1_21merge_config_selectorIyNS0_10empty_typeEEEZNS1_10merge_implIS3_N6thrust23THRUST_200600_302600_NS6detail15normal_iteratorINS9_10device_ptrIKyEEEESF_NS9_16discard_iteratorINS9_11use_defaultEEEPS5_SJ_SJ_NS9_4lessIyEEEE10hipError_tPvRmT0_T1_T2_T3_T4_T5_mmT6_P12ihipStream_tbEUlT_E0_NS1_11comp_targetILNS1_3genE0ELNS1_11target_archE4294967295ELNS1_3gpuE0ELNS1_3repE0EEENS1_30default_config_static_selectorELNS0_4arch9wavefront6targetE1EEEvSQ_
	.p2align	8
	.type	_ZN7rocprim17ROCPRIM_400000_NS6detail17trampoline_kernelINS0_14default_configENS1_21merge_config_selectorIyNS0_10empty_typeEEEZNS1_10merge_implIS3_N6thrust23THRUST_200600_302600_NS6detail15normal_iteratorINS9_10device_ptrIKyEEEESF_NS9_16discard_iteratorINS9_11use_defaultEEEPS5_SJ_SJ_NS9_4lessIyEEEE10hipError_tPvRmT0_T1_T2_T3_T4_T5_mmT6_P12ihipStream_tbEUlT_E0_NS1_11comp_targetILNS1_3genE0ELNS1_11target_archE4294967295ELNS1_3gpuE0ELNS1_3repE0EEENS1_30default_config_static_selectorELNS0_4arch9wavefront6targetE1EEEvSQ_,@function
_ZN7rocprim17ROCPRIM_400000_NS6detail17trampoline_kernelINS0_14default_configENS1_21merge_config_selectorIyNS0_10empty_typeEEEZNS1_10merge_implIS3_N6thrust23THRUST_200600_302600_NS6detail15normal_iteratorINS9_10device_ptrIKyEEEESF_NS9_16discard_iteratorINS9_11use_defaultEEEPS5_SJ_SJ_NS9_4lessIyEEEE10hipError_tPvRmT0_T1_T2_T3_T4_T5_mmT6_P12ihipStream_tbEUlT_E0_NS1_11comp_targetILNS1_3genE0ELNS1_11target_archE4294967295ELNS1_3gpuE0ELNS1_3repE0EEENS1_30default_config_static_selectorELNS0_4arch9wavefront6targetE1EEEvSQ_: ; @_ZN7rocprim17ROCPRIM_400000_NS6detail17trampoline_kernelINS0_14default_configENS1_21merge_config_selectorIyNS0_10empty_typeEEEZNS1_10merge_implIS3_N6thrust23THRUST_200600_302600_NS6detail15normal_iteratorINS9_10device_ptrIKyEEEESF_NS9_16discard_iteratorINS9_11use_defaultEEEPS5_SJ_SJ_NS9_4lessIyEEEE10hipError_tPvRmT0_T1_T2_T3_T4_T5_mmT6_P12ihipStream_tbEUlT_E0_NS1_11comp_targetILNS1_3genE0ELNS1_11target_archE4294967295ELNS1_3gpuE0ELNS1_3repE0EEENS1_30default_config_static_selectorELNS0_4arch9wavefront6targetE1EEEvSQ_
; %bb.0:
	.section	.rodata,"a",@progbits
	.p2align	6, 0x0
	.amdhsa_kernel _ZN7rocprim17ROCPRIM_400000_NS6detail17trampoline_kernelINS0_14default_configENS1_21merge_config_selectorIyNS0_10empty_typeEEEZNS1_10merge_implIS3_N6thrust23THRUST_200600_302600_NS6detail15normal_iteratorINS9_10device_ptrIKyEEEESF_NS9_16discard_iteratorINS9_11use_defaultEEEPS5_SJ_SJ_NS9_4lessIyEEEE10hipError_tPvRmT0_T1_T2_T3_T4_T5_mmT6_P12ihipStream_tbEUlT_E0_NS1_11comp_targetILNS1_3genE0ELNS1_11target_archE4294967295ELNS1_3gpuE0ELNS1_3repE0EEENS1_30default_config_static_selectorELNS0_4arch9wavefront6targetE1EEEvSQ_
		.amdhsa_group_segment_fixed_size 0
		.amdhsa_private_segment_fixed_size 0
		.amdhsa_kernarg_size 96
		.amdhsa_user_sgpr_count 6
		.amdhsa_user_sgpr_private_segment_buffer 1
		.amdhsa_user_sgpr_dispatch_ptr 0
		.amdhsa_user_sgpr_queue_ptr 0
		.amdhsa_user_sgpr_kernarg_segment_ptr 1
		.amdhsa_user_sgpr_dispatch_id 0
		.amdhsa_user_sgpr_flat_scratch_init 0
		.amdhsa_user_sgpr_kernarg_preload_length 0
		.amdhsa_user_sgpr_kernarg_preload_offset 0
		.amdhsa_user_sgpr_private_segment_size 0
		.amdhsa_uses_dynamic_stack 0
		.amdhsa_system_sgpr_private_segment_wavefront_offset 0
		.amdhsa_system_sgpr_workgroup_id_x 1
		.amdhsa_system_sgpr_workgroup_id_y 0
		.amdhsa_system_sgpr_workgroup_id_z 0
		.amdhsa_system_sgpr_workgroup_info 0
		.amdhsa_system_vgpr_workitem_id 0
		.amdhsa_next_free_vgpr 1
		.amdhsa_next_free_sgpr 0
		.amdhsa_accum_offset 4
		.amdhsa_reserve_vcc 0
		.amdhsa_reserve_flat_scratch 0
		.amdhsa_float_round_mode_32 0
		.amdhsa_float_round_mode_16_64 0
		.amdhsa_float_denorm_mode_32 3
		.amdhsa_float_denorm_mode_16_64 3
		.amdhsa_dx10_clamp 1
		.amdhsa_ieee_mode 1
		.amdhsa_fp16_overflow 0
		.amdhsa_tg_split 0
		.amdhsa_exception_fp_ieee_invalid_op 0
		.amdhsa_exception_fp_denorm_src 0
		.amdhsa_exception_fp_ieee_div_zero 0
		.amdhsa_exception_fp_ieee_overflow 0
		.amdhsa_exception_fp_ieee_underflow 0
		.amdhsa_exception_fp_ieee_inexact 0
		.amdhsa_exception_int_div_zero 0
	.end_amdhsa_kernel
	.section	.text._ZN7rocprim17ROCPRIM_400000_NS6detail17trampoline_kernelINS0_14default_configENS1_21merge_config_selectorIyNS0_10empty_typeEEEZNS1_10merge_implIS3_N6thrust23THRUST_200600_302600_NS6detail15normal_iteratorINS9_10device_ptrIKyEEEESF_NS9_16discard_iteratorINS9_11use_defaultEEEPS5_SJ_SJ_NS9_4lessIyEEEE10hipError_tPvRmT0_T1_T2_T3_T4_T5_mmT6_P12ihipStream_tbEUlT_E0_NS1_11comp_targetILNS1_3genE0ELNS1_11target_archE4294967295ELNS1_3gpuE0ELNS1_3repE0EEENS1_30default_config_static_selectorELNS0_4arch9wavefront6targetE1EEEvSQ_,"axG",@progbits,_ZN7rocprim17ROCPRIM_400000_NS6detail17trampoline_kernelINS0_14default_configENS1_21merge_config_selectorIyNS0_10empty_typeEEEZNS1_10merge_implIS3_N6thrust23THRUST_200600_302600_NS6detail15normal_iteratorINS9_10device_ptrIKyEEEESF_NS9_16discard_iteratorINS9_11use_defaultEEEPS5_SJ_SJ_NS9_4lessIyEEEE10hipError_tPvRmT0_T1_T2_T3_T4_T5_mmT6_P12ihipStream_tbEUlT_E0_NS1_11comp_targetILNS1_3genE0ELNS1_11target_archE4294967295ELNS1_3gpuE0ELNS1_3repE0EEENS1_30default_config_static_selectorELNS0_4arch9wavefront6targetE1EEEvSQ_,comdat
.Lfunc_end362:
	.size	_ZN7rocprim17ROCPRIM_400000_NS6detail17trampoline_kernelINS0_14default_configENS1_21merge_config_selectorIyNS0_10empty_typeEEEZNS1_10merge_implIS3_N6thrust23THRUST_200600_302600_NS6detail15normal_iteratorINS9_10device_ptrIKyEEEESF_NS9_16discard_iteratorINS9_11use_defaultEEEPS5_SJ_SJ_NS9_4lessIyEEEE10hipError_tPvRmT0_T1_T2_T3_T4_T5_mmT6_P12ihipStream_tbEUlT_E0_NS1_11comp_targetILNS1_3genE0ELNS1_11target_archE4294967295ELNS1_3gpuE0ELNS1_3repE0EEENS1_30default_config_static_selectorELNS0_4arch9wavefront6targetE1EEEvSQ_, .Lfunc_end362-_ZN7rocprim17ROCPRIM_400000_NS6detail17trampoline_kernelINS0_14default_configENS1_21merge_config_selectorIyNS0_10empty_typeEEEZNS1_10merge_implIS3_N6thrust23THRUST_200600_302600_NS6detail15normal_iteratorINS9_10device_ptrIKyEEEESF_NS9_16discard_iteratorINS9_11use_defaultEEEPS5_SJ_SJ_NS9_4lessIyEEEE10hipError_tPvRmT0_T1_T2_T3_T4_T5_mmT6_P12ihipStream_tbEUlT_E0_NS1_11comp_targetILNS1_3genE0ELNS1_11target_archE4294967295ELNS1_3gpuE0ELNS1_3repE0EEENS1_30default_config_static_selectorELNS0_4arch9wavefront6targetE1EEEvSQ_
                                        ; -- End function
	.section	.AMDGPU.csdata,"",@progbits
; Kernel info:
; codeLenInByte = 0
; NumSgprs: 4
; NumVgprs: 0
; NumAgprs: 0
; TotalNumVgprs: 0
; ScratchSize: 0
; MemoryBound: 0
; FloatMode: 240
; IeeeMode: 1
; LDSByteSize: 0 bytes/workgroup (compile time only)
; SGPRBlocks: 0
; VGPRBlocks: 0
; NumSGPRsForWavesPerEU: 4
; NumVGPRsForWavesPerEU: 1
; AccumOffset: 4
; Occupancy: 8
; WaveLimiterHint : 0
; COMPUTE_PGM_RSRC2:SCRATCH_EN: 0
; COMPUTE_PGM_RSRC2:USER_SGPR: 6
; COMPUTE_PGM_RSRC2:TRAP_HANDLER: 0
; COMPUTE_PGM_RSRC2:TGID_X_EN: 1
; COMPUTE_PGM_RSRC2:TGID_Y_EN: 0
; COMPUTE_PGM_RSRC2:TGID_Z_EN: 0
; COMPUTE_PGM_RSRC2:TIDIG_COMP_CNT: 0
; COMPUTE_PGM_RSRC3_GFX90A:ACCUM_OFFSET: 0
; COMPUTE_PGM_RSRC3_GFX90A:TG_SPLIT: 0
	.section	.text._ZN7rocprim17ROCPRIM_400000_NS6detail17trampoline_kernelINS0_14default_configENS1_21merge_config_selectorIyNS0_10empty_typeEEEZNS1_10merge_implIS3_N6thrust23THRUST_200600_302600_NS6detail15normal_iteratorINS9_10device_ptrIKyEEEESF_NS9_16discard_iteratorINS9_11use_defaultEEEPS5_SJ_SJ_NS9_4lessIyEEEE10hipError_tPvRmT0_T1_T2_T3_T4_T5_mmT6_P12ihipStream_tbEUlT_E0_NS1_11comp_targetILNS1_3genE5ELNS1_11target_archE942ELNS1_3gpuE9ELNS1_3repE0EEENS1_30default_config_static_selectorELNS0_4arch9wavefront6targetE1EEEvSQ_,"axG",@progbits,_ZN7rocprim17ROCPRIM_400000_NS6detail17trampoline_kernelINS0_14default_configENS1_21merge_config_selectorIyNS0_10empty_typeEEEZNS1_10merge_implIS3_N6thrust23THRUST_200600_302600_NS6detail15normal_iteratorINS9_10device_ptrIKyEEEESF_NS9_16discard_iteratorINS9_11use_defaultEEEPS5_SJ_SJ_NS9_4lessIyEEEE10hipError_tPvRmT0_T1_T2_T3_T4_T5_mmT6_P12ihipStream_tbEUlT_E0_NS1_11comp_targetILNS1_3genE5ELNS1_11target_archE942ELNS1_3gpuE9ELNS1_3repE0EEENS1_30default_config_static_selectorELNS0_4arch9wavefront6targetE1EEEvSQ_,comdat
	.protected	_ZN7rocprim17ROCPRIM_400000_NS6detail17trampoline_kernelINS0_14default_configENS1_21merge_config_selectorIyNS0_10empty_typeEEEZNS1_10merge_implIS3_N6thrust23THRUST_200600_302600_NS6detail15normal_iteratorINS9_10device_ptrIKyEEEESF_NS9_16discard_iteratorINS9_11use_defaultEEEPS5_SJ_SJ_NS9_4lessIyEEEE10hipError_tPvRmT0_T1_T2_T3_T4_T5_mmT6_P12ihipStream_tbEUlT_E0_NS1_11comp_targetILNS1_3genE5ELNS1_11target_archE942ELNS1_3gpuE9ELNS1_3repE0EEENS1_30default_config_static_selectorELNS0_4arch9wavefront6targetE1EEEvSQ_ ; -- Begin function _ZN7rocprim17ROCPRIM_400000_NS6detail17trampoline_kernelINS0_14default_configENS1_21merge_config_selectorIyNS0_10empty_typeEEEZNS1_10merge_implIS3_N6thrust23THRUST_200600_302600_NS6detail15normal_iteratorINS9_10device_ptrIKyEEEESF_NS9_16discard_iteratorINS9_11use_defaultEEEPS5_SJ_SJ_NS9_4lessIyEEEE10hipError_tPvRmT0_T1_T2_T3_T4_T5_mmT6_P12ihipStream_tbEUlT_E0_NS1_11comp_targetILNS1_3genE5ELNS1_11target_archE942ELNS1_3gpuE9ELNS1_3repE0EEENS1_30default_config_static_selectorELNS0_4arch9wavefront6targetE1EEEvSQ_
	.globl	_ZN7rocprim17ROCPRIM_400000_NS6detail17trampoline_kernelINS0_14default_configENS1_21merge_config_selectorIyNS0_10empty_typeEEEZNS1_10merge_implIS3_N6thrust23THRUST_200600_302600_NS6detail15normal_iteratorINS9_10device_ptrIKyEEEESF_NS9_16discard_iteratorINS9_11use_defaultEEEPS5_SJ_SJ_NS9_4lessIyEEEE10hipError_tPvRmT0_T1_T2_T3_T4_T5_mmT6_P12ihipStream_tbEUlT_E0_NS1_11comp_targetILNS1_3genE5ELNS1_11target_archE942ELNS1_3gpuE9ELNS1_3repE0EEENS1_30default_config_static_selectorELNS0_4arch9wavefront6targetE1EEEvSQ_
	.p2align	8
	.type	_ZN7rocprim17ROCPRIM_400000_NS6detail17trampoline_kernelINS0_14default_configENS1_21merge_config_selectorIyNS0_10empty_typeEEEZNS1_10merge_implIS3_N6thrust23THRUST_200600_302600_NS6detail15normal_iteratorINS9_10device_ptrIKyEEEESF_NS9_16discard_iteratorINS9_11use_defaultEEEPS5_SJ_SJ_NS9_4lessIyEEEE10hipError_tPvRmT0_T1_T2_T3_T4_T5_mmT6_P12ihipStream_tbEUlT_E0_NS1_11comp_targetILNS1_3genE5ELNS1_11target_archE942ELNS1_3gpuE9ELNS1_3repE0EEENS1_30default_config_static_selectorELNS0_4arch9wavefront6targetE1EEEvSQ_,@function
_ZN7rocprim17ROCPRIM_400000_NS6detail17trampoline_kernelINS0_14default_configENS1_21merge_config_selectorIyNS0_10empty_typeEEEZNS1_10merge_implIS3_N6thrust23THRUST_200600_302600_NS6detail15normal_iteratorINS9_10device_ptrIKyEEEESF_NS9_16discard_iteratorINS9_11use_defaultEEEPS5_SJ_SJ_NS9_4lessIyEEEE10hipError_tPvRmT0_T1_T2_T3_T4_T5_mmT6_P12ihipStream_tbEUlT_E0_NS1_11comp_targetILNS1_3genE5ELNS1_11target_archE942ELNS1_3gpuE9ELNS1_3repE0EEENS1_30default_config_static_selectorELNS0_4arch9wavefront6targetE1EEEvSQ_: ; @_ZN7rocprim17ROCPRIM_400000_NS6detail17trampoline_kernelINS0_14default_configENS1_21merge_config_selectorIyNS0_10empty_typeEEEZNS1_10merge_implIS3_N6thrust23THRUST_200600_302600_NS6detail15normal_iteratorINS9_10device_ptrIKyEEEESF_NS9_16discard_iteratorINS9_11use_defaultEEEPS5_SJ_SJ_NS9_4lessIyEEEE10hipError_tPvRmT0_T1_T2_T3_T4_T5_mmT6_P12ihipStream_tbEUlT_E0_NS1_11comp_targetILNS1_3genE5ELNS1_11target_archE942ELNS1_3gpuE9ELNS1_3repE0EEENS1_30default_config_static_selectorELNS0_4arch9wavefront6targetE1EEEvSQ_
; %bb.0:
	.section	.rodata,"a",@progbits
	.p2align	6, 0x0
	.amdhsa_kernel _ZN7rocprim17ROCPRIM_400000_NS6detail17trampoline_kernelINS0_14default_configENS1_21merge_config_selectorIyNS0_10empty_typeEEEZNS1_10merge_implIS3_N6thrust23THRUST_200600_302600_NS6detail15normal_iteratorINS9_10device_ptrIKyEEEESF_NS9_16discard_iteratorINS9_11use_defaultEEEPS5_SJ_SJ_NS9_4lessIyEEEE10hipError_tPvRmT0_T1_T2_T3_T4_T5_mmT6_P12ihipStream_tbEUlT_E0_NS1_11comp_targetILNS1_3genE5ELNS1_11target_archE942ELNS1_3gpuE9ELNS1_3repE0EEENS1_30default_config_static_selectorELNS0_4arch9wavefront6targetE1EEEvSQ_
		.amdhsa_group_segment_fixed_size 0
		.amdhsa_private_segment_fixed_size 0
		.amdhsa_kernarg_size 96
		.amdhsa_user_sgpr_count 6
		.amdhsa_user_sgpr_private_segment_buffer 1
		.amdhsa_user_sgpr_dispatch_ptr 0
		.amdhsa_user_sgpr_queue_ptr 0
		.amdhsa_user_sgpr_kernarg_segment_ptr 1
		.amdhsa_user_sgpr_dispatch_id 0
		.amdhsa_user_sgpr_flat_scratch_init 0
		.amdhsa_user_sgpr_kernarg_preload_length 0
		.amdhsa_user_sgpr_kernarg_preload_offset 0
		.amdhsa_user_sgpr_private_segment_size 0
		.amdhsa_uses_dynamic_stack 0
		.amdhsa_system_sgpr_private_segment_wavefront_offset 0
		.amdhsa_system_sgpr_workgroup_id_x 1
		.amdhsa_system_sgpr_workgroup_id_y 0
		.amdhsa_system_sgpr_workgroup_id_z 0
		.amdhsa_system_sgpr_workgroup_info 0
		.amdhsa_system_vgpr_workitem_id 0
		.amdhsa_next_free_vgpr 1
		.amdhsa_next_free_sgpr 0
		.amdhsa_accum_offset 4
		.amdhsa_reserve_vcc 0
		.amdhsa_reserve_flat_scratch 0
		.amdhsa_float_round_mode_32 0
		.amdhsa_float_round_mode_16_64 0
		.amdhsa_float_denorm_mode_32 3
		.amdhsa_float_denorm_mode_16_64 3
		.amdhsa_dx10_clamp 1
		.amdhsa_ieee_mode 1
		.amdhsa_fp16_overflow 0
		.amdhsa_tg_split 0
		.amdhsa_exception_fp_ieee_invalid_op 0
		.amdhsa_exception_fp_denorm_src 0
		.amdhsa_exception_fp_ieee_div_zero 0
		.amdhsa_exception_fp_ieee_overflow 0
		.amdhsa_exception_fp_ieee_underflow 0
		.amdhsa_exception_fp_ieee_inexact 0
		.amdhsa_exception_int_div_zero 0
	.end_amdhsa_kernel
	.section	.text._ZN7rocprim17ROCPRIM_400000_NS6detail17trampoline_kernelINS0_14default_configENS1_21merge_config_selectorIyNS0_10empty_typeEEEZNS1_10merge_implIS3_N6thrust23THRUST_200600_302600_NS6detail15normal_iteratorINS9_10device_ptrIKyEEEESF_NS9_16discard_iteratorINS9_11use_defaultEEEPS5_SJ_SJ_NS9_4lessIyEEEE10hipError_tPvRmT0_T1_T2_T3_T4_T5_mmT6_P12ihipStream_tbEUlT_E0_NS1_11comp_targetILNS1_3genE5ELNS1_11target_archE942ELNS1_3gpuE9ELNS1_3repE0EEENS1_30default_config_static_selectorELNS0_4arch9wavefront6targetE1EEEvSQ_,"axG",@progbits,_ZN7rocprim17ROCPRIM_400000_NS6detail17trampoline_kernelINS0_14default_configENS1_21merge_config_selectorIyNS0_10empty_typeEEEZNS1_10merge_implIS3_N6thrust23THRUST_200600_302600_NS6detail15normal_iteratorINS9_10device_ptrIKyEEEESF_NS9_16discard_iteratorINS9_11use_defaultEEEPS5_SJ_SJ_NS9_4lessIyEEEE10hipError_tPvRmT0_T1_T2_T3_T4_T5_mmT6_P12ihipStream_tbEUlT_E0_NS1_11comp_targetILNS1_3genE5ELNS1_11target_archE942ELNS1_3gpuE9ELNS1_3repE0EEENS1_30default_config_static_selectorELNS0_4arch9wavefront6targetE1EEEvSQ_,comdat
.Lfunc_end363:
	.size	_ZN7rocprim17ROCPRIM_400000_NS6detail17trampoline_kernelINS0_14default_configENS1_21merge_config_selectorIyNS0_10empty_typeEEEZNS1_10merge_implIS3_N6thrust23THRUST_200600_302600_NS6detail15normal_iteratorINS9_10device_ptrIKyEEEESF_NS9_16discard_iteratorINS9_11use_defaultEEEPS5_SJ_SJ_NS9_4lessIyEEEE10hipError_tPvRmT0_T1_T2_T3_T4_T5_mmT6_P12ihipStream_tbEUlT_E0_NS1_11comp_targetILNS1_3genE5ELNS1_11target_archE942ELNS1_3gpuE9ELNS1_3repE0EEENS1_30default_config_static_selectorELNS0_4arch9wavefront6targetE1EEEvSQ_, .Lfunc_end363-_ZN7rocprim17ROCPRIM_400000_NS6detail17trampoline_kernelINS0_14default_configENS1_21merge_config_selectorIyNS0_10empty_typeEEEZNS1_10merge_implIS3_N6thrust23THRUST_200600_302600_NS6detail15normal_iteratorINS9_10device_ptrIKyEEEESF_NS9_16discard_iteratorINS9_11use_defaultEEEPS5_SJ_SJ_NS9_4lessIyEEEE10hipError_tPvRmT0_T1_T2_T3_T4_T5_mmT6_P12ihipStream_tbEUlT_E0_NS1_11comp_targetILNS1_3genE5ELNS1_11target_archE942ELNS1_3gpuE9ELNS1_3repE0EEENS1_30default_config_static_selectorELNS0_4arch9wavefront6targetE1EEEvSQ_
                                        ; -- End function
	.section	.AMDGPU.csdata,"",@progbits
; Kernel info:
; codeLenInByte = 0
; NumSgprs: 4
; NumVgprs: 0
; NumAgprs: 0
; TotalNumVgprs: 0
; ScratchSize: 0
; MemoryBound: 0
; FloatMode: 240
; IeeeMode: 1
; LDSByteSize: 0 bytes/workgroup (compile time only)
; SGPRBlocks: 0
; VGPRBlocks: 0
; NumSGPRsForWavesPerEU: 4
; NumVGPRsForWavesPerEU: 1
; AccumOffset: 4
; Occupancy: 8
; WaveLimiterHint : 0
; COMPUTE_PGM_RSRC2:SCRATCH_EN: 0
; COMPUTE_PGM_RSRC2:USER_SGPR: 6
; COMPUTE_PGM_RSRC2:TRAP_HANDLER: 0
; COMPUTE_PGM_RSRC2:TGID_X_EN: 1
; COMPUTE_PGM_RSRC2:TGID_Y_EN: 0
; COMPUTE_PGM_RSRC2:TGID_Z_EN: 0
; COMPUTE_PGM_RSRC2:TIDIG_COMP_CNT: 0
; COMPUTE_PGM_RSRC3_GFX90A:ACCUM_OFFSET: 0
; COMPUTE_PGM_RSRC3_GFX90A:TG_SPLIT: 0
	.section	.text._ZN7rocprim17ROCPRIM_400000_NS6detail17trampoline_kernelINS0_14default_configENS1_21merge_config_selectorIyNS0_10empty_typeEEEZNS1_10merge_implIS3_N6thrust23THRUST_200600_302600_NS6detail15normal_iteratorINS9_10device_ptrIKyEEEESF_NS9_16discard_iteratorINS9_11use_defaultEEEPS5_SJ_SJ_NS9_4lessIyEEEE10hipError_tPvRmT0_T1_T2_T3_T4_T5_mmT6_P12ihipStream_tbEUlT_E0_NS1_11comp_targetILNS1_3genE4ELNS1_11target_archE910ELNS1_3gpuE8ELNS1_3repE0EEENS1_30default_config_static_selectorELNS0_4arch9wavefront6targetE1EEEvSQ_,"axG",@progbits,_ZN7rocprim17ROCPRIM_400000_NS6detail17trampoline_kernelINS0_14default_configENS1_21merge_config_selectorIyNS0_10empty_typeEEEZNS1_10merge_implIS3_N6thrust23THRUST_200600_302600_NS6detail15normal_iteratorINS9_10device_ptrIKyEEEESF_NS9_16discard_iteratorINS9_11use_defaultEEEPS5_SJ_SJ_NS9_4lessIyEEEE10hipError_tPvRmT0_T1_T2_T3_T4_T5_mmT6_P12ihipStream_tbEUlT_E0_NS1_11comp_targetILNS1_3genE4ELNS1_11target_archE910ELNS1_3gpuE8ELNS1_3repE0EEENS1_30default_config_static_selectorELNS0_4arch9wavefront6targetE1EEEvSQ_,comdat
	.protected	_ZN7rocprim17ROCPRIM_400000_NS6detail17trampoline_kernelINS0_14default_configENS1_21merge_config_selectorIyNS0_10empty_typeEEEZNS1_10merge_implIS3_N6thrust23THRUST_200600_302600_NS6detail15normal_iteratorINS9_10device_ptrIKyEEEESF_NS9_16discard_iteratorINS9_11use_defaultEEEPS5_SJ_SJ_NS9_4lessIyEEEE10hipError_tPvRmT0_T1_T2_T3_T4_T5_mmT6_P12ihipStream_tbEUlT_E0_NS1_11comp_targetILNS1_3genE4ELNS1_11target_archE910ELNS1_3gpuE8ELNS1_3repE0EEENS1_30default_config_static_selectorELNS0_4arch9wavefront6targetE1EEEvSQ_ ; -- Begin function _ZN7rocprim17ROCPRIM_400000_NS6detail17trampoline_kernelINS0_14default_configENS1_21merge_config_selectorIyNS0_10empty_typeEEEZNS1_10merge_implIS3_N6thrust23THRUST_200600_302600_NS6detail15normal_iteratorINS9_10device_ptrIKyEEEESF_NS9_16discard_iteratorINS9_11use_defaultEEEPS5_SJ_SJ_NS9_4lessIyEEEE10hipError_tPvRmT0_T1_T2_T3_T4_T5_mmT6_P12ihipStream_tbEUlT_E0_NS1_11comp_targetILNS1_3genE4ELNS1_11target_archE910ELNS1_3gpuE8ELNS1_3repE0EEENS1_30default_config_static_selectorELNS0_4arch9wavefront6targetE1EEEvSQ_
	.globl	_ZN7rocprim17ROCPRIM_400000_NS6detail17trampoline_kernelINS0_14default_configENS1_21merge_config_selectorIyNS0_10empty_typeEEEZNS1_10merge_implIS3_N6thrust23THRUST_200600_302600_NS6detail15normal_iteratorINS9_10device_ptrIKyEEEESF_NS9_16discard_iteratorINS9_11use_defaultEEEPS5_SJ_SJ_NS9_4lessIyEEEE10hipError_tPvRmT0_T1_T2_T3_T4_T5_mmT6_P12ihipStream_tbEUlT_E0_NS1_11comp_targetILNS1_3genE4ELNS1_11target_archE910ELNS1_3gpuE8ELNS1_3repE0EEENS1_30default_config_static_selectorELNS0_4arch9wavefront6targetE1EEEvSQ_
	.p2align	8
	.type	_ZN7rocprim17ROCPRIM_400000_NS6detail17trampoline_kernelINS0_14default_configENS1_21merge_config_selectorIyNS0_10empty_typeEEEZNS1_10merge_implIS3_N6thrust23THRUST_200600_302600_NS6detail15normal_iteratorINS9_10device_ptrIKyEEEESF_NS9_16discard_iteratorINS9_11use_defaultEEEPS5_SJ_SJ_NS9_4lessIyEEEE10hipError_tPvRmT0_T1_T2_T3_T4_T5_mmT6_P12ihipStream_tbEUlT_E0_NS1_11comp_targetILNS1_3genE4ELNS1_11target_archE910ELNS1_3gpuE8ELNS1_3repE0EEENS1_30default_config_static_selectorELNS0_4arch9wavefront6targetE1EEEvSQ_,@function
_ZN7rocprim17ROCPRIM_400000_NS6detail17trampoline_kernelINS0_14default_configENS1_21merge_config_selectorIyNS0_10empty_typeEEEZNS1_10merge_implIS3_N6thrust23THRUST_200600_302600_NS6detail15normal_iteratorINS9_10device_ptrIKyEEEESF_NS9_16discard_iteratorINS9_11use_defaultEEEPS5_SJ_SJ_NS9_4lessIyEEEE10hipError_tPvRmT0_T1_T2_T3_T4_T5_mmT6_P12ihipStream_tbEUlT_E0_NS1_11comp_targetILNS1_3genE4ELNS1_11target_archE910ELNS1_3gpuE8ELNS1_3repE0EEENS1_30default_config_static_selectorELNS0_4arch9wavefront6targetE1EEEvSQ_: ; @_ZN7rocprim17ROCPRIM_400000_NS6detail17trampoline_kernelINS0_14default_configENS1_21merge_config_selectorIyNS0_10empty_typeEEEZNS1_10merge_implIS3_N6thrust23THRUST_200600_302600_NS6detail15normal_iteratorINS9_10device_ptrIKyEEEESF_NS9_16discard_iteratorINS9_11use_defaultEEEPS5_SJ_SJ_NS9_4lessIyEEEE10hipError_tPvRmT0_T1_T2_T3_T4_T5_mmT6_P12ihipStream_tbEUlT_E0_NS1_11comp_targetILNS1_3genE4ELNS1_11target_archE910ELNS1_3gpuE8ELNS1_3repE0EEENS1_30default_config_static_selectorELNS0_4arch9wavefront6targetE1EEEvSQ_
; %bb.0:
	s_load_dwordx4 s[0:3], s[4:5], 0x48
	s_load_dwordx4 s[12:15], s[4:5], 0x8
	s_load_dwordx2 s[8:9], s[4:5], 0x18
	s_lshl_b32 s10, s6, 10
	s_mov_b32 s7, 0
	s_waitcnt lgkmcnt(0)
	s_add_i32 s11, s2, s0
	s_add_i32 s0, s11, 0x3ff
	s_lshr_b32 s0, s0, 10
	s_min_u32 s1, s6, s0
	s_lshl_b32 s1, s1, 2
	s_add_i32 s6, s6, 1
	s_min_u32 s0, s6, s0
	s_load_dword s6, s[12:13], s1 offset:0x0
	s_lshl_b32 s0, s0, 2
	s_load_dword s12, s[12:13], s0 offset:0x0
	s_add_i32 s0, s10, 0x400
	s_min_u32 s16, s11, s0
	s_waitcnt lgkmcnt(0)
	s_sub_i32 s2, s10, s6
	s_lshl_b64 s[0:1], s[6:7], 3
	s_add_u32 s0, s14, s0
	s_mov_b32 s3, s7
	s_addc_u32 s1, s15, s1
	s_lshl_b64 s[4:5], s[2:3], 3
	s_add_u32 s13, s8, s4
	s_addc_u32 s14, s9, s5
	s_add_i32 s2, s2, s12
	s_sub_i32 s6, s12, s6
	s_sub_i32 s12, s16, s2
	s_add_u32 s2, s12, s6
	s_addc_u32 s3, 0, 0
	v_mov_b32_e32 v1, 0
	v_cmp_le_u32_e32 vcc, s6, v0
	s_and_saveexec_b64 s[4:5], vcc
	s_xor_b64 s[4:5], exec, s[4:5]
	s_cbranch_execz .LBB364_4
; %bb.1:
	v_cmp_gt_u64_e32 vcc, s[2:3], v[0:1]
	s_and_saveexec_b64 s[8:9], vcc
	s_cbranch_execz .LBB364_3
; %bb.2:
	v_mov_b32_e32 v1, s7
	v_subrev_co_u32_e32 v2, vcc, s6, v0
	v_subb_co_u32_e32 v3, vcc, 0, v1, vcc
	v_lshlrev_b64 v[2:3], 3, v[2:3]
	v_mov_b32_e32 v1, s14
	v_add_co_u32_e32 v2, vcc, s13, v2
	v_addc_co_u32_e32 v3, vcc, v1, v3, vcc
	global_load_dwordx2 v[2:3], v[2:3], off
	v_lshlrev_b32_e32 v1, 3, v0
	s_waitcnt vmcnt(0)
	ds_write_b64 v1, v[2:3]
.LBB364_3:
	s_or_b64 exec, exec, s[8:9]
.LBB364_4:
	s_or_saveexec_b64 s[4:5], s[4:5]
	v_lshlrev_b32_e32 v1, 3, v0
	s_xor_b64 exec, exec, s[4:5]
	s_cbranch_execz .LBB364_6
; %bb.5:
	global_load_dwordx2 v[2:3], v1, s[0:1]
	s_waitcnt vmcnt(0)
	ds_write_b64 v1, v[2:3]
.LBB364_6:
	s_or_b64 exec, exec, s[4:5]
	v_or_b32_e32 v2, 0x100, v0
	v_cmp_le_u32_e32 vcc, s6, v2
	s_and_saveexec_b64 s[4:5], vcc
	s_xor_b64 s[4:5], exec, s[4:5]
	s_cbranch_execz .LBB364_10
; %bb.7:
	v_mov_b32_e32 v3, 0
	v_cmp_gt_u64_e32 vcc, s[2:3], v[2:3]
	s_and_saveexec_b64 s[8:9], vcc
	s_cbranch_execz .LBB364_9
; %bb.8:
	v_mov_b32_e32 v3, s7
	v_subrev_co_u32_e32 v2, vcc, s6, v0
	v_subb_co_u32_e32 v3, vcc, 0, v3, vcc
	v_lshlrev_b64 v[2:3], 3, v[2:3]
	v_mov_b32_e32 v4, s14
	v_add_co_u32_e32 v2, vcc, s13, v2
	v_addc_co_u32_e32 v3, vcc, v4, v3, vcc
	global_load_dwordx2 v[2:3], v[2:3], off offset:2048
	s_waitcnt vmcnt(0)
	ds_write_b64 v1, v[2:3] offset:2048
.LBB364_9:
	s_or_b64 exec, exec, s[8:9]
.LBB364_10:
	s_andn2_saveexec_b64 s[4:5], s[4:5]
	s_cbranch_execz .LBB364_12
; %bb.11:
	global_load_dwordx2 v[2:3], v1, s[0:1] offset:2048
	s_waitcnt vmcnt(0)
	ds_write_b64 v1, v[2:3] offset:2048
.LBB364_12:
	s_or_b64 exec, exec, s[4:5]
	v_or_b32_e32 v2, 0x200, v0
	v_mov_b32_e32 v3, 0
	v_cmp_le_u32_e32 vcc, s6, v2
	s_and_saveexec_b64 s[4:5], vcc
	s_xor_b64 s[4:5], exec, s[4:5]
	s_cbranch_execz .LBB364_16
; %bb.13:
	v_cmp_gt_u64_e32 vcc, s[2:3], v[2:3]
	s_and_saveexec_b64 s[8:9], vcc
	s_cbranch_execz .LBB364_15
; %bb.14:
	v_mov_b32_e32 v3, s7
	v_subrev_co_u32_e32 v2, vcc, s6, v2
	v_subb_co_u32_e32 v3, vcc, 0, v3, vcc
	v_lshlrev_b64 v[2:3], 3, v[2:3]
	v_mov_b32_e32 v4, s14
	v_add_co_u32_e32 v2, vcc, s13, v2
	v_addc_co_u32_e32 v3, vcc, v4, v3, vcc
	global_load_dwordx2 v[2:3], v[2:3], off
	s_waitcnt vmcnt(0)
	ds_write_b64 v1, v[2:3] offset:4096
.LBB364_15:
	s_or_b64 exec, exec, s[8:9]
                                        ; implicit-def: $vgpr2_vgpr3
.LBB364_16:
	s_andn2_saveexec_b64 s[4:5], s[4:5]
	s_cbranch_execz .LBB364_18
; %bb.17:
	v_lshlrev_b32_e32 v2, 3, v2
	global_load_dwordx2 v[2:3], v2, s[0:1]
	s_waitcnt vmcnt(0)
	ds_write_b64 v1, v[2:3] offset:4096
.LBB364_18:
	s_or_b64 exec, exec, s[4:5]
	v_or_b32_e32 v2, 0x300, v0
	v_mov_b32_e32 v3, 0
	v_cmp_le_u32_e32 vcc, s6, v2
	s_and_saveexec_b64 s[4:5], vcc
	s_xor_b64 s[4:5], exec, s[4:5]
	s_cbranch_execz .LBB364_22
; %bb.19:
	v_cmp_gt_u64_e32 vcc, s[2:3], v[2:3]
	s_and_saveexec_b64 s[2:3], vcc
	s_cbranch_execz .LBB364_21
; %bb.20:
	v_mov_b32_e32 v3, s7
	v_subrev_co_u32_e32 v2, vcc, s6, v2
	v_subb_co_u32_e32 v3, vcc, 0, v3, vcc
	v_lshlrev_b64 v[2:3], 3, v[2:3]
	v_mov_b32_e32 v4, s14
	v_add_co_u32_e32 v2, vcc, s13, v2
	v_addc_co_u32_e32 v3, vcc, v4, v3, vcc
	global_load_dwordx2 v[2:3], v[2:3], off
	s_waitcnt vmcnt(0)
	ds_write_b64 v1, v[2:3] offset:6144
.LBB364_21:
	s_or_b64 exec, exec, s[2:3]
                                        ; implicit-def: $vgpr2_vgpr3
                                        ; implicit-def: $vgpr1
.LBB364_22:
	s_andn2_saveexec_b64 s[2:3], s[4:5]
	s_cbranch_execz .LBB364_24
; %bb.23:
	v_lshlrev_b32_e32 v2, 3, v2
	global_load_dwordx2 v[2:3], v2, s[0:1]
	s_waitcnt vmcnt(0)
	ds_write_b64 v1, v[2:3] offset:6144
.LBB364_24:
	s_or_b64 exec, exec, s[2:3]
	v_lshlrev_b32_e32 v1, 2, v0
	v_sub_u32_e64 v14, v1, s12 clamp
	v_min_u32_e32 v2, s6, v1
	v_cmp_lt_u32_e32 vcc, v14, v2
	s_waitcnt lgkmcnt(0)
	s_barrier
	s_and_saveexec_b64 s[0:1], vcc
	s_cbranch_execz .LBB364_28
; %bb.25:
	v_lshlrev_b32_e32 v3, 3, v1
	v_lshl_add_u32 v3, s6, 3, v3
	s_mov_b64 s[2:3], 0
.LBB364_26:                             ; =>This Inner Loop Header: Depth=1
	v_add_u32_e32 v4, v2, v14
	v_lshrrev_b32_e32 v8, 1, v4
	v_not_b32_e32 v4, v8
	v_lshlrev_b32_e32 v5, 3, v8
	v_lshl_add_u32 v6, v4, 3, v3
	ds_read_b64 v[4:5], v5
	ds_read_b64 v[6:7], v6
	v_add_u32_e32 v9, 1, v8
	s_waitcnt lgkmcnt(0)
	v_cmp_lt_u64_e32 vcc, v[6:7], v[4:5]
	v_cndmask_b32_e32 v2, v2, v8, vcc
	v_cndmask_b32_e32 v14, v9, v14, vcc
	v_cmp_ge_u32_e32 vcc, v14, v2
	s_or_b64 s[2:3], vcc, s[2:3]
	s_andn2_b64 exec, exec, s[2:3]
	s_cbranch_execnz .LBB364_26
; %bb.27:
	s_or_b64 exec, exec, s[2:3]
.LBB364_28:
	s_or_b64 exec, exec, s[0:1]
	v_add_u32_e32 v2, s6, v1
	s_add_i32 s7, s12, s6
	v_sub_u32_e32 v15, v2, v14
	v_cmp_ge_u32_e32 vcc, s6, v14
	v_cmp_ge_u32_e64 s[0:1], s7, v15
	s_or_b64 s[0:1], vcc, s[0:1]
                                        ; implicit-def: $vgpr12_vgpr13
                                        ; implicit-def: $vgpr10_vgpr11
	s_and_saveexec_b64 s[8:9], s[0:1]
                                        ; implicit-def: $vgpr6_vgpr7_vgpr8_vgpr9
                                        ; implicit-def: $vgpr2_vgpr3_vgpr4_vgpr5
	s_cbranch_execz .LBB364_34
; %bb.29:
	v_cmp_gt_u32_e32 vcc, s6, v14
                                        ; implicit-def: $vgpr2_vgpr3
	s_and_saveexec_b64 s[0:1], vcc
	s_cbranch_execz .LBB364_31
; %bb.30:
	v_lshlrev_b32_e32 v2, 3, v14
	ds_read_b64 v[2:3], v2
.LBB364_31:
	s_or_b64 exec, exec, s[0:1]
	v_cmp_le_u32_e64 s[0:1], s7, v15
	v_cmp_gt_u32_e64 s[2:3], s7, v15
                                        ; implicit-def: $vgpr4_vgpr5
	s_and_saveexec_b64 s[4:5], s[2:3]
	s_cbranch_execz .LBB364_33
; %bb.32:
	v_lshlrev_b32_e32 v4, 3, v15
	ds_read_b64 v[4:5], v4
.LBB364_33:
	s_or_b64 exec, exec, s[4:5]
	s_waitcnt lgkmcnt(0)
	v_cmp_ge_u64_e64 s[2:3], v[4:5], v[2:3]
	s_and_b64 s[2:3], vcc, s[2:3]
	s_or_b64 vcc, s[0:1], s[2:3]
	v_mov_b32_e32 v16, s7
	v_mov_b32_e32 v17, s6
	v_cndmask_b32_e32 v6, v15, v14, vcc
	v_cndmask_b32_e32 v7, v16, v17, vcc
	v_add_u32_e32 v10, 1, v6
	v_add_u32_e32 v6, -1, v7
	v_min_u32_e32 v6, v10, v6
	v_lshlrev_b32_e32 v6, 3, v6
	ds_read_b64 v[6:7], v6
	v_cndmask_b32_e32 v14, v14, v10, vcc
	v_cndmask_b32_e32 v15, v10, v15, vcc
	v_cmp_gt_u32_e64 s[2:3], s6, v14
	v_cmp_le_u32_e64 s[0:1], s7, v15
	s_waitcnt lgkmcnt(0)
	v_cndmask_b32_e32 v9, v7, v5, vcc
	v_cndmask_b32_e32 v8, v6, v4, vcc
	;; [unrolled: 1-line block ×4, first 2 shown]
	v_cmp_ge_u64_e64 s[4:5], v[8:9], v[6:7]
	s_and_b64 s[2:3], s[2:3], s[4:5]
	s_or_b64 s[0:1], s[0:1], s[2:3]
	v_cndmask_b32_e64 v10, v15, v14, s[0:1]
	v_cndmask_b32_e64 v11, v16, v17, s[0:1]
	v_add_u32_e32 v18, 1, v10
	v_add_u32_e32 v10, -1, v11
	v_min_u32_e32 v10, v18, v10
	v_lshlrev_b32_e32 v10, 3, v10
	ds_read_b64 v[10:11], v10
	v_cndmask_b32_e32 v3, v5, v3, vcc
	v_cndmask_b32_e32 v2, v4, v2, vcc
	v_cndmask_b32_e64 v19, v18, v15, s[0:1]
	v_cndmask_b32_e64 v18, v14, v18, s[0:1]
	s_waitcnt lgkmcnt(0)
	v_cndmask_b32_e64 v5, v11, v9, s[0:1]
	v_cndmask_b32_e64 v4, v10, v8, s[0:1]
	;; [unrolled: 1-line block ×4, first 2 shown]
	v_cmp_gt_u32_e64 s[2:3], s6, v18
	v_cmp_ge_u64_e64 s[4:5], v[4:5], v[12:13]
	v_cmp_le_u32_e32 vcc, s7, v19
	s_and_b64 s[2:3], s[2:3], s[4:5]
	s_or_b64 vcc, vcc, s[2:3]
	v_cndmask_b32_e32 v10, v19, v18, vcc
	v_cndmask_b32_e32 v11, v16, v17, vcc
	v_add_u32_e32 v16, 1, v10
	v_add_u32_e32 v10, -1, v11
	v_min_u32_e32 v10, v16, v10
	v_lshlrev_b32_e32 v10, 3, v10
	ds_read_b64 v[14:15], v10
	v_cndmask_b32_e64 v11, v9, v7, s[0:1]
	v_cndmask_b32_e64 v10, v8, v6, s[0:1]
	v_cndmask_b32_e32 v7, v5, v13, vcc
	v_cndmask_b32_e32 v6, v4, v12, vcc
	s_waitcnt lgkmcnt(0)
	v_cndmask_b32_e32 v5, v15, v5, vcc
	v_cndmask_b32_e32 v4, v14, v4, vcc
	;; [unrolled: 1-line block ×6, first 2 shown]
	v_cmp_gt_u32_e64 s[0:1], s6, v13
	v_cmp_ge_u64_e64 s[2:3], v[4:5], v[8:9]
	v_cmp_le_u32_e32 vcc, s7, v12
	s_and_b64 s[0:1], s[0:1], s[2:3]
	s_or_b64 vcc, vcc, s[0:1]
	v_cndmask_b32_e32 v13, v5, v9, vcc
	v_cndmask_b32_e32 v12, v4, v8, vcc
.LBB364_34:
	s_or_b64 exec, exec, s[8:9]
	s_sub_i32 s0, s11, s10
	v_and_b32_e32 v0, 0xf8, v0
	s_cmpk_gt_u32 s0, 0x3ff
	v_lshl_add_u32 v0, v1, 3, v0
	s_mov_b64 s[0:1], -1
	s_barrier
	ds_write2_b64 v0, v[2:3], v[10:11] offset1:1
	ds_write2_b64 v0, v[6:7], v[12:13] offset0:2 offset1:3
	s_waitcnt lgkmcnt(0)
	s_cbranch_scc1 .LBB364_37
; %bb.35:
	s_andn2_b64 vcc, exec, s[0:1]
	s_cbranch_vccz .LBB364_38
.LBB364_36:
	s_endpgm
.LBB364_37:
	s_barrier
	s_cbranch_execnz .LBB364_36
.LBB364_38:
	s_barrier
	s_endpgm
	.section	.rodata,"a",@progbits
	.p2align	6, 0x0
	.amdhsa_kernel _ZN7rocprim17ROCPRIM_400000_NS6detail17trampoline_kernelINS0_14default_configENS1_21merge_config_selectorIyNS0_10empty_typeEEEZNS1_10merge_implIS3_N6thrust23THRUST_200600_302600_NS6detail15normal_iteratorINS9_10device_ptrIKyEEEESF_NS9_16discard_iteratorINS9_11use_defaultEEEPS5_SJ_SJ_NS9_4lessIyEEEE10hipError_tPvRmT0_T1_T2_T3_T4_T5_mmT6_P12ihipStream_tbEUlT_E0_NS1_11comp_targetILNS1_3genE4ELNS1_11target_archE910ELNS1_3gpuE8ELNS1_3repE0EEENS1_30default_config_static_selectorELNS0_4arch9wavefront6targetE1EEEvSQ_
		.amdhsa_group_segment_fixed_size 8448
		.amdhsa_private_segment_fixed_size 0
		.amdhsa_kernarg_size 96
		.amdhsa_user_sgpr_count 6
		.amdhsa_user_sgpr_private_segment_buffer 1
		.amdhsa_user_sgpr_dispatch_ptr 0
		.amdhsa_user_sgpr_queue_ptr 0
		.amdhsa_user_sgpr_kernarg_segment_ptr 1
		.amdhsa_user_sgpr_dispatch_id 0
		.amdhsa_user_sgpr_flat_scratch_init 0
		.amdhsa_user_sgpr_kernarg_preload_length 0
		.amdhsa_user_sgpr_kernarg_preload_offset 0
		.amdhsa_user_sgpr_private_segment_size 0
		.amdhsa_uses_dynamic_stack 0
		.amdhsa_system_sgpr_private_segment_wavefront_offset 0
		.amdhsa_system_sgpr_workgroup_id_x 1
		.amdhsa_system_sgpr_workgroup_id_y 0
		.amdhsa_system_sgpr_workgroup_id_z 0
		.amdhsa_system_sgpr_workgroup_info 0
		.amdhsa_system_vgpr_workitem_id 0
		.amdhsa_next_free_vgpr 20
		.amdhsa_next_free_sgpr 17
		.amdhsa_accum_offset 20
		.amdhsa_reserve_vcc 1
		.amdhsa_reserve_flat_scratch 0
		.amdhsa_float_round_mode_32 0
		.amdhsa_float_round_mode_16_64 0
		.amdhsa_float_denorm_mode_32 3
		.amdhsa_float_denorm_mode_16_64 3
		.amdhsa_dx10_clamp 1
		.amdhsa_ieee_mode 1
		.amdhsa_fp16_overflow 0
		.amdhsa_tg_split 0
		.amdhsa_exception_fp_ieee_invalid_op 0
		.amdhsa_exception_fp_denorm_src 0
		.amdhsa_exception_fp_ieee_div_zero 0
		.amdhsa_exception_fp_ieee_overflow 0
		.amdhsa_exception_fp_ieee_underflow 0
		.amdhsa_exception_fp_ieee_inexact 0
		.amdhsa_exception_int_div_zero 0
	.end_amdhsa_kernel
	.section	.text._ZN7rocprim17ROCPRIM_400000_NS6detail17trampoline_kernelINS0_14default_configENS1_21merge_config_selectorIyNS0_10empty_typeEEEZNS1_10merge_implIS3_N6thrust23THRUST_200600_302600_NS6detail15normal_iteratorINS9_10device_ptrIKyEEEESF_NS9_16discard_iteratorINS9_11use_defaultEEEPS5_SJ_SJ_NS9_4lessIyEEEE10hipError_tPvRmT0_T1_T2_T3_T4_T5_mmT6_P12ihipStream_tbEUlT_E0_NS1_11comp_targetILNS1_3genE4ELNS1_11target_archE910ELNS1_3gpuE8ELNS1_3repE0EEENS1_30default_config_static_selectorELNS0_4arch9wavefront6targetE1EEEvSQ_,"axG",@progbits,_ZN7rocprim17ROCPRIM_400000_NS6detail17trampoline_kernelINS0_14default_configENS1_21merge_config_selectorIyNS0_10empty_typeEEEZNS1_10merge_implIS3_N6thrust23THRUST_200600_302600_NS6detail15normal_iteratorINS9_10device_ptrIKyEEEESF_NS9_16discard_iteratorINS9_11use_defaultEEEPS5_SJ_SJ_NS9_4lessIyEEEE10hipError_tPvRmT0_T1_T2_T3_T4_T5_mmT6_P12ihipStream_tbEUlT_E0_NS1_11comp_targetILNS1_3genE4ELNS1_11target_archE910ELNS1_3gpuE8ELNS1_3repE0EEENS1_30default_config_static_selectorELNS0_4arch9wavefront6targetE1EEEvSQ_,comdat
.Lfunc_end364:
	.size	_ZN7rocprim17ROCPRIM_400000_NS6detail17trampoline_kernelINS0_14default_configENS1_21merge_config_selectorIyNS0_10empty_typeEEEZNS1_10merge_implIS3_N6thrust23THRUST_200600_302600_NS6detail15normal_iteratorINS9_10device_ptrIKyEEEESF_NS9_16discard_iteratorINS9_11use_defaultEEEPS5_SJ_SJ_NS9_4lessIyEEEE10hipError_tPvRmT0_T1_T2_T3_T4_T5_mmT6_P12ihipStream_tbEUlT_E0_NS1_11comp_targetILNS1_3genE4ELNS1_11target_archE910ELNS1_3gpuE8ELNS1_3repE0EEENS1_30default_config_static_selectorELNS0_4arch9wavefront6targetE1EEEvSQ_, .Lfunc_end364-_ZN7rocprim17ROCPRIM_400000_NS6detail17trampoline_kernelINS0_14default_configENS1_21merge_config_selectorIyNS0_10empty_typeEEEZNS1_10merge_implIS3_N6thrust23THRUST_200600_302600_NS6detail15normal_iteratorINS9_10device_ptrIKyEEEESF_NS9_16discard_iteratorINS9_11use_defaultEEEPS5_SJ_SJ_NS9_4lessIyEEEE10hipError_tPvRmT0_T1_T2_T3_T4_T5_mmT6_P12ihipStream_tbEUlT_E0_NS1_11comp_targetILNS1_3genE4ELNS1_11target_archE910ELNS1_3gpuE8ELNS1_3repE0EEENS1_30default_config_static_selectorELNS0_4arch9wavefront6targetE1EEEvSQ_
                                        ; -- End function
	.section	.AMDGPU.csdata,"",@progbits
; Kernel info:
; codeLenInByte = 1376
; NumSgprs: 21
; NumVgprs: 20
; NumAgprs: 0
; TotalNumVgprs: 20
; ScratchSize: 0
; MemoryBound: 0
; FloatMode: 240
; IeeeMode: 1
; LDSByteSize: 8448 bytes/workgroup (compile time only)
; SGPRBlocks: 2
; VGPRBlocks: 2
; NumSGPRsForWavesPerEU: 21
; NumVGPRsForWavesPerEU: 20
; AccumOffset: 20
; Occupancy: 7
; WaveLimiterHint : 1
; COMPUTE_PGM_RSRC2:SCRATCH_EN: 0
; COMPUTE_PGM_RSRC2:USER_SGPR: 6
; COMPUTE_PGM_RSRC2:TRAP_HANDLER: 0
; COMPUTE_PGM_RSRC2:TGID_X_EN: 1
; COMPUTE_PGM_RSRC2:TGID_Y_EN: 0
; COMPUTE_PGM_RSRC2:TGID_Z_EN: 0
; COMPUTE_PGM_RSRC2:TIDIG_COMP_CNT: 0
; COMPUTE_PGM_RSRC3_GFX90A:ACCUM_OFFSET: 4
; COMPUTE_PGM_RSRC3_GFX90A:TG_SPLIT: 0
	.section	.text._ZN7rocprim17ROCPRIM_400000_NS6detail17trampoline_kernelINS0_14default_configENS1_21merge_config_selectorIyNS0_10empty_typeEEEZNS1_10merge_implIS3_N6thrust23THRUST_200600_302600_NS6detail15normal_iteratorINS9_10device_ptrIKyEEEESF_NS9_16discard_iteratorINS9_11use_defaultEEEPS5_SJ_SJ_NS9_4lessIyEEEE10hipError_tPvRmT0_T1_T2_T3_T4_T5_mmT6_P12ihipStream_tbEUlT_E0_NS1_11comp_targetILNS1_3genE3ELNS1_11target_archE908ELNS1_3gpuE7ELNS1_3repE0EEENS1_30default_config_static_selectorELNS0_4arch9wavefront6targetE1EEEvSQ_,"axG",@progbits,_ZN7rocprim17ROCPRIM_400000_NS6detail17trampoline_kernelINS0_14default_configENS1_21merge_config_selectorIyNS0_10empty_typeEEEZNS1_10merge_implIS3_N6thrust23THRUST_200600_302600_NS6detail15normal_iteratorINS9_10device_ptrIKyEEEESF_NS9_16discard_iteratorINS9_11use_defaultEEEPS5_SJ_SJ_NS9_4lessIyEEEE10hipError_tPvRmT0_T1_T2_T3_T4_T5_mmT6_P12ihipStream_tbEUlT_E0_NS1_11comp_targetILNS1_3genE3ELNS1_11target_archE908ELNS1_3gpuE7ELNS1_3repE0EEENS1_30default_config_static_selectorELNS0_4arch9wavefront6targetE1EEEvSQ_,comdat
	.protected	_ZN7rocprim17ROCPRIM_400000_NS6detail17trampoline_kernelINS0_14default_configENS1_21merge_config_selectorIyNS0_10empty_typeEEEZNS1_10merge_implIS3_N6thrust23THRUST_200600_302600_NS6detail15normal_iteratorINS9_10device_ptrIKyEEEESF_NS9_16discard_iteratorINS9_11use_defaultEEEPS5_SJ_SJ_NS9_4lessIyEEEE10hipError_tPvRmT0_T1_T2_T3_T4_T5_mmT6_P12ihipStream_tbEUlT_E0_NS1_11comp_targetILNS1_3genE3ELNS1_11target_archE908ELNS1_3gpuE7ELNS1_3repE0EEENS1_30default_config_static_selectorELNS0_4arch9wavefront6targetE1EEEvSQ_ ; -- Begin function _ZN7rocprim17ROCPRIM_400000_NS6detail17trampoline_kernelINS0_14default_configENS1_21merge_config_selectorIyNS0_10empty_typeEEEZNS1_10merge_implIS3_N6thrust23THRUST_200600_302600_NS6detail15normal_iteratorINS9_10device_ptrIKyEEEESF_NS9_16discard_iteratorINS9_11use_defaultEEEPS5_SJ_SJ_NS9_4lessIyEEEE10hipError_tPvRmT0_T1_T2_T3_T4_T5_mmT6_P12ihipStream_tbEUlT_E0_NS1_11comp_targetILNS1_3genE3ELNS1_11target_archE908ELNS1_3gpuE7ELNS1_3repE0EEENS1_30default_config_static_selectorELNS0_4arch9wavefront6targetE1EEEvSQ_
	.globl	_ZN7rocprim17ROCPRIM_400000_NS6detail17trampoline_kernelINS0_14default_configENS1_21merge_config_selectorIyNS0_10empty_typeEEEZNS1_10merge_implIS3_N6thrust23THRUST_200600_302600_NS6detail15normal_iteratorINS9_10device_ptrIKyEEEESF_NS9_16discard_iteratorINS9_11use_defaultEEEPS5_SJ_SJ_NS9_4lessIyEEEE10hipError_tPvRmT0_T1_T2_T3_T4_T5_mmT6_P12ihipStream_tbEUlT_E0_NS1_11comp_targetILNS1_3genE3ELNS1_11target_archE908ELNS1_3gpuE7ELNS1_3repE0EEENS1_30default_config_static_selectorELNS0_4arch9wavefront6targetE1EEEvSQ_
	.p2align	8
	.type	_ZN7rocprim17ROCPRIM_400000_NS6detail17trampoline_kernelINS0_14default_configENS1_21merge_config_selectorIyNS0_10empty_typeEEEZNS1_10merge_implIS3_N6thrust23THRUST_200600_302600_NS6detail15normal_iteratorINS9_10device_ptrIKyEEEESF_NS9_16discard_iteratorINS9_11use_defaultEEEPS5_SJ_SJ_NS9_4lessIyEEEE10hipError_tPvRmT0_T1_T2_T3_T4_T5_mmT6_P12ihipStream_tbEUlT_E0_NS1_11comp_targetILNS1_3genE3ELNS1_11target_archE908ELNS1_3gpuE7ELNS1_3repE0EEENS1_30default_config_static_selectorELNS0_4arch9wavefront6targetE1EEEvSQ_,@function
_ZN7rocprim17ROCPRIM_400000_NS6detail17trampoline_kernelINS0_14default_configENS1_21merge_config_selectorIyNS0_10empty_typeEEEZNS1_10merge_implIS3_N6thrust23THRUST_200600_302600_NS6detail15normal_iteratorINS9_10device_ptrIKyEEEESF_NS9_16discard_iteratorINS9_11use_defaultEEEPS5_SJ_SJ_NS9_4lessIyEEEE10hipError_tPvRmT0_T1_T2_T3_T4_T5_mmT6_P12ihipStream_tbEUlT_E0_NS1_11comp_targetILNS1_3genE3ELNS1_11target_archE908ELNS1_3gpuE7ELNS1_3repE0EEENS1_30default_config_static_selectorELNS0_4arch9wavefront6targetE1EEEvSQ_: ; @_ZN7rocprim17ROCPRIM_400000_NS6detail17trampoline_kernelINS0_14default_configENS1_21merge_config_selectorIyNS0_10empty_typeEEEZNS1_10merge_implIS3_N6thrust23THRUST_200600_302600_NS6detail15normal_iteratorINS9_10device_ptrIKyEEEESF_NS9_16discard_iteratorINS9_11use_defaultEEEPS5_SJ_SJ_NS9_4lessIyEEEE10hipError_tPvRmT0_T1_T2_T3_T4_T5_mmT6_P12ihipStream_tbEUlT_E0_NS1_11comp_targetILNS1_3genE3ELNS1_11target_archE908ELNS1_3gpuE7ELNS1_3repE0EEENS1_30default_config_static_selectorELNS0_4arch9wavefront6targetE1EEEvSQ_
; %bb.0:
	.section	.rodata,"a",@progbits
	.p2align	6, 0x0
	.amdhsa_kernel _ZN7rocprim17ROCPRIM_400000_NS6detail17trampoline_kernelINS0_14default_configENS1_21merge_config_selectorIyNS0_10empty_typeEEEZNS1_10merge_implIS3_N6thrust23THRUST_200600_302600_NS6detail15normal_iteratorINS9_10device_ptrIKyEEEESF_NS9_16discard_iteratorINS9_11use_defaultEEEPS5_SJ_SJ_NS9_4lessIyEEEE10hipError_tPvRmT0_T1_T2_T3_T4_T5_mmT6_P12ihipStream_tbEUlT_E0_NS1_11comp_targetILNS1_3genE3ELNS1_11target_archE908ELNS1_3gpuE7ELNS1_3repE0EEENS1_30default_config_static_selectorELNS0_4arch9wavefront6targetE1EEEvSQ_
		.amdhsa_group_segment_fixed_size 0
		.amdhsa_private_segment_fixed_size 0
		.amdhsa_kernarg_size 96
		.amdhsa_user_sgpr_count 6
		.amdhsa_user_sgpr_private_segment_buffer 1
		.amdhsa_user_sgpr_dispatch_ptr 0
		.amdhsa_user_sgpr_queue_ptr 0
		.amdhsa_user_sgpr_kernarg_segment_ptr 1
		.amdhsa_user_sgpr_dispatch_id 0
		.amdhsa_user_sgpr_flat_scratch_init 0
		.amdhsa_user_sgpr_kernarg_preload_length 0
		.amdhsa_user_sgpr_kernarg_preload_offset 0
		.amdhsa_user_sgpr_private_segment_size 0
		.amdhsa_uses_dynamic_stack 0
		.amdhsa_system_sgpr_private_segment_wavefront_offset 0
		.amdhsa_system_sgpr_workgroup_id_x 1
		.amdhsa_system_sgpr_workgroup_id_y 0
		.amdhsa_system_sgpr_workgroup_id_z 0
		.amdhsa_system_sgpr_workgroup_info 0
		.amdhsa_system_vgpr_workitem_id 0
		.amdhsa_next_free_vgpr 1
		.amdhsa_next_free_sgpr 0
		.amdhsa_accum_offset 4
		.amdhsa_reserve_vcc 0
		.amdhsa_reserve_flat_scratch 0
		.amdhsa_float_round_mode_32 0
		.amdhsa_float_round_mode_16_64 0
		.amdhsa_float_denorm_mode_32 3
		.amdhsa_float_denorm_mode_16_64 3
		.amdhsa_dx10_clamp 1
		.amdhsa_ieee_mode 1
		.amdhsa_fp16_overflow 0
		.amdhsa_tg_split 0
		.amdhsa_exception_fp_ieee_invalid_op 0
		.amdhsa_exception_fp_denorm_src 0
		.amdhsa_exception_fp_ieee_div_zero 0
		.amdhsa_exception_fp_ieee_overflow 0
		.amdhsa_exception_fp_ieee_underflow 0
		.amdhsa_exception_fp_ieee_inexact 0
		.amdhsa_exception_int_div_zero 0
	.end_amdhsa_kernel
	.section	.text._ZN7rocprim17ROCPRIM_400000_NS6detail17trampoline_kernelINS0_14default_configENS1_21merge_config_selectorIyNS0_10empty_typeEEEZNS1_10merge_implIS3_N6thrust23THRUST_200600_302600_NS6detail15normal_iteratorINS9_10device_ptrIKyEEEESF_NS9_16discard_iteratorINS9_11use_defaultEEEPS5_SJ_SJ_NS9_4lessIyEEEE10hipError_tPvRmT0_T1_T2_T3_T4_T5_mmT6_P12ihipStream_tbEUlT_E0_NS1_11comp_targetILNS1_3genE3ELNS1_11target_archE908ELNS1_3gpuE7ELNS1_3repE0EEENS1_30default_config_static_selectorELNS0_4arch9wavefront6targetE1EEEvSQ_,"axG",@progbits,_ZN7rocprim17ROCPRIM_400000_NS6detail17trampoline_kernelINS0_14default_configENS1_21merge_config_selectorIyNS0_10empty_typeEEEZNS1_10merge_implIS3_N6thrust23THRUST_200600_302600_NS6detail15normal_iteratorINS9_10device_ptrIKyEEEESF_NS9_16discard_iteratorINS9_11use_defaultEEEPS5_SJ_SJ_NS9_4lessIyEEEE10hipError_tPvRmT0_T1_T2_T3_T4_T5_mmT6_P12ihipStream_tbEUlT_E0_NS1_11comp_targetILNS1_3genE3ELNS1_11target_archE908ELNS1_3gpuE7ELNS1_3repE0EEENS1_30default_config_static_selectorELNS0_4arch9wavefront6targetE1EEEvSQ_,comdat
.Lfunc_end365:
	.size	_ZN7rocprim17ROCPRIM_400000_NS6detail17trampoline_kernelINS0_14default_configENS1_21merge_config_selectorIyNS0_10empty_typeEEEZNS1_10merge_implIS3_N6thrust23THRUST_200600_302600_NS6detail15normal_iteratorINS9_10device_ptrIKyEEEESF_NS9_16discard_iteratorINS9_11use_defaultEEEPS5_SJ_SJ_NS9_4lessIyEEEE10hipError_tPvRmT0_T1_T2_T3_T4_T5_mmT6_P12ihipStream_tbEUlT_E0_NS1_11comp_targetILNS1_3genE3ELNS1_11target_archE908ELNS1_3gpuE7ELNS1_3repE0EEENS1_30default_config_static_selectorELNS0_4arch9wavefront6targetE1EEEvSQ_, .Lfunc_end365-_ZN7rocprim17ROCPRIM_400000_NS6detail17trampoline_kernelINS0_14default_configENS1_21merge_config_selectorIyNS0_10empty_typeEEEZNS1_10merge_implIS3_N6thrust23THRUST_200600_302600_NS6detail15normal_iteratorINS9_10device_ptrIKyEEEESF_NS9_16discard_iteratorINS9_11use_defaultEEEPS5_SJ_SJ_NS9_4lessIyEEEE10hipError_tPvRmT0_T1_T2_T3_T4_T5_mmT6_P12ihipStream_tbEUlT_E0_NS1_11comp_targetILNS1_3genE3ELNS1_11target_archE908ELNS1_3gpuE7ELNS1_3repE0EEENS1_30default_config_static_selectorELNS0_4arch9wavefront6targetE1EEEvSQ_
                                        ; -- End function
	.section	.AMDGPU.csdata,"",@progbits
; Kernel info:
; codeLenInByte = 0
; NumSgprs: 4
; NumVgprs: 0
; NumAgprs: 0
; TotalNumVgprs: 0
; ScratchSize: 0
; MemoryBound: 0
; FloatMode: 240
; IeeeMode: 1
; LDSByteSize: 0 bytes/workgroup (compile time only)
; SGPRBlocks: 0
; VGPRBlocks: 0
; NumSGPRsForWavesPerEU: 4
; NumVGPRsForWavesPerEU: 1
; AccumOffset: 4
; Occupancy: 8
; WaveLimiterHint : 0
; COMPUTE_PGM_RSRC2:SCRATCH_EN: 0
; COMPUTE_PGM_RSRC2:USER_SGPR: 6
; COMPUTE_PGM_RSRC2:TRAP_HANDLER: 0
; COMPUTE_PGM_RSRC2:TGID_X_EN: 1
; COMPUTE_PGM_RSRC2:TGID_Y_EN: 0
; COMPUTE_PGM_RSRC2:TGID_Z_EN: 0
; COMPUTE_PGM_RSRC2:TIDIG_COMP_CNT: 0
; COMPUTE_PGM_RSRC3_GFX90A:ACCUM_OFFSET: 0
; COMPUTE_PGM_RSRC3_GFX90A:TG_SPLIT: 0
	.section	.text._ZN7rocprim17ROCPRIM_400000_NS6detail17trampoline_kernelINS0_14default_configENS1_21merge_config_selectorIyNS0_10empty_typeEEEZNS1_10merge_implIS3_N6thrust23THRUST_200600_302600_NS6detail15normal_iteratorINS9_10device_ptrIKyEEEESF_NS9_16discard_iteratorINS9_11use_defaultEEEPS5_SJ_SJ_NS9_4lessIyEEEE10hipError_tPvRmT0_T1_T2_T3_T4_T5_mmT6_P12ihipStream_tbEUlT_E0_NS1_11comp_targetILNS1_3genE2ELNS1_11target_archE906ELNS1_3gpuE6ELNS1_3repE0EEENS1_30default_config_static_selectorELNS0_4arch9wavefront6targetE1EEEvSQ_,"axG",@progbits,_ZN7rocprim17ROCPRIM_400000_NS6detail17trampoline_kernelINS0_14default_configENS1_21merge_config_selectorIyNS0_10empty_typeEEEZNS1_10merge_implIS3_N6thrust23THRUST_200600_302600_NS6detail15normal_iteratorINS9_10device_ptrIKyEEEESF_NS9_16discard_iteratorINS9_11use_defaultEEEPS5_SJ_SJ_NS9_4lessIyEEEE10hipError_tPvRmT0_T1_T2_T3_T4_T5_mmT6_P12ihipStream_tbEUlT_E0_NS1_11comp_targetILNS1_3genE2ELNS1_11target_archE906ELNS1_3gpuE6ELNS1_3repE0EEENS1_30default_config_static_selectorELNS0_4arch9wavefront6targetE1EEEvSQ_,comdat
	.protected	_ZN7rocprim17ROCPRIM_400000_NS6detail17trampoline_kernelINS0_14default_configENS1_21merge_config_selectorIyNS0_10empty_typeEEEZNS1_10merge_implIS3_N6thrust23THRUST_200600_302600_NS6detail15normal_iteratorINS9_10device_ptrIKyEEEESF_NS9_16discard_iteratorINS9_11use_defaultEEEPS5_SJ_SJ_NS9_4lessIyEEEE10hipError_tPvRmT0_T1_T2_T3_T4_T5_mmT6_P12ihipStream_tbEUlT_E0_NS1_11comp_targetILNS1_3genE2ELNS1_11target_archE906ELNS1_3gpuE6ELNS1_3repE0EEENS1_30default_config_static_selectorELNS0_4arch9wavefront6targetE1EEEvSQ_ ; -- Begin function _ZN7rocprim17ROCPRIM_400000_NS6detail17trampoline_kernelINS0_14default_configENS1_21merge_config_selectorIyNS0_10empty_typeEEEZNS1_10merge_implIS3_N6thrust23THRUST_200600_302600_NS6detail15normal_iteratorINS9_10device_ptrIKyEEEESF_NS9_16discard_iteratorINS9_11use_defaultEEEPS5_SJ_SJ_NS9_4lessIyEEEE10hipError_tPvRmT0_T1_T2_T3_T4_T5_mmT6_P12ihipStream_tbEUlT_E0_NS1_11comp_targetILNS1_3genE2ELNS1_11target_archE906ELNS1_3gpuE6ELNS1_3repE0EEENS1_30default_config_static_selectorELNS0_4arch9wavefront6targetE1EEEvSQ_
	.globl	_ZN7rocprim17ROCPRIM_400000_NS6detail17trampoline_kernelINS0_14default_configENS1_21merge_config_selectorIyNS0_10empty_typeEEEZNS1_10merge_implIS3_N6thrust23THRUST_200600_302600_NS6detail15normal_iteratorINS9_10device_ptrIKyEEEESF_NS9_16discard_iteratorINS9_11use_defaultEEEPS5_SJ_SJ_NS9_4lessIyEEEE10hipError_tPvRmT0_T1_T2_T3_T4_T5_mmT6_P12ihipStream_tbEUlT_E0_NS1_11comp_targetILNS1_3genE2ELNS1_11target_archE906ELNS1_3gpuE6ELNS1_3repE0EEENS1_30default_config_static_selectorELNS0_4arch9wavefront6targetE1EEEvSQ_
	.p2align	8
	.type	_ZN7rocprim17ROCPRIM_400000_NS6detail17trampoline_kernelINS0_14default_configENS1_21merge_config_selectorIyNS0_10empty_typeEEEZNS1_10merge_implIS3_N6thrust23THRUST_200600_302600_NS6detail15normal_iteratorINS9_10device_ptrIKyEEEESF_NS9_16discard_iteratorINS9_11use_defaultEEEPS5_SJ_SJ_NS9_4lessIyEEEE10hipError_tPvRmT0_T1_T2_T3_T4_T5_mmT6_P12ihipStream_tbEUlT_E0_NS1_11comp_targetILNS1_3genE2ELNS1_11target_archE906ELNS1_3gpuE6ELNS1_3repE0EEENS1_30default_config_static_selectorELNS0_4arch9wavefront6targetE1EEEvSQ_,@function
_ZN7rocprim17ROCPRIM_400000_NS6detail17trampoline_kernelINS0_14default_configENS1_21merge_config_selectorIyNS0_10empty_typeEEEZNS1_10merge_implIS3_N6thrust23THRUST_200600_302600_NS6detail15normal_iteratorINS9_10device_ptrIKyEEEESF_NS9_16discard_iteratorINS9_11use_defaultEEEPS5_SJ_SJ_NS9_4lessIyEEEE10hipError_tPvRmT0_T1_T2_T3_T4_T5_mmT6_P12ihipStream_tbEUlT_E0_NS1_11comp_targetILNS1_3genE2ELNS1_11target_archE906ELNS1_3gpuE6ELNS1_3repE0EEENS1_30default_config_static_selectorELNS0_4arch9wavefront6targetE1EEEvSQ_: ; @_ZN7rocprim17ROCPRIM_400000_NS6detail17trampoline_kernelINS0_14default_configENS1_21merge_config_selectorIyNS0_10empty_typeEEEZNS1_10merge_implIS3_N6thrust23THRUST_200600_302600_NS6detail15normal_iteratorINS9_10device_ptrIKyEEEESF_NS9_16discard_iteratorINS9_11use_defaultEEEPS5_SJ_SJ_NS9_4lessIyEEEE10hipError_tPvRmT0_T1_T2_T3_T4_T5_mmT6_P12ihipStream_tbEUlT_E0_NS1_11comp_targetILNS1_3genE2ELNS1_11target_archE906ELNS1_3gpuE6ELNS1_3repE0EEENS1_30default_config_static_selectorELNS0_4arch9wavefront6targetE1EEEvSQ_
; %bb.0:
	.section	.rodata,"a",@progbits
	.p2align	6, 0x0
	.amdhsa_kernel _ZN7rocprim17ROCPRIM_400000_NS6detail17trampoline_kernelINS0_14default_configENS1_21merge_config_selectorIyNS0_10empty_typeEEEZNS1_10merge_implIS3_N6thrust23THRUST_200600_302600_NS6detail15normal_iteratorINS9_10device_ptrIKyEEEESF_NS9_16discard_iteratorINS9_11use_defaultEEEPS5_SJ_SJ_NS9_4lessIyEEEE10hipError_tPvRmT0_T1_T2_T3_T4_T5_mmT6_P12ihipStream_tbEUlT_E0_NS1_11comp_targetILNS1_3genE2ELNS1_11target_archE906ELNS1_3gpuE6ELNS1_3repE0EEENS1_30default_config_static_selectorELNS0_4arch9wavefront6targetE1EEEvSQ_
		.amdhsa_group_segment_fixed_size 0
		.amdhsa_private_segment_fixed_size 0
		.amdhsa_kernarg_size 96
		.amdhsa_user_sgpr_count 6
		.amdhsa_user_sgpr_private_segment_buffer 1
		.amdhsa_user_sgpr_dispatch_ptr 0
		.amdhsa_user_sgpr_queue_ptr 0
		.amdhsa_user_sgpr_kernarg_segment_ptr 1
		.amdhsa_user_sgpr_dispatch_id 0
		.amdhsa_user_sgpr_flat_scratch_init 0
		.amdhsa_user_sgpr_kernarg_preload_length 0
		.amdhsa_user_sgpr_kernarg_preload_offset 0
		.amdhsa_user_sgpr_private_segment_size 0
		.amdhsa_uses_dynamic_stack 0
		.amdhsa_system_sgpr_private_segment_wavefront_offset 0
		.amdhsa_system_sgpr_workgroup_id_x 1
		.amdhsa_system_sgpr_workgroup_id_y 0
		.amdhsa_system_sgpr_workgroup_id_z 0
		.amdhsa_system_sgpr_workgroup_info 0
		.amdhsa_system_vgpr_workitem_id 0
		.amdhsa_next_free_vgpr 1
		.amdhsa_next_free_sgpr 0
		.amdhsa_accum_offset 4
		.amdhsa_reserve_vcc 0
		.amdhsa_reserve_flat_scratch 0
		.amdhsa_float_round_mode_32 0
		.amdhsa_float_round_mode_16_64 0
		.amdhsa_float_denorm_mode_32 3
		.amdhsa_float_denorm_mode_16_64 3
		.amdhsa_dx10_clamp 1
		.amdhsa_ieee_mode 1
		.amdhsa_fp16_overflow 0
		.amdhsa_tg_split 0
		.amdhsa_exception_fp_ieee_invalid_op 0
		.amdhsa_exception_fp_denorm_src 0
		.amdhsa_exception_fp_ieee_div_zero 0
		.amdhsa_exception_fp_ieee_overflow 0
		.amdhsa_exception_fp_ieee_underflow 0
		.amdhsa_exception_fp_ieee_inexact 0
		.amdhsa_exception_int_div_zero 0
	.end_amdhsa_kernel
	.section	.text._ZN7rocprim17ROCPRIM_400000_NS6detail17trampoline_kernelINS0_14default_configENS1_21merge_config_selectorIyNS0_10empty_typeEEEZNS1_10merge_implIS3_N6thrust23THRUST_200600_302600_NS6detail15normal_iteratorINS9_10device_ptrIKyEEEESF_NS9_16discard_iteratorINS9_11use_defaultEEEPS5_SJ_SJ_NS9_4lessIyEEEE10hipError_tPvRmT0_T1_T2_T3_T4_T5_mmT6_P12ihipStream_tbEUlT_E0_NS1_11comp_targetILNS1_3genE2ELNS1_11target_archE906ELNS1_3gpuE6ELNS1_3repE0EEENS1_30default_config_static_selectorELNS0_4arch9wavefront6targetE1EEEvSQ_,"axG",@progbits,_ZN7rocprim17ROCPRIM_400000_NS6detail17trampoline_kernelINS0_14default_configENS1_21merge_config_selectorIyNS0_10empty_typeEEEZNS1_10merge_implIS3_N6thrust23THRUST_200600_302600_NS6detail15normal_iteratorINS9_10device_ptrIKyEEEESF_NS9_16discard_iteratorINS9_11use_defaultEEEPS5_SJ_SJ_NS9_4lessIyEEEE10hipError_tPvRmT0_T1_T2_T3_T4_T5_mmT6_P12ihipStream_tbEUlT_E0_NS1_11comp_targetILNS1_3genE2ELNS1_11target_archE906ELNS1_3gpuE6ELNS1_3repE0EEENS1_30default_config_static_selectorELNS0_4arch9wavefront6targetE1EEEvSQ_,comdat
.Lfunc_end366:
	.size	_ZN7rocprim17ROCPRIM_400000_NS6detail17trampoline_kernelINS0_14default_configENS1_21merge_config_selectorIyNS0_10empty_typeEEEZNS1_10merge_implIS3_N6thrust23THRUST_200600_302600_NS6detail15normal_iteratorINS9_10device_ptrIKyEEEESF_NS9_16discard_iteratorINS9_11use_defaultEEEPS5_SJ_SJ_NS9_4lessIyEEEE10hipError_tPvRmT0_T1_T2_T3_T4_T5_mmT6_P12ihipStream_tbEUlT_E0_NS1_11comp_targetILNS1_3genE2ELNS1_11target_archE906ELNS1_3gpuE6ELNS1_3repE0EEENS1_30default_config_static_selectorELNS0_4arch9wavefront6targetE1EEEvSQ_, .Lfunc_end366-_ZN7rocprim17ROCPRIM_400000_NS6detail17trampoline_kernelINS0_14default_configENS1_21merge_config_selectorIyNS0_10empty_typeEEEZNS1_10merge_implIS3_N6thrust23THRUST_200600_302600_NS6detail15normal_iteratorINS9_10device_ptrIKyEEEESF_NS9_16discard_iteratorINS9_11use_defaultEEEPS5_SJ_SJ_NS9_4lessIyEEEE10hipError_tPvRmT0_T1_T2_T3_T4_T5_mmT6_P12ihipStream_tbEUlT_E0_NS1_11comp_targetILNS1_3genE2ELNS1_11target_archE906ELNS1_3gpuE6ELNS1_3repE0EEENS1_30default_config_static_selectorELNS0_4arch9wavefront6targetE1EEEvSQ_
                                        ; -- End function
	.section	.AMDGPU.csdata,"",@progbits
; Kernel info:
; codeLenInByte = 0
; NumSgprs: 4
; NumVgprs: 0
; NumAgprs: 0
; TotalNumVgprs: 0
; ScratchSize: 0
; MemoryBound: 0
; FloatMode: 240
; IeeeMode: 1
; LDSByteSize: 0 bytes/workgroup (compile time only)
; SGPRBlocks: 0
; VGPRBlocks: 0
; NumSGPRsForWavesPerEU: 4
; NumVGPRsForWavesPerEU: 1
; AccumOffset: 4
; Occupancy: 8
; WaveLimiterHint : 0
; COMPUTE_PGM_RSRC2:SCRATCH_EN: 0
; COMPUTE_PGM_RSRC2:USER_SGPR: 6
; COMPUTE_PGM_RSRC2:TRAP_HANDLER: 0
; COMPUTE_PGM_RSRC2:TGID_X_EN: 1
; COMPUTE_PGM_RSRC2:TGID_Y_EN: 0
; COMPUTE_PGM_RSRC2:TGID_Z_EN: 0
; COMPUTE_PGM_RSRC2:TIDIG_COMP_CNT: 0
; COMPUTE_PGM_RSRC3_GFX90A:ACCUM_OFFSET: 0
; COMPUTE_PGM_RSRC3_GFX90A:TG_SPLIT: 0
	.section	.text._ZN7rocprim17ROCPRIM_400000_NS6detail17trampoline_kernelINS0_14default_configENS1_21merge_config_selectorIyNS0_10empty_typeEEEZNS1_10merge_implIS3_N6thrust23THRUST_200600_302600_NS6detail15normal_iteratorINS9_10device_ptrIKyEEEESF_NS9_16discard_iteratorINS9_11use_defaultEEEPS5_SJ_SJ_NS9_4lessIyEEEE10hipError_tPvRmT0_T1_T2_T3_T4_T5_mmT6_P12ihipStream_tbEUlT_E0_NS1_11comp_targetILNS1_3genE10ELNS1_11target_archE1201ELNS1_3gpuE5ELNS1_3repE0EEENS1_30default_config_static_selectorELNS0_4arch9wavefront6targetE1EEEvSQ_,"axG",@progbits,_ZN7rocprim17ROCPRIM_400000_NS6detail17trampoline_kernelINS0_14default_configENS1_21merge_config_selectorIyNS0_10empty_typeEEEZNS1_10merge_implIS3_N6thrust23THRUST_200600_302600_NS6detail15normal_iteratorINS9_10device_ptrIKyEEEESF_NS9_16discard_iteratorINS9_11use_defaultEEEPS5_SJ_SJ_NS9_4lessIyEEEE10hipError_tPvRmT0_T1_T2_T3_T4_T5_mmT6_P12ihipStream_tbEUlT_E0_NS1_11comp_targetILNS1_3genE10ELNS1_11target_archE1201ELNS1_3gpuE5ELNS1_3repE0EEENS1_30default_config_static_selectorELNS0_4arch9wavefront6targetE1EEEvSQ_,comdat
	.protected	_ZN7rocprim17ROCPRIM_400000_NS6detail17trampoline_kernelINS0_14default_configENS1_21merge_config_selectorIyNS0_10empty_typeEEEZNS1_10merge_implIS3_N6thrust23THRUST_200600_302600_NS6detail15normal_iteratorINS9_10device_ptrIKyEEEESF_NS9_16discard_iteratorINS9_11use_defaultEEEPS5_SJ_SJ_NS9_4lessIyEEEE10hipError_tPvRmT0_T1_T2_T3_T4_T5_mmT6_P12ihipStream_tbEUlT_E0_NS1_11comp_targetILNS1_3genE10ELNS1_11target_archE1201ELNS1_3gpuE5ELNS1_3repE0EEENS1_30default_config_static_selectorELNS0_4arch9wavefront6targetE1EEEvSQ_ ; -- Begin function _ZN7rocprim17ROCPRIM_400000_NS6detail17trampoline_kernelINS0_14default_configENS1_21merge_config_selectorIyNS0_10empty_typeEEEZNS1_10merge_implIS3_N6thrust23THRUST_200600_302600_NS6detail15normal_iteratorINS9_10device_ptrIKyEEEESF_NS9_16discard_iteratorINS9_11use_defaultEEEPS5_SJ_SJ_NS9_4lessIyEEEE10hipError_tPvRmT0_T1_T2_T3_T4_T5_mmT6_P12ihipStream_tbEUlT_E0_NS1_11comp_targetILNS1_3genE10ELNS1_11target_archE1201ELNS1_3gpuE5ELNS1_3repE0EEENS1_30default_config_static_selectorELNS0_4arch9wavefront6targetE1EEEvSQ_
	.globl	_ZN7rocprim17ROCPRIM_400000_NS6detail17trampoline_kernelINS0_14default_configENS1_21merge_config_selectorIyNS0_10empty_typeEEEZNS1_10merge_implIS3_N6thrust23THRUST_200600_302600_NS6detail15normal_iteratorINS9_10device_ptrIKyEEEESF_NS9_16discard_iteratorINS9_11use_defaultEEEPS5_SJ_SJ_NS9_4lessIyEEEE10hipError_tPvRmT0_T1_T2_T3_T4_T5_mmT6_P12ihipStream_tbEUlT_E0_NS1_11comp_targetILNS1_3genE10ELNS1_11target_archE1201ELNS1_3gpuE5ELNS1_3repE0EEENS1_30default_config_static_selectorELNS0_4arch9wavefront6targetE1EEEvSQ_
	.p2align	8
	.type	_ZN7rocprim17ROCPRIM_400000_NS6detail17trampoline_kernelINS0_14default_configENS1_21merge_config_selectorIyNS0_10empty_typeEEEZNS1_10merge_implIS3_N6thrust23THRUST_200600_302600_NS6detail15normal_iteratorINS9_10device_ptrIKyEEEESF_NS9_16discard_iteratorINS9_11use_defaultEEEPS5_SJ_SJ_NS9_4lessIyEEEE10hipError_tPvRmT0_T1_T2_T3_T4_T5_mmT6_P12ihipStream_tbEUlT_E0_NS1_11comp_targetILNS1_3genE10ELNS1_11target_archE1201ELNS1_3gpuE5ELNS1_3repE0EEENS1_30default_config_static_selectorELNS0_4arch9wavefront6targetE1EEEvSQ_,@function
_ZN7rocprim17ROCPRIM_400000_NS6detail17trampoline_kernelINS0_14default_configENS1_21merge_config_selectorIyNS0_10empty_typeEEEZNS1_10merge_implIS3_N6thrust23THRUST_200600_302600_NS6detail15normal_iteratorINS9_10device_ptrIKyEEEESF_NS9_16discard_iteratorINS9_11use_defaultEEEPS5_SJ_SJ_NS9_4lessIyEEEE10hipError_tPvRmT0_T1_T2_T3_T4_T5_mmT6_P12ihipStream_tbEUlT_E0_NS1_11comp_targetILNS1_3genE10ELNS1_11target_archE1201ELNS1_3gpuE5ELNS1_3repE0EEENS1_30default_config_static_selectorELNS0_4arch9wavefront6targetE1EEEvSQ_: ; @_ZN7rocprim17ROCPRIM_400000_NS6detail17trampoline_kernelINS0_14default_configENS1_21merge_config_selectorIyNS0_10empty_typeEEEZNS1_10merge_implIS3_N6thrust23THRUST_200600_302600_NS6detail15normal_iteratorINS9_10device_ptrIKyEEEESF_NS9_16discard_iteratorINS9_11use_defaultEEEPS5_SJ_SJ_NS9_4lessIyEEEE10hipError_tPvRmT0_T1_T2_T3_T4_T5_mmT6_P12ihipStream_tbEUlT_E0_NS1_11comp_targetILNS1_3genE10ELNS1_11target_archE1201ELNS1_3gpuE5ELNS1_3repE0EEENS1_30default_config_static_selectorELNS0_4arch9wavefront6targetE1EEEvSQ_
; %bb.0:
	.section	.rodata,"a",@progbits
	.p2align	6, 0x0
	.amdhsa_kernel _ZN7rocprim17ROCPRIM_400000_NS6detail17trampoline_kernelINS0_14default_configENS1_21merge_config_selectorIyNS0_10empty_typeEEEZNS1_10merge_implIS3_N6thrust23THRUST_200600_302600_NS6detail15normal_iteratorINS9_10device_ptrIKyEEEESF_NS9_16discard_iteratorINS9_11use_defaultEEEPS5_SJ_SJ_NS9_4lessIyEEEE10hipError_tPvRmT0_T1_T2_T3_T4_T5_mmT6_P12ihipStream_tbEUlT_E0_NS1_11comp_targetILNS1_3genE10ELNS1_11target_archE1201ELNS1_3gpuE5ELNS1_3repE0EEENS1_30default_config_static_selectorELNS0_4arch9wavefront6targetE1EEEvSQ_
		.amdhsa_group_segment_fixed_size 0
		.amdhsa_private_segment_fixed_size 0
		.amdhsa_kernarg_size 96
		.amdhsa_user_sgpr_count 6
		.amdhsa_user_sgpr_private_segment_buffer 1
		.amdhsa_user_sgpr_dispatch_ptr 0
		.amdhsa_user_sgpr_queue_ptr 0
		.amdhsa_user_sgpr_kernarg_segment_ptr 1
		.amdhsa_user_sgpr_dispatch_id 0
		.amdhsa_user_sgpr_flat_scratch_init 0
		.amdhsa_user_sgpr_kernarg_preload_length 0
		.amdhsa_user_sgpr_kernarg_preload_offset 0
		.amdhsa_user_sgpr_private_segment_size 0
		.amdhsa_uses_dynamic_stack 0
		.amdhsa_system_sgpr_private_segment_wavefront_offset 0
		.amdhsa_system_sgpr_workgroup_id_x 1
		.amdhsa_system_sgpr_workgroup_id_y 0
		.amdhsa_system_sgpr_workgroup_id_z 0
		.amdhsa_system_sgpr_workgroup_info 0
		.amdhsa_system_vgpr_workitem_id 0
		.amdhsa_next_free_vgpr 1
		.amdhsa_next_free_sgpr 0
		.amdhsa_accum_offset 4
		.amdhsa_reserve_vcc 0
		.amdhsa_reserve_flat_scratch 0
		.amdhsa_float_round_mode_32 0
		.amdhsa_float_round_mode_16_64 0
		.amdhsa_float_denorm_mode_32 3
		.amdhsa_float_denorm_mode_16_64 3
		.amdhsa_dx10_clamp 1
		.amdhsa_ieee_mode 1
		.amdhsa_fp16_overflow 0
		.amdhsa_tg_split 0
		.amdhsa_exception_fp_ieee_invalid_op 0
		.amdhsa_exception_fp_denorm_src 0
		.amdhsa_exception_fp_ieee_div_zero 0
		.amdhsa_exception_fp_ieee_overflow 0
		.amdhsa_exception_fp_ieee_underflow 0
		.amdhsa_exception_fp_ieee_inexact 0
		.amdhsa_exception_int_div_zero 0
	.end_amdhsa_kernel
	.section	.text._ZN7rocprim17ROCPRIM_400000_NS6detail17trampoline_kernelINS0_14default_configENS1_21merge_config_selectorIyNS0_10empty_typeEEEZNS1_10merge_implIS3_N6thrust23THRUST_200600_302600_NS6detail15normal_iteratorINS9_10device_ptrIKyEEEESF_NS9_16discard_iteratorINS9_11use_defaultEEEPS5_SJ_SJ_NS9_4lessIyEEEE10hipError_tPvRmT0_T1_T2_T3_T4_T5_mmT6_P12ihipStream_tbEUlT_E0_NS1_11comp_targetILNS1_3genE10ELNS1_11target_archE1201ELNS1_3gpuE5ELNS1_3repE0EEENS1_30default_config_static_selectorELNS0_4arch9wavefront6targetE1EEEvSQ_,"axG",@progbits,_ZN7rocprim17ROCPRIM_400000_NS6detail17trampoline_kernelINS0_14default_configENS1_21merge_config_selectorIyNS0_10empty_typeEEEZNS1_10merge_implIS3_N6thrust23THRUST_200600_302600_NS6detail15normal_iteratorINS9_10device_ptrIKyEEEESF_NS9_16discard_iteratorINS9_11use_defaultEEEPS5_SJ_SJ_NS9_4lessIyEEEE10hipError_tPvRmT0_T1_T2_T3_T4_T5_mmT6_P12ihipStream_tbEUlT_E0_NS1_11comp_targetILNS1_3genE10ELNS1_11target_archE1201ELNS1_3gpuE5ELNS1_3repE0EEENS1_30default_config_static_selectorELNS0_4arch9wavefront6targetE1EEEvSQ_,comdat
.Lfunc_end367:
	.size	_ZN7rocprim17ROCPRIM_400000_NS6detail17trampoline_kernelINS0_14default_configENS1_21merge_config_selectorIyNS0_10empty_typeEEEZNS1_10merge_implIS3_N6thrust23THRUST_200600_302600_NS6detail15normal_iteratorINS9_10device_ptrIKyEEEESF_NS9_16discard_iteratorINS9_11use_defaultEEEPS5_SJ_SJ_NS9_4lessIyEEEE10hipError_tPvRmT0_T1_T2_T3_T4_T5_mmT6_P12ihipStream_tbEUlT_E0_NS1_11comp_targetILNS1_3genE10ELNS1_11target_archE1201ELNS1_3gpuE5ELNS1_3repE0EEENS1_30default_config_static_selectorELNS0_4arch9wavefront6targetE1EEEvSQ_, .Lfunc_end367-_ZN7rocprim17ROCPRIM_400000_NS6detail17trampoline_kernelINS0_14default_configENS1_21merge_config_selectorIyNS0_10empty_typeEEEZNS1_10merge_implIS3_N6thrust23THRUST_200600_302600_NS6detail15normal_iteratorINS9_10device_ptrIKyEEEESF_NS9_16discard_iteratorINS9_11use_defaultEEEPS5_SJ_SJ_NS9_4lessIyEEEE10hipError_tPvRmT0_T1_T2_T3_T4_T5_mmT6_P12ihipStream_tbEUlT_E0_NS1_11comp_targetILNS1_3genE10ELNS1_11target_archE1201ELNS1_3gpuE5ELNS1_3repE0EEENS1_30default_config_static_selectorELNS0_4arch9wavefront6targetE1EEEvSQ_
                                        ; -- End function
	.section	.AMDGPU.csdata,"",@progbits
; Kernel info:
; codeLenInByte = 0
; NumSgprs: 4
; NumVgprs: 0
; NumAgprs: 0
; TotalNumVgprs: 0
; ScratchSize: 0
; MemoryBound: 0
; FloatMode: 240
; IeeeMode: 1
; LDSByteSize: 0 bytes/workgroup (compile time only)
; SGPRBlocks: 0
; VGPRBlocks: 0
; NumSGPRsForWavesPerEU: 4
; NumVGPRsForWavesPerEU: 1
; AccumOffset: 4
; Occupancy: 8
; WaveLimiterHint : 0
; COMPUTE_PGM_RSRC2:SCRATCH_EN: 0
; COMPUTE_PGM_RSRC2:USER_SGPR: 6
; COMPUTE_PGM_RSRC2:TRAP_HANDLER: 0
; COMPUTE_PGM_RSRC2:TGID_X_EN: 1
; COMPUTE_PGM_RSRC2:TGID_Y_EN: 0
; COMPUTE_PGM_RSRC2:TGID_Z_EN: 0
; COMPUTE_PGM_RSRC2:TIDIG_COMP_CNT: 0
; COMPUTE_PGM_RSRC3_GFX90A:ACCUM_OFFSET: 0
; COMPUTE_PGM_RSRC3_GFX90A:TG_SPLIT: 0
	.section	.text._ZN7rocprim17ROCPRIM_400000_NS6detail17trampoline_kernelINS0_14default_configENS1_21merge_config_selectorIyNS0_10empty_typeEEEZNS1_10merge_implIS3_N6thrust23THRUST_200600_302600_NS6detail15normal_iteratorINS9_10device_ptrIKyEEEESF_NS9_16discard_iteratorINS9_11use_defaultEEEPS5_SJ_SJ_NS9_4lessIyEEEE10hipError_tPvRmT0_T1_T2_T3_T4_T5_mmT6_P12ihipStream_tbEUlT_E0_NS1_11comp_targetILNS1_3genE10ELNS1_11target_archE1200ELNS1_3gpuE4ELNS1_3repE0EEENS1_30default_config_static_selectorELNS0_4arch9wavefront6targetE1EEEvSQ_,"axG",@progbits,_ZN7rocprim17ROCPRIM_400000_NS6detail17trampoline_kernelINS0_14default_configENS1_21merge_config_selectorIyNS0_10empty_typeEEEZNS1_10merge_implIS3_N6thrust23THRUST_200600_302600_NS6detail15normal_iteratorINS9_10device_ptrIKyEEEESF_NS9_16discard_iteratorINS9_11use_defaultEEEPS5_SJ_SJ_NS9_4lessIyEEEE10hipError_tPvRmT0_T1_T2_T3_T4_T5_mmT6_P12ihipStream_tbEUlT_E0_NS1_11comp_targetILNS1_3genE10ELNS1_11target_archE1200ELNS1_3gpuE4ELNS1_3repE0EEENS1_30default_config_static_selectorELNS0_4arch9wavefront6targetE1EEEvSQ_,comdat
	.protected	_ZN7rocprim17ROCPRIM_400000_NS6detail17trampoline_kernelINS0_14default_configENS1_21merge_config_selectorIyNS0_10empty_typeEEEZNS1_10merge_implIS3_N6thrust23THRUST_200600_302600_NS6detail15normal_iteratorINS9_10device_ptrIKyEEEESF_NS9_16discard_iteratorINS9_11use_defaultEEEPS5_SJ_SJ_NS9_4lessIyEEEE10hipError_tPvRmT0_T1_T2_T3_T4_T5_mmT6_P12ihipStream_tbEUlT_E0_NS1_11comp_targetILNS1_3genE10ELNS1_11target_archE1200ELNS1_3gpuE4ELNS1_3repE0EEENS1_30default_config_static_selectorELNS0_4arch9wavefront6targetE1EEEvSQ_ ; -- Begin function _ZN7rocprim17ROCPRIM_400000_NS6detail17trampoline_kernelINS0_14default_configENS1_21merge_config_selectorIyNS0_10empty_typeEEEZNS1_10merge_implIS3_N6thrust23THRUST_200600_302600_NS6detail15normal_iteratorINS9_10device_ptrIKyEEEESF_NS9_16discard_iteratorINS9_11use_defaultEEEPS5_SJ_SJ_NS9_4lessIyEEEE10hipError_tPvRmT0_T1_T2_T3_T4_T5_mmT6_P12ihipStream_tbEUlT_E0_NS1_11comp_targetILNS1_3genE10ELNS1_11target_archE1200ELNS1_3gpuE4ELNS1_3repE0EEENS1_30default_config_static_selectorELNS0_4arch9wavefront6targetE1EEEvSQ_
	.globl	_ZN7rocprim17ROCPRIM_400000_NS6detail17trampoline_kernelINS0_14default_configENS1_21merge_config_selectorIyNS0_10empty_typeEEEZNS1_10merge_implIS3_N6thrust23THRUST_200600_302600_NS6detail15normal_iteratorINS9_10device_ptrIKyEEEESF_NS9_16discard_iteratorINS9_11use_defaultEEEPS5_SJ_SJ_NS9_4lessIyEEEE10hipError_tPvRmT0_T1_T2_T3_T4_T5_mmT6_P12ihipStream_tbEUlT_E0_NS1_11comp_targetILNS1_3genE10ELNS1_11target_archE1200ELNS1_3gpuE4ELNS1_3repE0EEENS1_30default_config_static_selectorELNS0_4arch9wavefront6targetE1EEEvSQ_
	.p2align	8
	.type	_ZN7rocprim17ROCPRIM_400000_NS6detail17trampoline_kernelINS0_14default_configENS1_21merge_config_selectorIyNS0_10empty_typeEEEZNS1_10merge_implIS3_N6thrust23THRUST_200600_302600_NS6detail15normal_iteratorINS9_10device_ptrIKyEEEESF_NS9_16discard_iteratorINS9_11use_defaultEEEPS5_SJ_SJ_NS9_4lessIyEEEE10hipError_tPvRmT0_T1_T2_T3_T4_T5_mmT6_P12ihipStream_tbEUlT_E0_NS1_11comp_targetILNS1_3genE10ELNS1_11target_archE1200ELNS1_3gpuE4ELNS1_3repE0EEENS1_30default_config_static_selectorELNS0_4arch9wavefront6targetE1EEEvSQ_,@function
_ZN7rocprim17ROCPRIM_400000_NS6detail17trampoline_kernelINS0_14default_configENS1_21merge_config_selectorIyNS0_10empty_typeEEEZNS1_10merge_implIS3_N6thrust23THRUST_200600_302600_NS6detail15normal_iteratorINS9_10device_ptrIKyEEEESF_NS9_16discard_iteratorINS9_11use_defaultEEEPS5_SJ_SJ_NS9_4lessIyEEEE10hipError_tPvRmT0_T1_T2_T3_T4_T5_mmT6_P12ihipStream_tbEUlT_E0_NS1_11comp_targetILNS1_3genE10ELNS1_11target_archE1200ELNS1_3gpuE4ELNS1_3repE0EEENS1_30default_config_static_selectorELNS0_4arch9wavefront6targetE1EEEvSQ_: ; @_ZN7rocprim17ROCPRIM_400000_NS6detail17trampoline_kernelINS0_14default_configENS1_21merge_config_selectorIyNS0_10empty_typeEEEZNS1_10merge_implIS3_N6thrust23THRUST_200600_302600_NS6detail15normal_iteratorINS9_10device_ptrIKyEEEESF_NS9_16discard_iteratorINS9_11use_defaultEEEPS5_SJ_SJ_NS9_4lessIyEEEE10hipError_tPvRmT0_T1_T2_T3_T4_T5_mmT6_P12ihipStream_tbEUlT_E0_NS1_11comp_targetILNS1_3genE10ELNS1_11target_archE1200ELNS1_3gpuE4ELNS1_3repE0EEENS1_30default_config_static_selectorELNS0_4arch9wavefront6targetE1EEEvSQ_
; %bb.0:
	.section	.rodata,"a",@progbits
	.p2align	6, 0x0
	.amdhsa_kernel _ZN7rocprim17ROCPRIM_400000_NS6detail17trampoline_kernelINS0_14default_configENS1_21merge_config_selectorIyNS0_10empty_typeEEEZNS1_10merge_implIS3_N6thrust23THRUST_200600_302600_NS6detail15normal_iteratorINS9_10device_ptrIKyEEEESF_NS9_16discard_iteratorINS9_11use_defaultEEEPS5_SJ_SJ_NS9_4lessIyEEEE10hipError_tPvRmT0_T1_T2_T3_T4_T5_mmT6_P12ihipStream_tbEUlT_E0_NS1_11comp_targetILNS1_3genE10ELNS1_11target_archE1200ELNS1_3gpuE4ELNS1_3repE0EEENS1_30default_config_static_selectorELNS0_4arch9wavefront6targetE1EEEvSQ_
		.amdhsa_group_segment_fixed_size 0
		.amdhsa_private_segment_fixed_size 0
		.amdhsa_kernarg_size 96
		.amdhsa_user_sgpr_count 6
		.amdhsa_user_sgpr_private_segment_buffer 1
		.amdhsa_user_sgpr_dispatch_ptr 0
		.amdhsa_user_sgpr_queue_ptr 0
		.amdhsa_user_sgpr_kernarg_segment_ptr 1
		.amdhsa_user_sgpr_dispatch_id 0
		.amdhsa_user_sgpr_flat_scratch_init 0
		.amdhsa_user_sgpr_kernarg_preload_length 0
		.amdhsa_user_sgpr_kernarg_preload_offset 0
		.amdhsa_user_sgpr_private_segment_size 0
		.amdhsa_uses_dynamic_stack 0
		.amdhsa_system_sgpr_private_segment_wavefront_offset 0
		.amdhsa_system_sgpr_workgroup_id_x 1
		.amdhsa_system_sgpr_workgroup_id_y 0
		.amdhsa_system_sgpr_workgroup_id_z 0
		.amdhsa_system_sgpr_workgroup_info 0
		.amdhsa_system_vgpr_workitem_id 0
		.amdhsa_next_free_vgpr 1
		.amdhsa_next_free_sgpr 0
		.amdhsa_accum_offset 4
		.amdhsa_reserve_vcc 0
		.amdhsa_reserve_flat_scratch 0
		.amdhsa_float_round_mode_32 0
		.amdhsa_float_round_mode_16_64 0
		.amdhsa_float_denorm_mode_32 3
		.amdhsa_float_denorm_mode_16_64 3
		.amdhsa_dx10_clamp 1
		.amdhsa_ieee_mode 1
		.amdhsa_fp16_overflow 0
		.amdhsa_tg_split 0
		.amdhsa_exception_fp_ieee_invalid_op 0
		.amdhsa_exception_fp_denorm_src 0
		.amdhsa_exception_fp_ieee_div_zero 0
		.amdhsa_exception_fp_ieee_overflow 0
		.amdhsa_exception_fp_ieee_underflow 0
		.amdhsa_exception_fp_ieee_inexact 0
		.amdhsa_exception_int_div_zero 0
	.end_amdhsa_kernel
	.section	.text._ZN7rocprim17ROCPRIM_400000_NS6detail17trampoline_kernelINS0_14default_configENS1_21merge_config_selectorIyNS0_10empty_typeEEEZNS1_10merge_implIS3_N6thrust23THRUST_200600_302600_NS6detail15normal_iteratorINS9_10device_ptrIKyEEEESF_NS9_16discard_iteratorINS9_11use_defaultEEEPS5_SJ_SJ_NS9_4lessIyEEEE10hipError_tPvRmT0_T1_T2_T3_T4_T5_mmT6_P12ihipStream_tbEUlT_E0_NS1_11comp_targetILNS1_3genE10ELNS1_11target_archE1200ELNS1_3gpuE4ELNS1_3repE0EEENS1_30default_config_static_selectorELNS0_4arch9wavefront6targetE1EEEvSQ_,"axG",@progbits,_ZN7rocprim17ROCPRIM_400000_NS6detail17trampoline_kernelINS0_14default_configENS1_21merge_config_selectorIyNS0_10empty_typeEEEZNS1_10merge_implIS3_N6thrust23THRUST_200600_302600_NS6detail15normal_iteratorINS9_10device_ptrIKyEEEESF_NS9_16discard_iteratorINS9_11use_defaultEEEPS5_SJ_SJ_NS9_4lessIyEEEE10hipError_tPvRmT0_T1_T2_T3_T4_T5_mmT6_P12ihipStream_tbEUlT_E0_NS1_11comp_targetILNS1_3genE10ELNS1_11target_archE1200ELNS1_3gpuE4ELNS1_3repE0EEENS1_30default_config_static_selectorELNS0_4arch9wavefront6targetE1EEEvSQ_,comdat
.Lfunc_end368:
	.size	_ZN7rocprim17ROCPRIM_400000_NS6detail17trampoline_kernelINS0_14default_configENS1_21merge_config_selectorIyNS0_10empty_typeEEEZNS1_10merge_implIS3_N6thrust23THRUST_200600_302600_NS6detail15normal_iteratorINS9_10device_ptrIKyEEEESF_NS9_16discard_iteratorINS9_11use_defaultEEEPS5_SJ_SJ_NS9_4lessIyEEEE10hipError_tPvRmT0_T1_T2_T3_T4_T5_mmT6_P12ihipStream_tbEUlT_E0_NS1_11comp_targetILNS1_3genE10ELNS1_11target_archE1200ELNS1_3gpuE4ELNS1_3repE0EEENS1_30default_config_static_selectorELNS0_4arch9wavefront6targetE1EEEvSQ_, .Lfunc_end368-_ZN7rocprim17ROCPRIM_400000_NS6detail17trampoline_kernelINS0_14default_configENS1_21merge_config_selectorIyNS0_10empty_typeEEEZNS1_10merge_implIS3_N6thrust23THRUST_200600_302600_NS6detail15normal_iteratorINS9_10device_ptrIKyEEEESF_NS9_16discard_iteratorINS9_11use_defaultEEEPS5_SJ_SJ_NS9_4lessIyEEEE10hipError_tPvRmT0_T1_T2_T3_T4_T5_mmT6_P12ihipStream_tbEUlT_E0_NS1_11comp_targetILNS1_3genE10ELNS1_11target_archE1200ELNS1_3gpuE4ELNS1_3repE0EEENS1_30default_config_static_selectorELNS0_4arch9wavefront6targetE1EEEvSQ_
                                        ; -- End function
	.section	.AMDGPU.csdata,"",@progbits
; Kernel info:
; codeLenInByte = 0
; NumSgprs: 4
; NumVgprs: 0
; NumAgprs: 0
; TotalNumVgprs: 0
; ScratchSize: 0
; MemoryBound: 0
; FloatMode: 240
; IeeeMode: 1
; LDSByteSize: 0 bytes/workgroup (compile time only)
; SGPRBlocks: 0
; VGPRBlocks: 0
; NumSGPRsForWavesPerEU: 4
; NumVGPRsForWavesPerEU: 1
; AccumOffset: 4
; Occupancy: 8
; WaveLimiterHint : 0
; COMPUTE_PGM_RSRC2:SCRATCH_EN: 0
; COMPUTE_PGM_RSRC2:USER_SGPR: 6
; COMPUTE_PGM_RSRC2:TRAP_HANDLER: 0
; COMPUTE_PGM_RSRC2:TGID_X_EN: 1
; COMPUTE_PGM_RSRC2:TGID_Y_EN: 0
; COMPUTE_PGM_RSRC2:TGID_Z_EN: 0
; COMPUTE_PGM_RSRC2:TIDIG_COMP_CNT: 0
; COMPUTE_PGM_RSRC3_GFX90A:ACCUM_OFFSET: 0
; COMPUTE_PGM_RSRC3_GFX90A:TG_SPLIT: 0
	.section	.text._ZN7rocprim17ROCPRIM_400000_NS6detail17trampoline_kernelINS0_14default_configENS1_21merge_config_selectorIyNS0_10empty_typeEEEZNS1_10merge_implIS3_N6thrust23THRUST_200600_302600_NS6detail15normal_iteratorINS9_10device_ptrIKyEEEESF_NS9_16discard_iteratorINS9_11use_defaultEEEPS5_SJ_SJ_NS9_4lessIyEEEE10hipError_tPvRmT0_T1_T2_T3_T4_T5_mmT6_P12ihipStream_tbEUlT_E0_NS1_11comp_targetILNS1_3genE9ELNS1_11target_archE1100ELNS1_3gpuE3ELNS1_3repE0EEENS1_30default_config_static_selectorELNS0_4arch9wavefront6targetE1EEEvSQ_,"axG",@progbits,_ZN7rocprim17ROCPRIM_400000_NS6detail17trampoline_kernelINS0_14default_configENS1_21merge_config_selectorIyNS0_10empty_typeEEEZNS1_10merge_implIS3_N6thrust23THRUST_200600_302600_NS6detail15normal_iteratorINS9_10device_ptrIKyEEEESF_NS9_16discard_iteratorINS9_11use_defaultEEEPS5_SJ_SJ_NS9_4lessIyEEEE10hipError_tPvRmT0_T1_T2_T3_T4_T5_mmT6_P12ihipStream_tbEUlT_E0_NS1_11comp_targetILNS1_3genE9ELNS1_11target_archE1100ELNS1_3gpuE3ELNS1_3repE0EEENS1_30default_config_static_selectorELNS0_4arch9wavefront6targetE1EEEvSQ_,comdat
	.protected	_ZN7rocprim17ROCPRIM_400000_NS6detail17trampoline_kernelINS0_14default_configENS1_21merge_config_selectorIyNS0_10empty_typeEEEZNS1_10merge_implIS3_N6thrust23THRUST_200600_302600_NS6detail15normal_iteratorINS9_10device_ptrIKyEEEESF_NS9_16discard_iteratorINS9_11use_defaultEEEPS5_SJ_SJ_NS9_4lessIyEEEE10hipError_tPvRmT0_T1_T2_T3_T4_T5_mmT6_P12ihipStream_tbEUlT_E0_NS1_11comp_targetILNS1_3genE9ELNS1_11target_archE1100ELNS1_3gpuE3ELNS1_3repE0EEENS1_30default_config_static_selectorELNS0_4arch9wavefront6targetE1EEEvSQ_ ; -- Begin function _ZN7rocprim17ROCPRIM_400000_NS6detail17trampoline_kernelINS0_14default_configENS1_21merge_config_selectorIyNS0_10empty_typeEEEZNS1_10merge_implIS3_N6thrust23THRUST_200600_302600_NS6detail15normal_iteratorINS9_10device_ptrIKyEEEESF_NS9_16discard_iteratorINS9_11use_defaultEEEPS5_SJ_SJ_NS9_4lessIyEEEE10hipError_tPvRmT0_T1_T2_T3_T4_T5_mmT6_P12ihipStream_tbEUlT_E0_NS1_11comp_targetILNS1_3genE9ELNS1_11target_archE1100ELNS1_3gpuE3ELNS1_3repE0EEENS1_30default_config_static_selectorELNS0_4arch9wavefront6targetE1EEEvSQ_
	.globl	_ZN7rocprim17ROCPRIM_400000_NS6detail17trampoline_kernelINS0_14default_configENS1_21merge_config_selectorIyNS0_10empty_typeEEEZNS1_10merge_implIS3_N6thrust23THRUST_200600_302600_NS6detail15normal_iteratorINS9_10device_ptrIKyEEEESF_NS9_16discard_iteratorINS9_11use_defaultEEEPS5_SJ_SJ_NS9_4lessIyEEEE10hipError_tPvRmT0_T1_T2_T3_T4_T5_mmT6_P12ihipStream_tbEUlT_E0_NS1_11comp_targetILNS1_3genE9ELNS1_11target_archE1100ELNS1_3gpuE3ELNS1_3repE0EEENS1_30default_config_static_selectorELNS0_4arch9wavefront6targetE1EEEvSQ_
	.p2align	8
	.type	_ZN7rocprim17ROCPRIM_400000_NS6detail17trampoline_kernelINS0_14default_configENS1_21merge_config_selectorIyNS0_10empty_typeEEEZNS1_10merge_implIS3_N6thrust23THRUST_200600_302600_NS6detail15normal_iteratorINS9_10device_ptrIKyEEEESF_NS9_16discard_iteratorINS9_11use_defaultEEEPS5_SJ_SJ_NS9_4lessIyEEEE10hipError_tPvRmT0_T1_T2_T3_T4_T5_mmT6_P12ihipStream_tbEUlT_E0_NS1_11comp_targetILNS1_3genE9ELNS1_11target_archE1100ELNS1_3gpuE3ELNS1_3repE0EEENS1_30default_config_static_selectorELNS0_4arch9wavefront6targetE1EEEvSQ_,@function
_ZN7rocprim17ROCPRIM_400000_NS6detail17trampoline_kernelINS0_14default_configENS1_21merge_config_selectorIyNS0_10empty_typeEEEZNS1_10merge_implIS3_N6thrust23THRUST_200600_302600_NS6detail15normal_iteratorINS9_10device_ptrIKyEEEESF_NS9_16discard_iteratorINS9_11use_defaultEEEPS5_SJ_SJ_NS9_4lessIyEEEE10hipError_tPvRmT0_T1_T2_T3_T4_T5_mmT6_P12ihipStream_tbEUlT_E0_NS1_11comp_targetILNS1_3genE9ELNS1_11target_archE1100ELNS1_3gpuE3ELNS1_3repE0EEENS1_30default_config_static_selectorELNS0_4arch9wavefront6targetE1EEEvSQ_: ; @_ZN7rocprim17ROCPRIM_400000_NS6detail17trampoline_kernelINS0_14default_configENS1_21merge_config_selectorIyNS0_10empty_typeEEEZNS1_10merge_implIS3_N6thrust23THRUST_200600_302600_NS6detail15normal_iteratorINS9_10device_ptrIKyEEEESF_NS9_16discard_iteratorINS9_11use_defaultEEEPS5_SJ_SJ_NS9_4lessIyEEEE10hipError_tPvRmT0_T1_T2_T3_T4_T5_mmT6_P12ihipStream_tbEUlT_E0_NS1_11comp_targetILNS1_3genE9ELNS1_11target_archE1100ELNS1_3gpuE3ELNS1_3repE0EEENS1_30default_config_static_selectorELNS0_4arch9wavefront6targetE1EEEvSQ_
; %bb.0:
	.section	.rodata,"a",@progbits
	.p2align	6, 0x0
	.amdhsa_kernel _ZN7rocprim17ROCPRIM_400000_NS6detail17trampoline_kernelINS0_14default_configENS1_21merge_config_selectorIyNS0_10empty_typeEEEZNS1_10merge_implIS3_N6thrust23THRUST_200600_302600_NS6detail15normal_iteratorINS9_10device_ptrIKyEEEESF_NS9_16discard_iteratorINS9_11use_defaultEEEPS5_SJ_SJ_NS9_4lessIyEEEE10hipError_tPvRmT0_T1_T2_T3_T4_T5_mmT6_P12ihipStream_tbEUlT_E0_NS1_11comp_targetILNS1_3genE9ELNS1_11target_archE1100ELNS1_3gpuE3ELNS1_3repE0EEENS1_30default_config_static_selectorELNS0_4arch9wavefront6targetE1EEEvSQ_
		.amdhsa_group_segment_fixed_size 0
		.amdhsa_private_segment_fixed_size 0
		.amdhsa_kernarg_size 96
		.amdhsa_user_sgpr_count 6
		.amdhsa_user_sgpr_private_segment_buffer 1
		.amdhsa_user_sgpr_dispatch_ptr 0
		.amdhsa_user_sgpr_queue_ptr 0
		.amdhsa_user_sgpr_kernarg_segment_ptr 1
		.amdhsa_user_sgpr_dispatch_id 0
		.amdhsa_user_sgpr_flat_scratch_init 0
		.amdhsa_user_sgpr_kernarg_preload_length 0
		.amdhsa_user_sgpr_kernarg_preload_offset 0
		.amdhsa_user_sgpr_private_segment_size 0
		.amdhsa_uses_dynamic_stack 0
		.amdhsa_system_sgpr_private_segment_wavefront_offset 0
		.amdhsa_system_sgpr_workgroup_id_x 1
		.amdhsa_system_sgpr_workgroup_id_y 0
		.amdhsa_system_sgpr_workgroup_id_z 0
		.amdhsa_system_sgpr_workgroup_info 0
		.amdhsa_system_vgpr_workitem_id 0
		.amdhsa_next_free_vgpr 1
		.amdhsa_next_free_sgpr 0
		.amdhsa_accum_offset 4
		.amdhsa_reserve_vcc 0
		.amdhsa_reserve_flat_scratch 0
		.amdhsa_float_round_mode_32 0
		.amdhsa_float_round_mode_16_64 0
		.amdhsa_float_denorm_mode_32 3
		.amdhsa_float_denorm_mode_16_64 3
		.amdhsa_dx10_clamp 1
		.amdhsa_ieee_mode 1
		.amdhsa_fp16_overflow 0
		.amdhsa_tg_split 0
		.amdhsa_exception_fp_ieee_invalid_op 0
		.amdhsa_exception_fp_denorm_src 0
		.amdhsa_exception_fp_ieee_div_zero 0
		.amdhsa_exception_fp_ieee_overflow 0
		.amdhsa_exception_fp_ieee_underflow 0
		.amdhsa_exception_fp_ieee_inexact 0
		.amdhsa_exception_int_div_zero 0
	.end_amdhsa_kernel
	.section	.text._ZN7rocprim17ROCPRIM_400000_NS6detail17trampoline_kernelINS0_14default_configENS1_21merge_config_selectorIyNS0_10empty_typeEEEZNS1_10merge_implIS3_N6thrust23THRUST_200600_302600_NS6detail15normal_iteratorINS9_10device_ptrIKyEEEESF_NS9_16discard_iteratorINS9_11use_defaultEEEPS5_SJ_SJ_NS9_4lessIyEEEE10hipError_tPvRmT0_T1_T2_T3_T4_T5_mmT6_P12ihipStream_tbEUlT_E0_NS1_11comp_targetILNS1_3genE9ELNS1_11target_archE1100ELNS1_3gpuE3ELNS1_3repE0EEENS1_30default_config_static_selectorELNS0_4arch9wavefront6targetE1EEEvSQ_,"axG",@progbits,_ZN7rocprim17ROCPRIM_400000_NS6detail17trampoline_kernelINS0_14default_configENS1_21merge_config_selectorIyNS0_10empty_typeEEEZNS1_10merge_implIS3_N6thrust23THRUST_200600_302600_NS6detail15normal_iteratorINS9_10device_ptrIKyEEEESF_NS9_16discard_iteratorINS9_11use_defaultEEEPS5_SJ_SJ_NS9_4lessIyEEEE10hipError_tPvRmT0_T1_T2_T3_T4_T5_mmT6_P12ihipStream_tbEUlT_E0_NS1_11comp_targetILNS1_3genE9ELNS1_11target_archE1100ELNS1_3gpuE3ELNS1_3repE0EEENS1_30default_config_static_selectorELNS0_4arch9wavefront6targetE1EEEvSQ_,comdat
.Lfunc_end369:
	.size	_ZN7rocprim17ROCPRIM_400000_NS6detail17trampoline_kernelINS0_14default_configENS1_21merge_config_selectorIyNS0_10empty_typeEEEZNS1_10merge_implIS3_N6thrust23THRUST_200600_302600_NS6detail15normal_iteratorINS9_10device_ptrIKyEEEESF_NS9_16discard_iteratorINS9_11use_defaultEEEPS5_SJ_SJ_NS9_4lessIyEEEE10hipError_tPvRmT0_T1_T2_T3_T4_T5_mmT6_P12ihipStream_tbEUlT_E0_NS1_11comp_targetILNS1_3genE9ELNS1_11target_archE1100ELNS1_3gpuE3ELNS1_3repE0EEENS1_30default_config_static_selectorELNS0_4arch9wavefront6targetE1EEEvSQ_, .Lfunc_end369-_ZN7rocprim17ROCPRIM_400000_NS6detail17trampoline_kernelINS0_14default_configENS1_21merge_config_selectorIyNS0_10empty_typeEEEZNS1_10merge_implIS3_N6thrust23THRUST_200600_302600_NS6detail15normal_iteratorINS9_10device_ptrIKyEEEESF_NS9_16discard_iteratorINS9_11use_defaultEEEPS5_SJ_SJ_NS9_4lessIyEEEE10hipError_tPvRmT0_T1_T2_T3_T4_T5_mmT6_P12ihipStream_tbEUlT_E0_NS1_11comp_targetILNS1_3genE9ELNS1_11target_archE1100ELNS1_3gpuE3ELNS1_3repE0EEENS1_30default_config_static_selectorELNS0_4arch9wavefront6targetE1EEEvSQ_
                                        ; -- End function
	.section	.AMDGPU.csdata,"",@progbits
; Kernel info:
; codeLenInByte = 0
; NumSgprs: 4
; NumVgprs: 0
; NumAgprs: 0
; TotalNumVgprs: 0
; ScratchSize: 0
; MemoryBound: 0
; FloatMode: 240
; IeeeMode: 1
; LDSByteSize: 0 bytes/workgroup (compile time only)
; SGPRBlocks: 0
; VGPRBlocks: 0
; NumSGPRsForWavesPerEU: 4
; NumVGPRsForWavesPerEU: 1
; AccumOffset: 4
; Occupancy: 8
; WaveLimiterHint : 0
; COMPUTE_PGM_RSRC2:SCRATCH_EN: 0
; COMPUTE_PGM_RSRC2:USER_SGPR: 6
; COMPUTE_PGM_RSRC2:TRAP_HANDLER: 0
; COMPUTE_PGM_RSRC2:TGID_X_EN: 1
; COMPUTE_PGM_RSRC2:TGID_Y_EN: 0
; COMPUTE_PGM_RSRC2:TGID_Z_EN: 0
; COMPUTE_PGM_RSRC2:TIDIG_COMP_CNT: 0
; COMPUTE_PGM_RSRC3_GFX90A:ACCUM_OFFSET: 0
; COMPUTE_PGM_RSRC3_GFX90A:TG_SPLIT: 0
	.section	.text._ZN7rocprim17ROCPRIM_400000_NS6detail17trampoline_kernelINS0_14default_configENS1_21merge_config_selectorIyNS0_10empty_typeEEEZNS1_10merge_implIS3_N6thrust23THRUST_200600_302600_NS6detail15normal_iteratorINS9_10device_ptrIKyEEEESF_NS9_16discard_iteratorINS9_11use_defaultEEEPS5_SJ_SJ_NS9_4lessIyEEEE10hipError_tPvRmT0_T1_T2_T3_T4_T5_mmT6_P12ihipStream_tbEUlT_E0_NS1_11comp_targetILNS1_3genE8ELNS1_11target_archE1030ELNS1_3gpuE2ELNS1_3repE0EEENS1_30default_config_static_selectorELNS0_4arch9wavefront6targetE1EEEvSQ_,"axG",@progbits,_ZN7rocprim17ROCPRIM_400000_NS6detail17trampoline_kernelINS0_14default_configENS1_21merge_config_selectorIyNS0_10empty_typeEEEZNS1_10merge_implIS3_N6thrust23THRUST_200600_302600_NS6detail15normal_iteratorINS9_10device_ptrIKyEEEESF_NS9_16discard_iteratorINS9_11use_defaultEEEPS5_SJ_SJ_NS9_4lessIyEEEE10hipError_tPvRmT0_T1_T2_T3_T4_T5_mmT6_P12ihipStream_tbEUlT_E0_NS1_11comp_targetILNS1_3genE8ELNS1_11target_archE1030ELNS1_3gpuE2ELNS1_3repE0EEENS1_30default_config_static_selectorELNS0_4arch9wavefront6targetE1EEEvSQ_,comdat
	.protected	_ZN7rocprim17ROCPRIM_400000_NS6detail17trampoline_kernelINS0_14default_configENS1_21merge_config_selectorIyNS0_10empty_typeEEEZNS1_10merge_implIS3_N6thrust23THRUST_200600_302600_NS6detail15normal_iteratorINS9_10device_ptrIKyEEEESF_NS9_16discard_iteratorINS9_11use_defaultEEEPS5_SJ_SJ_NS9_4lessIyEEEE10hipError_tPvRmT0_T1_T2_T3_T4_T5_mmT6_P12ihipStream_tbEUlT_E0_NS1_11comp_targetILNS1_3genE8ELNS1_11target_archE1030ELNS1_3gpuE2ELNS1_3repE0EEENS1_30default_config_static_selectorELNS0_4arch9wavefront6targetE1EEEvSQ_ ; -- Begin function _ZN7rocprim17ROCPRIM_400000_NS6detail17trampoline_kernelINS0_14default_configENS1_21merge_config_selectorIyNS0_10empty_typeEEEZNS1_10merge_implIS3_N6thrust23THRUST_200600_302600_NS6detail15normal_iteratorINS9_10device_ptrIKyEEEESF_NS9_16discard_iteratorINS9_11use_defaultEEEPS5_SJ_SJ_NS9_4lessIyEEEE10hipError_tPvRmT0_T1_T2_T3_T4_T5_mmT6_P12ihipStream_tbEUlT_E0_NS1_11comp_targetILNS1_3genE8ELNS1_11target_archE1030ELNS1_3gpuE2ELNS1_3repE0EEENS1_30default_config_static_selectorELNS0_4arch9wavefront6targetE1EEEvSQ_
	.globl	_ZN7rocprim17ROCPRIM_400000_NS6detail17trampoline_kernelINS0_14default_configENS1_21merge_config_selectorIyNS0_10empty_typeEEEZNS1_10merge_implIS3_N6thrust23THRUST_200600_302600_NS6detail15normal_iteratorINS9_10device_ptrIKyEEEESF_NS9_16discard_iteratorINS9_11use_defaultEEEPS5_SJ_SJ_NS9_4lessIyEEEE10hipError_tPvRmT0_T1_T2_T3_T4_T5_mmT6_P12ihipStream_tbEUlT_E0_NS1_11comp_targetILNS1_3genE8ELNS1_11target_archE1030ELNS1_3gpuE2ELNS1_3repE0EEENS1_30default_config_static_selectorELNS0_4arch9wavefront6targetE1EEEvSQ_
	.p2align	8
	.type	_ZN7rocprim17ROCPRIM_400000_NS6detail17trampoline_kernelINS0_14default_configENS1_21merge_config_selectorIyNS0_10empty_typeEEEZNS1_10merge_implIS3_N6thrust23THRUST_200600_302600_NS6detail15normal_iteratorINS9_10device_ptrIKyEEEESF_NS9_16discard_iteratorINS9_11use_defaultEEEPS5_SJ_SJ_NS9_4lessIyEEEE10hipError_tPvRmT0_T1_T2_T3_T4_T5_mmT6_P12ihipStream_tbEUlT_E0_NS1_11comp_targetILNS1_3genE8ELNS1_11target_archE1030ELNS1_3gpuE2ELNS1_3repE0EEENS1_30default_config_static_selectorELNS0_4arch9wavefront6targetE1EEEvSQ_,@function
_ZN7rocprim17ROCPRIM_400000_NS6detail17trampoline_kernelINS0_14default_configENS1_21merge_config_selectorIyNS0_10empty_typeEEEZNS1_10merge_implIS3_N6thrust23THRUST_200600_302600_NS6detail15normal_iteratorINS9_10device_ptrIKyEEEESF_NS9_16discard_iteratorINS9_11use_defaultEEEPS5_SJ_SJ_NS9_4lessIyEEEE10hipError_tPvRmT0_T1_T2_T3_T4_T5_mmT6_P12ihipStream_tbEUlT_E0_NS1_11comp_targetILNS1_3genE8ELNS1_11target_archE1030ELNS1_3gpuE2ELNS1_3repE0EEENS1_30default_config_static_selectorELNS0_4arch9wavefront6targetE1EEEvSQ_: ; @_ZN7rocprim17ROCPRIM_400000_NS6detail17trampoline_kernelINS0_14default_configENS1_21merge_config_selectorIyNS0_10empty_typeEEEZNS1_10merge_implIS3_N6thrust23THRUST_200600_302600_NS6detail15normal_iteratorINS9_10device_ptrIKyEEEESF_NS9_16discard_iteratorINS9_11use_defaultEEEPS5_SJ_SJ_NS9_4lessIyEEEE10hipError_tPvRmT0_T1_T2_T3_T4_T5_mmT6_P12ihipStream_tbEUlT_E0_NS1_11comp_targetILNS1_3genE8ELNS1_11target_archE1030ELNS1_3gpuE2ELNS1_3repE0EEENS1_30default_config_static_selectorELNS0_4arch9wavefront6targetE1EEEvSQ_
; %bb.0:
	.section	.rodata,"a",@progbits
	.p2align	6, 0x0
	.amdhsa_kernel _ZN7rocprim17ROCPRIM_400000_NS6detail17trampoline_kernelINS0_14default_configENS1_21merge_config_selectorIyNS0_10empty_typeEEEZNS1_10merge_implIS3_N6thrust23THRUST_200600_302600_NS6detail15normal_iteratorINS9_10device_ptrIKyEEEESF_NS9_16discard_iteratorINS9_11use_defaultEEEPS5_SJ_SJ_NS9_4lessIyEEEE10hipError_tPvRmT0_T1_T2_T3_T4_T5_mmT6_P12ihipStream_tbEUlT_E0_NS1_11comp_targetILNS1_3genE8ELNS1_11target_archE1030ELNS1_3gpuE2ELNS1_3repE0EEENS1_30default_config_static_selectorELNS0_4arch9wavefront6targetE1EEEvSQ_
		.amdhsa_group_segment_fixed_size 0
		.amdhsa_private_segment_fixed_size 0
		.amdhsa_kernarg_size 96
		.amdhsa_user_sgpr_count 6
		.amdhsa_user_sgpr_private_segment_buffer 1
		.amdhsa_user_sgpr_dispatch_ptr 0
		.amdhsa_user_sgpr_queue_ptr 0
		.amdhsa_user_sgpr_kernarg_segment_ptr 1
		.amdhsa_user_sgpr_dispatch_id 0
		.amdhsa_user_sgpr_flat_scratch_init 0
		.amdhsa_user_sgpr_kernarg_preload_length 0
		.amdhsa_user_sgpr_kernarg_preload_offset 0
		.amdhsa_user_sgpr_private_segment_size 0
		.amdhsa_uses_dynamic_stack 0
		.amdhsa_system_sgpr_private_segment_wavefront_offset 0
		.amdhsa_system_sgpr_workgroup_id_x 1
		.amdhsa_system_sgpr_workgroup_id_y 0
		.amdhsa_system_sgpr_workgroup_id_z 0
		.amdhsa_system_sgpr_workgroup_info 0
		.amdhsa_system_vgpr_workitem_id 0
		.amdhsa_next_free_vgpr 1
		.amdhsa_next_free_sgpr 0
		.amdhsa_accum_offset 4
		.amdhsa_reserve_vcc 0
		.amdhsa_reserve_flat_scratch 0
		.amdhsa_float_round_mode_32 0
		.amdhsa_float_round_mode_16_64 0
		.amdhsa_float_denorm_mode_32 3
		.amdhsa_float_denorm_mode_16_64 3
		.amdhsa_dx10_clamp 1
		.amdhsa_ieee_mode 1
		.amdhsa_fp16_overflow 0
		.amdhsa_tg_split 0
		.amdhsa_exception_fp_ieee_invalid_op 0
		.amdhsa_exception_fp_denorm_src 0
		.amdhsa_exception_fp_ieee_div_zero 0
		.amdhsa_exception_fp_ieee_overflow 0
		.amdhsa_exception_fp_ieee_underflow 0
		.amdhsa_exception_fp_ieee_inexact 0
		.amdhsa_exception_int_div_zero 0
	.end_amdhsa_kernel
	.section	.text._ZN7rocprim17ROCPRIM_400000_NS6detail17trampoline_kernelINS0_14default_configENS1_21merge_config_selectorIyNS0_10empty_typeEEEZNS1_10merge_implIS3_N6thrust23THRUST_200600_302600_NS6detail15normal_iteratorINS9_10device_ptrIKyEEEESF_NS9_16discard_iteratorINS9_11use_defaultEEEPS5_SJ_SJ_NS9_4lessIyEEEE10hipError_tPvRmT0_T1_T2_T3_T4_T5_mmT6_P12ihipStream_tbEUlT_E0_NS1_11comp_targetILNS1_3genE8ELNS1_11target_archE1030ELNS1_3gpuE2ELNS1_3repE0EEENS1_30default_config_static_selectorELNS0_4arch9wavefront6targetE1EEEvSQ_,"axG",@progbits,_ZN7rocprim17ROCPRIM_400000_NS6detail17trampoline_kernelINS0_14default_configENS1_21merge_config_selectorIyNS0_10empty_typeEEEZNS1_10merge_implIS3_N6thrust23THRUST_200600_302600_NS6detail15normal_iteratorINS9_10device_ptrIKyEEEESF_NS9_16discard_iteratorINS9_11use_defaultEEEPS5_SJ_SJ_NS9_4lessIyEEEE10hipError_tPvRmT0_T1_T2_T3_T4_T5_mmT6_P12ihipStream_tbEUlT_E0_NS1_11comp_targetILNS1_3genE8ELNS1_11target_archE1030ELNS1_3gpuE2ELNS1_3repE0EEENS1_30default_config_static_selectorELNS0_4arch9wavefront6targetE1EEEvSQ_,comdat
.Lfunc_end370:
	.size	_ZN7rocprim17ROCPRIM_400000_NS6detail17trampoline_kernelINS0_14default_configENS1_21merge_config_selectorIyNS0_10empty_typeEEEZNS1_10merge_implIS3_N6thrust23THRUST_200600_302600_NS6detail15normal_iteratorINS9_10device_ptrIKyEEEESF_NS9_16discard_iteratorINS9_11use_defaultEEEPS5_SJ_SJ_NS9_4lessIyEEEE10hipError_tPvRmT0_T1_T2_T3_T4_T5_mmT6_P12ihipStream_tbEUlT_E0_NS1_11comp_targetILNS1_3genE8ELNS1_11target_archE1030ELNS1_3gpuE2ELNS1_3repE0EEENS1_30default_config_static_selectorELNS0_4arch9wavefront6targetE1EEEvSQ_, .Lfunc_end370-_ZN7rocprim17ROCPRIM_400000_NS6detail17trampoline_kernelINS0_14default_configENS1_21merge_config_selectorIyNS0_10empty_typeEEEZNS1_10merge_implIS3_N6thrust23THRUST_200600_302600_NS6detail15normal_iteratorINS9_10device_ptrIKyEEEESF_NS9_16discard_iteratorINS9_11use_defaultEEEPS5_SJ_SJ_NS9_4lessIyEEEE10hipError_tPvRmT0_T1_T2_T3_T4_T5_mmT6_P12ihipStream_tbEUlT_E0_NS1_11comp_targetILNS1_3genE8ELNS1_11target_archE1030ELNS1_3gpuE2ELNS1_3repE0EEENS1_30default_config_static_selectorELNS0_4arch9wavefront6targetE1EEEvSQ_
                                        ; -- End function
	.section	.AMDGPU.csdata,"",@progbits
; Kernel info:
; codeLenInByte = 0
; NumSgprs: 4
; NumVgprs: 0
; NumAgprs: 0
; TotalNumVgprs: 0
; ScratchSize: 0
; MemoryBound: 0
; FloatMode: 240
; IeeeMode: 1
; LDSByteSize: 0 bytes/workgroup (compile time only)
; SGPRBlocks: 0
; VGPRBlocks: 0
; NumSGPRsForWavesPerEU: 4
; NumVGPRsForWavesPerEU: 1
; AccumOffset: 4
; Occupancy: 8
; WaveLimiterHint : 0
; COMPUTE_PGM_RSRC2:SCRATCH_EN: 0
; COMPUTE_PGM_RSRC2:USER_SGPR: 6
; COMPUTE_PGM_RSRC2:TRAP_HANDLER: 0
; COMPUTE_PGM_RSRC2:TGID_X_EN: 1
; COMPUTE_PGM_RSRC2:TGID_Y_EN: 0
; COMPUTE_PGM_RSRC2:TGID_Z_EN: 0
; COMPUTE_PGM_RSRC2:TIDIG_COMP_CNT: 0
; COMPUTE_PGM_RSRC3_GFX90A:ACCUM_OFFSET: 0
; COMPUTE_PGM_RSRC3_GFX90A:TG_SPLIT: 0
	.section	.text._ZN7rocprim17ROCPRIM_400000_NS6detail17trampoline_kernelINS0_14default_configENS1_21merge_config_selectorIjNS0_10empty_typeEEEZNS1_10merge_implIS3_N6thrust23THRUST_200600_302600_NS6detail15normal_iteratorINS9_10device_ptrIKjEEEESF_NS9_16discard_iteratorINS9_11use_defaultEEEPS5_SJ_SJ_NS9_4lessIjEEEE10hipError_tPvRmT0_T1_T2_T3_T4_T5_mmT6_P12ihipStream_tbEUlT_E_NS1_11comp_targetILNS1_3genE0ELNS1_11target_archE4294967295ELNS1_3gpuE0ELNS1_3repE0EEENS1_30default_config_static_selectorELNS0_4arch9wavefront6targetE1EEEvSQ_,"axG",@progbits,_ZN7rocprim17ROCPRIM_400000_NS6detail17trampoline_kernelINS0_14default_configENS1_21merge_config_selectorIjNS0_10empty_typeEEEZNS1_10merge_implIS3_N6thrust23THRUST_200600_302600_NS6detail15normal_iteratorINS9_10device_ptrIKjEEEESF_NS9_16discard_iteratorINS9_11use_defaultEEEPS5_SJ_SJ_NS9_4lessIjEEEE10hipError_tPvRmT0_T1_T2_T3_T4_T5_mmT6_P12ihipStream_tbEUlT_E_NS1_11comp_targetILNS1_3genE0ELNS1_11target_archE4294967295ELNS1_3gpuE0ELNS1_3repE0EEENS1_30default_config_static_selectorELNS0_4arch9wavefront6targetE1EEEvSQ_,comdat
	.protected	_ZN7rocprim17ROCPRIM_400000_NS6detail17trampoline_kernelINS0_14default_configENS1_21merge_config_selectorIjNS0_10empty_typeEEEZNS1_10merge_implIS3_N6thrust23THRUST_200600_302600_NS6detail15normal_iteratorINS9_10device_ptrIKjEEEESF_NS9_16discard_iteratorINS9_11use_defaultEEEPS5_SJ_SJ_NS9_4lessIjEEEE10hipError_tPvRmT0_T1_T2_T3_T4_T5_mmT6_P12ihipStream_tbEUlT_E_NS1_11comp_targetILNS1_3genE0ELNS1_11target_archE4294967295ELNS1_3gpuE0ELNS1_3repE0EEENS1_30default_config_static_selectorELNS0_4arch9wavefront6targetE1EEEvSQ_ ; -- Begin function _ZN7rocprim17ROCPRIM_400000_NS6detail17trampoline_kernelINS0_14default_configENS1_21merge_config_selectorIjNS0_10empty_typeEEEZNS1_10merge_implIS3_N6thrust23THRUST_200600_302600_NS6detail15normal_iteratorINS9_10device_ptrIKjEEEESF_NS9_16discard_iteratorINS9_11use_defaultEEEPS5_SJ_SJ_NS9_4lessIjEEEE10hipError_tPvRmT0_T1_T2_T3_T4_T5_mmT6_P12ihipStream_tbEUlT_E_NS1_11comp_targetILNS1_3genE0ELNS1_11target_archE4294967295ELNS1_3gpuE0ELNS1_3repE0EEENS1_30default_config_static_selectorELNS0_4arch9wavefront6targetE1EEEvSQ_
	.globl	_ZN7rocprim17ROCPRIM_400000_NS6detail17trampoline_kernelINS0_14default_configENS1_21merge_config_selectorIjNS0_10empty_typeEEEZNS1_10merge_implIS3_N6thrust23THRUST_200600_302600_NS6detail15normal_iteratorINS9_10device_ptrIKjEEEESF_NS9_16discard_iteratorINS9_11use_defaultEEEPS5_SJ_SJ_NS9_4lessIjEEEE10hipError_tPvRmT0_T1_T2_T3_T4_T5_mmT6_P12ihipStream_tbEUlT_E_NS1_11comp_targetILNS1_3genE0ELNS1_11target_archE4294967295ELNS1_3gpuE0ELNS1_3repE0EEENS1_30default_config_static_selectorELNS0_4arch9wavefront6targetE1EEEvSQ_
	.p2align	8
	.type	_ZN7rocprim17ROCPRIM_400000_NS6detail17trampoline_kernelINS0_14default_configENS1_21merge_config_selectorIjNS0_10empty_typeEEEZNS1_10merge_implIS3_N6thrust23THRUST_200600_302600_NS6detail15normal_iteratorINS9_10device_ptrIKjEEEESF_NS9_16discard_iteratorINS9_11use_defaultEEEPS5_SJ_SJ_NS9_4lessIjEEEE10hipError_tPvRmT0_T1_T2_T3_T4_T5_mmT6_P12ihipStream_tbEUlT_E_NS1_11comp_targetILNS1_3genE0ELNS1_11target_archE4294967295ELNS1_3gpuE0ELNS1_3repE0EEENS1_30default_config_static_selectorELNS0_4arch9wavefront6targetE1EEEvSQ_,@function
_ZN7rocprim17ROCPRIM_400000_NS6detail17trampoline_kernelINS0_14default_configENS1_21merge_config_selectorIjNS0_10empty_typeEEEZNS1_10merge_implIS3_N6thrust23THRUST_200600_302600_NS6detail15normal_iteratorINS9_10device_ptrIKjEEEESF_NS9_16discard_iteratorINS9_11use_defaultEEEPS5_SJ_SJ_NS9_4lessIjEEEE10hipError_tPvRmT0_T1_T2_T3_T4_T5_mmT6_P12ihipStream_tbEUlT_E_NS1_11comp_targetILNS1_3genE0ELNS1_11target_archE4294967295ELNS1_3gpuE0ELNS1_3repE0EEENS1_30default_config_static_selectorELNS0_4arch9wavefront6targetE1EEEvSQ_: ; @_ZN7rocprim17ROCPRIM_400000_NS6detail17trampoline_kernelINS0_14default_configENS1_21merge_config_selectorIjNS0_10empty_typeEEEZNS1_10merge_implIS3_N6thrust23THRUST_200600_302600_NS6detail15normal_iteratorINS9_10device_ptrIKjEEEESF_NS9_16discard_iteratorINS9_11use_defaultEEEPS5_SJ_SJ_NS9_4lessIjEEEE10hipError_tPvRmT0_T1_T2_T3_T4_T5_mmT6_P12ihipStream_tbEUlT_E_NS1_11comp_targetILNS1_3genE0ELNS1_11target_archE4294967295ELNS1_3gpuE0ELNS1_3repE0EEENS1_30default_config_static_selectorELNS0_4arch9wavefront6targetE1EEEvSQ_
; %bb.0:
	.section	.rodata,"a",@progbits
	.p2align	6, 0x0
	.amdhsa_kernel _ZN7rocprim17ROCPRIM_400000_NS6detail17trampoline_kernelINS0_14default_configENS1_21merge_config_selectorIjNS0_10empty_typeEEEZNS1_10merge_implIS3_N6thrust23THRUST_200600_302600_NS6detail15normal_iteratorINS9_10device_ptrIKjEEEESF_NS9_16discard_iteratorINS9_11use_defaultEEEPS5_SJ_SJ_NS9_4lessIjEEEE10hipError_tPvRmT0_T1_T2_T3_T4_T5_mmT6_P12ihipStream_tbEUlT_E_NS1_11comp_targetILNS1_3genE0ELNS1_11target_archE4294967295ELNS1_3gpuE0ELNS1_3repE0EEENS1_30default_config_static_selectorELNS0_4arch9wavefront6targetE1EEEvSQ_
		.amdhsa_group_segment_fixed_size 0
		.amdhsa_private_segment_fixed_size 0
		.amdhsa_kernarg_size 48
		.amdhsa_user_sgpr_count 6
		.amdhsa_user_sgpr_private_segment_buffer 1
		.amdhsa_user_sgpr_dispatch_ptr 0
		.amdhsa_user_sgpr_queue_ptr 0
		.amdhsa_user_sgpr_kernarg_segment_ptr 1
		.amdhsa_user_sgpr_dispatch_id 0
		.amdhsa_user_sgpr_flat_scratch_init 0
		.amdhsa_user_sgpr_kernarg_preload_length 0
		.amdhsa_user_sgpr_kernarg_preload_offset 0
		.amdhsa_user_sgpr_private_segment_size 0
		.amdhsa_uses_dynamic_stack 0
		.amdhsa_system_sgpr_private_segment_wavefront_offset 0
		.amdhsa_system_sgpr_workgroup_id_x 1
		.amdhsa_system_sgpr_workgroup_id_y 0
		.amdhsa_system_sgpr_workgroup_id_z 0
		.amdhsa_system_sgpr_workgroup_info 0
		.amdhsa_system_vgpr_workitem_id 0
		.amdhsa_next_free_vgpr 1
		.amdhsa_next_free_sgpr 0
		.amdhsa_accum_offset 4
		.amdhsa_reserve_vcc 0
		.amdhsa_reserve_flat_scratch 0
		.amdhsa_float_round_mode_32 0
		.amdhsa_float_round_mode_16_64 0
		.amdhsa_float_denorm_mode_32 3
		.amdhsa_float_denorm_mode_16_64 3
		.amdhsa_dx10_clamp 1
		.amdhsa_ieee_mode 1
		.amdhsa_fp16_overflow 0
		.amdhsa_tg_split 0
		.amdhsa_exception_fp_ieee_invalid_op 0
		.amdhsa_exception_fp_denorm_src 0
		.amdhsa_exception_fp_ieee_div_zero 0
		.amdhsa_exception_fp_ieee_overflow 0
		.amdhsa_exception_fp_ieee_underflow 0
		.amdhsa_exception_fp_ieee_inexact 0
		.amdhsa_exception_int_div_zero 0
	.end_amdhsa_kernel
	.section	.text._ZN7rocprim17ROCPRIM_400000_NS6detail17trampoline_kernelINS0_14default_configENS1_21merge_config_selectorIjNS0_10empty_typeEEEZNS1_10merge_implIS3_N6thrust23THRUST_200600_302600_NS6detail15normal_iteratorINS9_10device_ptrIKjEEEESF_NS9_16discard_iteratorINS9_11use_defaultEEEPS5_SJ_SJ_NS9_4lessIjEEEE10hipError_tPvRmT0_T1_T2_T3_T4_T5_mmT6_P12ihipStream_tbEUlT_E_NS1_11comp_targetILNS1_3genE0ELNS1_11target_archE4294967295ELNS1_3gpuE0ELNS1_3repE0EEENS1_30default_config_static_selectorELNS0_4arch9wavefront6targetE1EEEvSQ_,"axG",@progbits,_ZN7rocprim17ROCPRIM_400000_NS6detail17trampoline_kernelINS0_14default_configENS1_21merge_config_selectorIjNS0_10empty_typeEEEZNS1_10merge_implIS3_N6thrust23THRUST_200600_302600_NS6detail15normal_iteratorINS9_10device_ptrIKjEEEESF_NS9_16discard_iteratorINS9_11use_defaultEEEPS5_SJ_SJ_NS9_4lessIjEEEE10hipError_tPvRmT0_T1_T2_T3_T4_T5_mmT6_P12ihipStream_tbEUlT_E_NS1_11comp_targetILNS1_3genE0ELNS1_11target_archE4294967295ELNS1_3gpuE0ELNS1_3repE0EEENS1_30default_config_static_selectorELNS0_4arch9wavefront6targetE1EEEvSQ_,comdat
.Lfunc_end371:
	.size	_ZN7rocprim17ROCPRIM_400000_NS6detail17trampoline_kernelINS0_14default_configENS1_21merge_config_selectorIjNS0_10empty_typeEEEZNS1_10merge_implIS3_N6thrust23THRUST_200600_302600_NS6detail15normal_iteratorINS9_10device_ptrIKjEEEESF_NS9_16discard_iteratorINS9_11use_defaultEEEPS5_SJ_SJ_NS9_4lessIjEEEE10hipError_tPvRmT0_T1_T2_T3_T4_T5_mmT6_P12ihipStream_tbEUlT_E_NS1_11comp_targetILNS1_3genE0ELNS1_11target_archE4294967295ELNS1_3gpuE0ELNS1_3repE0EEENS1_30default_config_static_selectorELNS0_4arch9wavefront6targetE1EEEvSQ_, .Lfunc_end371-_ZN7rocprim17ROCPRIM_400000_NS6detail17trampoline_kernelINS0_14default_configENS1_21merge_config_selectorIjNS0_10empty_typeEEEZNS1_10merge_implIS3_N6thrust23THRUST_200600_302600_NS6detail15normal_iteratorINS9_10device_ptrIKjEEEESF_NS9_16discard_iteratorINS9_11use_defaultEEEPS5_SJ_SJ_NS9_4lessIjEEEE10hipError_tPvRmT0_T1_T2_T3_T4_T5_mmT6_P12ihipStream_tbEUlT_E_NS1_11comp_targetILNS1_3genE0ELNS1_11target_archE4294967295ELNS1_3gpuE0ELNS1_3repE0EEENS1_30default_config_static_selectorELNS0_4arch9wavefront6targetE1EEEvSQ_
                                        ; -- End function
	.section	.AMDGPU.csdata,"",@progbits
; Kernel info:
; codeLenInByte = 0
; NumSgprs: 4
; NumVgprs: 0
; NumAgprs: 0
; TotalNumVgprs: 0
; ScratchSize: 0
; MemoryBound: 0
; FloatMode: 240
; IeeeMode: 1
; LDSByteSize: 0 bytes/workgroup (compile time only)
; SGPRBlocks: 0
; VGPRBlocks: 0
; NumSGPRsForWavesPerEU: 4
; NumVGPRsForWavesPerEU: 1
; AccumOffset: 4
; Occupancy: 8
; WaveLimiterHint : 0
; COMPUTE_PGM_RSRC2:SCRATCH_EN: 0
; COMPUTE_PGM_RSRC2:USER_SGPR: 6
; COMPUTE_PGM_RSRC2:TRAP_HANDLER: 0
; COMPUTE_PGM_RSRC2:TGID_X_EN: 1
; COMPUTE_PGM_RSRC2:TGID_Y_EN: 0
; COMPUTE_PGM_RSRC2:TGID_Z_EN: 0
; COMPUTE_PGM_RSRC2:TIDIG_COMP_CNT: 0
; COMPUTE_PGM_RSRC3_GFX90A:ACCUM_OFFSET: 0
; COMPUTE_PGM_RSRC3_GFX90A:TG_SPLIT: 0
	.section	.text._ZN7rocprim17ROCPRIM_400000_NS6detail17trampoline_kernelINS0_14default_configENS1_21merge_config_selectorIjNS0_10empty_typeEEEZNS1_10merge_implIS3_N6thrust23THRUST_200600_302600_NS6detail15normal_iteratorINS9_10device_ptrIKjEEEESF_NS9_16discard_iteratorINS9_11use_defaultEEEPS5_SJ_SJ_NS9_4lessIjEEEE10hipError_tPvRmT0_T1_T2_T3_T4_T5_mmT6_P12ihipStream_tbEUlT_E_NS1_11comp_targetILNS1_3genE5ELNS1_11target_archE942ELNS1_3gpuE9ELNS1_3repE0EEENS1_30default_config_static_selectorELNS0_4arch9wavefront6targetE1EEEvSQ_,"axG",@progbits,_ZN7rocprim17ROCPRIM_400000_NS6detail17trampoline_kernelINS0_14default_configENS1_21merge_config_selectorIjNS0_10empty_typeEEEZNS1_10merge_implIS3_N6thrust23THRUST_200600_302600_NS6detail15normal_iteratorINS9_10device_ptrIKjEEEESF_NS9_16discard_iteratorINS9_11use_defaultEEEPS5_SJ_SJ_NS9_4lessIjEEEE10hipError_tPvRmT0_T1_T2_T3_T4_T5_mmT6_P12ihipStream_tbEUlT_E_NS1_11comp_targetILNS1_3genE5ELNS1_11target_archE942ELNS1_3gpuE9ELNS1_3repE0EEENS1_30default_config_static_selectorELNS0_4arch9wavefront6targetE1EEEvSQ_,comdat
	.protected	_ZN7rocprim17ROCPRIM_400000_NS6detail17trampoline_kernelINS0_14default_configENS1_21merge_config_selectorIjNS0_10empty_typeEEEZNS1_10merge_implIS3_N6thrust23THRUST_200600_302600_NS6detail15normal_iteratorINS9_10device_ptrIKjEEEESF_NS9_16discard_iteratorINS9_11use_defaultEEEPS5_SJ_SJ_NS9_4lessIjEEEE10hipError_tPvRmT0_T1_T2_T3_T4_T5_mmT6_P12ihipStream_tbEUlT_E_NS1_11comp_targetILNS1_3genE5ELNS1_11target_archE942ELNS1_3gpuE9ELNS1_3repE0EEENS1_30default_config_static_selectorELNS0_4arch9wavefront6targetE1EEEvSQ_ ; -- Begin function _ZN7rocprim17ROCPRIM_400000_NS6detail17trampoline_kernelINS0_14default_configENS1_21merge_config_selectorIjNS0_10empty_typeEEEZNS1_10merge_implIS3_N6thrust23THRUST_200600_302600_NS6detail15normal_iteratorINS9_10device_ptrIKjEEEESF_NS9_16discard_iteratorINS9_11use_defaultEEEPS5_SJ_SJ_NS9_4lessIjEEEE10hipError_tPvRmT0_T1_T2_T3_T4_T5_mmT6_P12ihipStream_tbEUlT_E_NS1_11comp_targetILNS1_3genE5ELNS1_11target_archE942ELNS1_3gpuE9ELNS1_3repE0EEENS1_30default_config_static_selectorELNS0_4arch9wavefront6targetE1EEEvSQ_
	.globl	_ZN7rocprim17ROCPRIM_400000_NS6detail17trampoline_kernelINS0_14default_configENS1_21merge_config_selectorIjNS0_10empty_typeEEEZNS1_10merge_implIS3_N6thrust23THRUST_200600_302600_NS6detail15normal_iteratorINS9_10device_ptrIKjEEEESF_NS9_16discard_iteratorINS9_11use_defaultEEEPS5_SJ_SJ_NS9_4lessIjEEEE10hipError_tPvRmT0_T1_T2_T3_T4_T5_mmT6_P12ihipStream_tbEUlT_E_NS1_11comp_targetILNS1_3genE5ELNS1_11target_archE942ELNS1_3gpuE9ELNS1_3repE0EEENS1_30default_config_static_selectorELNS0_4arch9wavefront6targetE1EEEvSQ_
	.p2align	8
	.type	_ZN7rocprim17ROCPRIM_400000_NS6detail17trampoline_kernelINS0_14default_configENS1_21merge_config_selectorIjNS0_10empty_typeEEEZNS1_10merge_implIS3_N6thrust23THRUST_200600_302600_NS6detail15normal_iteratorINS9_10device_ptrIKjEEEESF_NS9_16discard_iteratorINS9_11use_defaultEEEPS5_SJ_SJ_NS9_4lessIjEEEE10hipError_tPvRmT0_T1_T2_T3_T4_T5_mmT6_P12ihipStream_tbEUlT_E_NS1_11comp_targetILNS1_3genE5ELNS1_11target_archE942ELNS1_3gpuE9ELNS1_3repE0EEENS1_30default_config_static_selectorELNS0_4arch9wavefront6targetE1EEEvSQ_,@function
_ZN7rocprim17ROCPRIM_400000_NS6detail17trampoline_kernelINS0_14default_configENS1_21merge_config_selectorIjNS0_10empty_typeEEEZNS1_10merge_implIS3_N6thrust23THRUST_200600_302600_NS6detail15normal_iteratorINS9_10device_ptrIKjEEEESF_NS9_16discard_iteratorINS9_11use_defaultEEEPS5_SJ_SJ_NS9_4lessIjEEEE10hipError_tPvRmT0_T1_T2_T3_T4_T5_mmT6_P12ihipStream_tbEUlT_E_NS1_11comp_targetILNS1_3genE5ELNS1_11target_archE942ELNS1_3gpuE9ELNS1_3repE0EEENS1_30default_config_static_selectorELNS0_4arch9wavefront6targetE1EEEvSQ_: ; @_ZN7rocprim17ROCPRIM_400000_NS6detail17trampoline_kernelINS0_14default_configENS1_21merge_config_selectorIjNS0_10empty_typeEEEZNS1_10merge_implIS3_N6thrust23THRUST_200600_302600_NS6detail15normal_iteratorINS9_10device_ptrIKjEEEESF_NS9_16discard_iteratorINS9_11use_defaultEEEPS5_SJ_SJ_NS9_4lessIjEEEE10hipError_tPvRmT0_T1_T2_T3_T4_T5_mmT6_P12ihipStream_tbEUlT_E_NS1_11comp_targetILNS1_3genE5ELNS1_11target_archE942ELNS1_3gpuE9ELNS1_3repE0EEENS1_30default_config_static_selectorELNS0_4arch9wavefront6targetE1EEEvSQ_
; %bb.0:
	.section	.rodata,"a",@progbits
	.p2align	6, 0x0
	.amdhsa_kernel _ZN7rocprim17ROCPRIM_400000_NS6detail17trampoline_kernelINS0_14default_configENS1_21merge_config_selectorIjNS0_10empty_typeEEEZNS1_10merge_implIS3_N6thrust23THRUST_200600_302600_NS6detail15normal_iteratorINS9_10device_ptrIKjEEEESF_NS9_16discard_iteratorINS9_11use_defaultEEEPS5_SJ_SJ_NS9_4lessIjEEEE10hipError_tPvRmT0_T1_T2_T3_T4_T5_mmT6_P12ihipStream_tbEUlT_E_NS1_11comp_targetILNS1_3genE5ELNS1_11target_archE942ELNS1_3gpuE9ELNS1_3repE0EEENS1_30default_config_static_selectorELNS0_4arch9wavefront6targetE1EEEvSQ_
		.amdhsa_group_segment_fixed_size 0
		.amdhsa_private_segment_fixed_size 0
		.amdhsa_kernarg_size 48
		.amdhsa_user_sgpr_count 6
		.amdhsa_user_sgpr_private_segment_buffer 1
		.amdhsa_user_sgpr_dispatch_ptr 0
		.amdhsa_user_sgpr_queue_ptr 0
		.amdhsa_user_sgpr_kernarg_segment_ptr 1
		.amdhsa_user_sgpr_dispatch_id 0
		.amdhsa_user_sgpr_flat_scratch_init 0
		.amdhsa_user_sgpr_kernarg_preload_length 0
		.amdhsa_user_sgpr_kernarg_preload_offset 0
		.amdhsa_user_sgpr_private_segment_size 0
		.amdhsa_uses_dynamic_stack 0
		.amdhsa_system_sgpr_private_segment_wavefront_offset 0
		.amdhsa_system_sgpr_workgroup_id_x 1
		.amdhsa_system_sgpr_workgroup_id_y 0
		.amdhsa_system_sgpr_workgroup_id_z 0
		.amdhsa_system_sgpr_workgroup_info 0
		.amdhsa_system_vgpr_workitem_id 0
		.amdhsa_next_free_vgpr 1
		.amdhsa_next_free_sgpr 0
		.amdhsa_accum_offset 4
		.amdhsa_reserve_vcc 0
		.amdhsa_reserve_flat_scratch 0
		.amdhsa_float_round_mode_32 0
		.amdhsa_float_round_mode_16_64 0
		.amdhsa_float_denorm_mode_32 3
		.amdhsa_float_denorm_mode_16_64 3
		.amdhsa_dx10_clamp 1
		.amdhsa_ieee_mode 1
		.amdhsa_fp16_overflow 0
		.amdhsa_tg_split 0
		.amdhsa_exception_fp_ieee_invalid_op 0
		.amdhsa_exception_fp_denorm_src 0
		.amdhsa_exception_fp_ieee_div_zero 0
		.amdhsa_exception_fp_ieee_overflow 0
		.amdhsa_exception_fp_ieee_underflow 0
		.amdhsa_exception_fp_ieee_inexact 0
		.amdhsa_exception_int_div_zero 0
	.end_amdhsa_kernel
	.section	.text._ZN7rocprim17ROCPRIM_400000_NS6detail17trampoline_kernelINS0_14default_configENS1_21merge_config_selectorIjNS0_10empty_typeEEEZNS1_10merge_implIS3_N6thrust23THRUST_200600_302600_NS6detail15normal_iteratorINS9_10device_ptrIKjEEEESF_NS9_16discard_iteratorINS9_11use_defaultEEEPS5_SJ_SJ_NS9_4lessIjEEEE10hipError_tPvRmT0_T1_T2_T3_T4_T5_mmT6_P12ihipStream_tbEUlT_E_NS1_11comp_targetILNS1_3genE5ELNS1_11target_archE942ELNS1_3gpuE9ELNS1_3repE0EEENS1_30default_config_static_selectorELNS0_4arch9wavefront6targetE1EEEvSQ_,"axG",@progbits,_ZN7rocprim17ROCPRIM_400000_NS6detail17trampoline_kernelINS0_14default_configENS1_21merge_config_selectorIjNS0_10empty_typeEEEZNS1_10merge_implIS3_N6thrust23THRUST_200600_302600_NS6detail15normal_iteratorINS9_10device_ptrIKjEEEESF_NS9_16discard_iteratorINS9_11use_defaultEEEPS5_SJ_SJ_NS9_4lessIjEEEE10hipError_tPvRmT0_T1_T2_T3_T4_T5_mmT6_P12ihipStream_tbEUlT_E_NS1_11comp_targetILNS1_3genE5ELNS1_11target_archE942ELNS1_3gpuE9ELNS1_3repE0EEENS1_30default_config_static_selectorELNS0_4arch9wavefront6targetE1EEEvSQ_,comdat
.Lfunc_end372:
	.size	_ZN7rocprim17ROCPRIM_400000_NS6detail17trampoline_kernelINS0_14default_configENS1_21merge_config_selectorIjNS0_10empty_typeEEEZNS1_10merge_implIS3_N6thrust23THRUST_200600_302600_NS6detail15normal_iteratorINS9_10device_ptrIKjEEEESF_NS9_16discard_iteratorINS9_11use_defaultEEEPS5_SJ_SJ_NS9_4lessIjEEEE10hipError_tPvRmT0_T1_T2_T3_T4_T5_mmT6_P12ihipStream_tbEUlT_E_NS1_11comp_targetILNS1_3genE5ELNS1_11target_archE942ELNS1_3gpuE9ELNS1_3repE0EEENS1_30default_config_static_selectorELNS0_4arch9wavefront6targetE1EEEvSQ_, .Lfunc_end372-_ZN7rocprim17ROCPRIM_400000_NS6detail17trampoline_kernelINS0_14default_configENS1_21merge_config_selectorIjNS0_10empty_typeEEEZNS1_10merge_implIS3_N6thrust23THRUST_200600_302600_NS6detail15normal_iteratorINS9_10device_ptrIKjEEEESF_NS9_16discard_iteratorINS9_11use_defaultEEEPS5_SJ_SJ_NS9_4lessIjEEEE10hipError_tPvRmT0_T1_T2_T3_T4_T5_mmT6_P12ihipStream_tbEUlT_E_NS1_11comp_targetILNS1_3genE5ELNS1_11target_archE942ELNS1_3gpuE9ELNS1_3repE0EEENS1_30default_config_static_selectorELNS0_4arch9wavefront6targetE1EEEvSQ_
                                        ; -- End function
	.section	.AMDGPU.csdata,"",@progbits
; Kernel info:
; codeLenInByte = 0
; NumSgprs: 4
; NumVgprs: 0
; NumAgprs: 0
; TotalNumVgprs: 0
; ScratchSize: 0
; MemoryBound: 0
; FloatMode: 240
; IeeeMode: 1
; LDSByteSize: 0 bytes/workgroup (compile time only)
; SGPRBlocks: 0
; VGPRBlocks: 0
; NumSGPRsForWavesPerEU: 4
; NumVGPRsForWavesPerEU: 1
; AccumOffset: 4
; Occupancy: 8
; WaveLimiterHint : 0
; COMPUTE_PGM_RSRC2:SCRATCH_EN: 0
; COMPUTE_PGM_RSRC2:USER_SGPR: 6
; COMPUTE_PGM_RSRC2:TRAP_HANDLER: 0
; COMPUTE_PGM_RSRC2:TGID_X_EN: 1
; COMPUTE_PGM_RSRC2:TGID_Y_EN: 0
; COMPUTE_PGM_RSRC2:TGID_Z_EN: 0
; COMPUTE_PGM_RSRC2:TIDIG_COMP_CNT: 0
; COMPUTE_PGM_RSRC3_GFX90A:ACCUM_OFFSET: 0
; COMPUTE_PGM_RSRC3_GFX90A:TG_SPLIT: 0
	.section	.text._ZN7rocprim17ROCPRIM_400000_NS6detail17trampoline_kernelINS0_14default_configENS1_21merge_config_selectorIjNS0_10empty_typeEEEZNS1_10merge_implIS3_N6thrust23THRUST_200600_302600_NS6detail15normal_iteratorINS9_10device_ptrIKjEEEESF_NS9_16discard_iteratorINS9_11use_defaultEEEPS5_SJ_SJ_NS9_4lessIjEEEE10hipError_tPvRmT0_T1_T2_T3_T4_T5_mmT6_P12ihipStream_tbEUlT_E_NS1_11comp_targetILNS1_3genE4ELNS1_11target_archE910ELNS1_3gpuE8ELNS1_3repE0EEENS1_30default_config_static_selectorELNS0_4arch9wavefront6targetE1EEEvSQ_,"axG",@progbits,_ZN7rocprim17ROCPRIM_400000_NS6detail17trampoline_kernelINS0_14default_configENS1_21merge_config_selectorIjNS0_10empty_typeEEEZNS1_10merge_implIS3_N6thrust23THRUST_200600_302600_NS6detail15normal_iteratorINS9_10device_ptrIKjEEEESF_NS9_16discard_iteratorINS9_11use_defaultEEEPS5_SJ_SJ_NS9_4lessIjEEEE10hipError_tPvRmT0_T1_T2_T3_T4_T5_mmT6_P12ihipStream_tbEUlT_E_NS1_11comp_targetILNS1_3genE4ELNS1_11target_archE910ELNS1_3gpuE8ELNS1_3repE0EEENS1_30default_config_static_selectorELNS0_4arch9wavefront6targetE1EEEvSQ_,comdat
	.protected	_ZN7rocprim17ROCPRIM_400000_NS6detail17trampoline_kernelINS0_14default_configENS1_21merge_config_selectorIjNS0_10empty_typeEEEZNS1_10merge_implIS3_N6thrust23THRUST_200600_302600_NS6detail15normal_iteratorINS9_10device_ptrIKjEEEESF_NS9_16discard_iteratorINS9_11use_defaultEEEPS5_SJ_SJ_NS9_4lessIjEEEE10hipError_tPvRmT0_T1_T2_T3_T4_T5_mmT6_P12ihipStream_tbEUlT_E_NS1_11comp_targetILNS1_3genE4ELNS1_11target_archE910ELNS1_3gpuE8ELNS1_3repE0EEENS1_30default_config_static_selectorELNS0_4arch9wavefront6targetE1EEEvSQ_ ; -- Begin function _ZN7rocprim17ROCPRIM_400000_NS6detail17trampoline_kernelINS0_14default_configENS1_21merge_config_selectorIjNS0_10empty_typeEEEZNS1_10merge_implIS3_N6thrust23THRUST_200600_302600_NS6detail15normal_iteratorINS9_10device_ptrIKjEEEESF_NS9_16discard_iteratorINS9_11use_defaultEEEPS5_SJ_SJ_NS9_4lessIjEEEE10hipError_tPvRmT0_T1_T2_T3_T4_T5_mmT6_P12ihipStream_tbEUlT_E_NS1_11comp_targetILNS1_3genE4ELNS1_11target_archE910ELNS1_3gpuE8ELNS1_3repE0EEENS1_30default_config_static_selectorELNS0_4arch9wavefront6targetE1EEEvSQ_
	.globl	_ZN7rocprim17ROCPRIM_400000_NS6detail17trampoline_kernelINS0_14default_configENS1_21merge_config_selectorIjNS0_10empty_typeEEEZNS1_10merge_implIS3_N6thrust23THRUST_200600_302600_NS6detail15normal_iteratorINS9_10device_ptrIKjEEEESF_NS9_16discard_iteratorINS9_11use_defaultEEEPS5_SJ_SJ_NS9_4lessIjEEEE10hipError_tPvRmT0_T1_T2_T3_T4_T5_mmT6_P12ihipStream_tbEUlT_E_NS1_11comp_targetILNS1_3genE4ELNS1_11target_archE910ELNS1_3gpuE8ELNS1_3repE0EEENS1_30default_config_static_selectorELNS0_4arch9wavefront6targetE1EEEvSQ_
	.p2align	8
	.type	_ZN7rocprim17ROCPRIM_400000_NS6detail17trampoline_kernelINS0_14default_configENS1_21merge_config_selectorIjNS0_10empty_typeEEEZNS1_10merge_implIS3_N6thrust23THRUST_200600_302600_NS6detail15normal_iteratorINS9_10device_ptrIKjEEEESF_NS9_16discard_iteratorINS9_11use_defaultEEEPS5_SJ_SJ_NS9_4lessIjEEEE10hipError_tPvRmT0_T1_T2_T3_T4_T5_mmT6_P12ihipStream_tbEUlT_E_NS1_11comp_targetILNS1_3genE4ELNS1_11target_archE910ELNS1_3gpuE8ELNS1_3repE0EEENS1_30default_config_static_selectorELNS0_4arch9wavefront6targetE1EEEvSQ_,@function
_ZN7rocprim17ROCPRIM_400000_NS6detail17trampoline_kernelINS0_14default_configENS1_21merge_config_selectorIjNS0_10empty_typeEEEZNS1_10merge_implIS3_N6thrust23THRUST_200600_302600_NS6detail15normal_iteratorINS9_10device_ptrIKjEEEESF_NS9_16discard_iteratorINS9_11use_defaultEEEPS5_SJ_SJ_NS9_4lessIjEEEE10hipError_tPvRmT0_T1_T2_T3_T4_T5_mmT6_P12ihipStream_tbEUlT_E_NS1_11comp_targetILNS1_3genE4ELNS1_11target_archE910ELNS1_3gpuE8ELNS1_3repE0EEENS1_30default_config_static_selectorELNS0_4arch9wavefront6targetE1EEEvSQ_: ; @_ZN7rocprim17ROCPRIM_400000_NS6detail17trampoline_kernelINS0_14default_configENS1_21merge_config_selectorIjNS0_10empty_typeEEEZNS1_10merge_implIS3_N6thrust23THRUST_200600_302600_NS6detail15normal_iteratorINS9_10device_ptrIKjEEEESF_NS9_16discard_iteratorINS9_11use_defaultEEEPS5_SJ_SJ_NS9_4lessIjEEEE10hipError_tPvRmT0_T1_T2_T3_T4_T5_mmT6_P12ihipStream_tbEUlT_E_NS1_11comp_targetILNS1_3genE4ELNS1_11target_archE910ELNS1_3gpuE8ELNS1_3repE0EEENS1_30default_config_static_selectorELNS0_4arch9wavefront6targetE1EEEvSQ_
; %bb.0:
	s_load_dword s7, s[4:5], 0x28
	s_load_dword s0, s[4:5], 0x3c
	s_load_dwordx4 s[8:11], s[4:5], 0x18
	s_waitcnt lgkmcnt(0)
	v_cvt_f32_u32_e32 v1, s7
	s_and_b32 s0, s0, 0xffff
	s_add_u32 s12, s10, s8
	s_addc_u32 s13, s11, s9
	v_rcp_iflag_f32_e32 v1, v1
	s_sub_i32 s1, 0, s7
	s_mul_i32 s6, s6, s0
	s_add_i32 s0, s7, s12
	v_mul_f32_e32 v1, 0x4f7ffffe, v1
	v_cvt_u32_f32_e32 v1, v1
	s_add_i32 s0, s0, -1
	v_add_u32_e32 v0, s6, v0
	v_readfirstlane_b32 s2, v1
	s_mul_i32 s1, s1, s2
	s_mul_hi_u32 s1, s2, s1
	s_add_i32 s2, s2, s1
	s_mul_hi_u32 s1, s0, s2
	s_mul_i32 s2, s1, s7
	s_sub_i32 s0, s0, s2
	s_add_i32 s3, s1, 1
	s_sub_i32 s2, s0, s7
	s_cmp_ge_u32 s0, s7
	s_cselect_b32 s1, s3, s1
	s_cselect_b32 s0, s2, s0
	s_add_i32 s2, s1, 1
	s_cmp_ge_u32 s0, s7
	s_cselect_b32 s0, s2, s1
	v_cmp_ge_u32_e32 vcc, s0, v0
	s_and_saveexec_b64 s[0:1], vcc
	s_cbranch_execz .LBB373_6
; %bb.1:
	v_mul_lo_u32 v2, v0, s7
	v_mov_b32_e32 v3, 0
	v_mov_b32_e32 v1, s13
	v_cmp_gt_u64_e32 vcc, s[12:13], v[2:3]
	v_cndmask_b32_e64 v7, v1, 0, vcc
	v_mov_b32_e32 v1, s12
	v_cndmask_b32_e32 v6, v1, v2, vcc
	v_mov_b32_e32 v1, s11
	v_subrev_co_u32_e32 v2, vcc, s10, v6
	v_subb_co_u32_e32 v3, vcc, v7, v1, vcc
	s_load_dwordx4 s[0:3], s[4:5], 0x0
	v_cmp_gt_u64_e32 vcc, v[2:3], v[6:7]
	v_cndmask_b32_e64 v3, v3, 0, vcc
	v_cndmask_b32_e64 v2, v2, 0, vcc
	v_mov_b32_e32 v1, s9
	v_cmp_gt_u64_e32 vcc, s[8:9], v[6:7]
	v_cndmask_b32_e32 v5, v1, v7, vcc
	v_mov_b32_e32 v1, s8
	v_cndmask_b32_e32 v4, v1, v6, vcc
	v_cmp_lt_u64_e32 vcc, v[2:3], v[4:5]
	s_and_saveexec_b64 s[6:7], vcc
	s_cbranch_execz .LBB373_5
; %bb.2:
	s_load_dwordx2 s[4:5], s[4:5], 0x10
	v_lshlrev_b64 v[6:7], 2, v[6:7]
	s_waitcnt lgkmcnt(0)
	v_mov_b32_e32 v8, s5
	v_add_co_u32_e32 v1, vcc, s4, v6
	v_addc_co_u32_e32 v6, vcc, v8, v7, vcc
	s_mov_b64 s[4:5], 0
	v_mov_b32_e32 v7, s3
.LBB373_3:                              ; =>This Inner Loop Header: Depth=1
	v_add_co_u32_e32 v8, vcc, v4, v2
	v_addc_co_u32_e32 v9, vcc, v5, v3, vcc
	v_lshrrev_b64 v[8:9], 1, v[8:9]
	v_lshlrev_b64 v[12:13], 2, v[8:9]
	v_not_b32_e32 v11, v9
	v_not_b32_e32 v10, v8
	v_add_co_u32_e32 v12, vcc, s2, v12
	v_addc_co_u32_e32 v13, vcc, v7, v13, vcc
	v_lshlrev_b64 v[10:11], 2, v[10:11]
	v_add_co_u32_e32 v10, vcc, v1, v10
	v_addc_co_u32_e32 v11, vcc, v6, v11, vcc
	global_load_dword v12, v[12:13], off
	s_nop 0
	global_load_dword v10, v[10:11], off
	v_add_co_u32_e32 v11, vcc, 1, v8
	v_addc_co_u32_e32 v13, vcc, 0, v9, vcc
	s_waitcnt vmcnt(0)
	v_cmp_lt_u32_e32 vcc, v10, v12
	v_cndmask_b32_e32 v5, v5, v9, vcc
	v_cndmask_b32_e32 v4, v4, v8, vcc
	;; [unrolled: 1-line block ×4, first 2 shown]
	v_cmp_ge_u64_e32 vcc, v[2:3], v[4:5]
	s_or_b64 s[4:5], vcc, s[4:5]
	s_andn2_b64 exec, exec, s[4:5]
	s_cbranch_execnz .LBB373_3
; %bb.4:
	s_or_b64 exec, exec, s[4:5]
.LBB373_5:
	s_or_b64 exec, exec, s[6:7]
	v_mov_b32_e32 v1, 0
	v_lshlrev_b64 v[0:1], 2, v[0:1]
	s_waitcnt lgkmcnt(0)
	v_mov_b32_e32 v3, s1
	v_add_co_u32_e32 v0, vcc, s0, v0
	v_addc_co_u32_e32 v1, vcc, v3, v1, vcc
	global_store_dword v[0:1], v2, off
.LBB373_6:
	s_endpgm
	.section	.rodata,"a",@progbits
	.p2align	6, 0x0
	.amdhsa_kernel _ZN7rocprim17ROCPRIM_400000_NS6detail17trampoline_kernelINS0_14default_configENS1_21merge_config_selectorIjNS0_10empty_typeEEEZNS1_10merge_implIS3_N6thrust23THRUST_200600_302600_NS6detail15normal_iteratorINS9_10device_ptrIKjEEEESF_NS9_16discard_iteratorINS9_11use_defaultEEEPS5_SJ_SJ_NS9_4lessIjEEEE10hipError_tPvRmT0_T1_T2_T3_T4_T5_mmT6_P12ihipStream_tbEUlT_E_NS1_11comp_targetILNS1_3genE4ELNS1_11target_archE910ELNS1_3gpuE8ELNS1_3repE0EEENS1_30default_config_static_selectorELNS0_4arch9wavefront6targetE1EEEvSQ_
		.amdhsa_group_segment_fixed_size 0
		.amdhsa_private_segment_fixed_size 0
		.amdhsa_kernarg_size 304
		.amdhsa_user_sgpr_count 6
		.amdhsa_user_sgpr_private_segment_buffer 1
		.amdhsa_user_sgpr_dispatch_ptr 0
		.amdhsa_user_sgpr_queue_ptr 0
		.amdhsa_user_sgpr_kernarg_segment_ptr 1
		.amdhsa_user_sgpr_dispatch_id 0
		.amdhsa_user_sgpr_flat_scratch_init 0
		.amdhsa_user_sgpr_kernarg_preload_length 0
		.amdhsa_user_sgpr_kernarg_preload_offset 0
		.amdhsa_user_sgpr_private_segment_size 0
		.amdhsa_uses_dynamic_stack 0
		.amdhsa_system_sgpr_private_segment_wavefront_offset 0
		.amdhsa_system_sgpr_workgroup_id_x 1
		.amdhsa_system_sgpr_workgroup_id_y 0
		.amdhsa_system_sgpr_workgroup_id_z 0
		.amdhsa_system_sgpr_workgroup_info 0
		.amdhsa_system_vgpr_workitem_id 0
		.amdhsa_next_free_vgpr 14
		.amdhsa_next_free_sgpr 14
		.amdhsa_accum_offset 16
		.amdhsa_reserve_vcc 1
		.amdhsa_reserve_flat_scratch 0
		.amdhsa_float_round_mode_32 0
		.amdhsa_float_round_mode_16_64 0
		.amdhsa_float_denorm_mode_32 3
		.amdhsa_float_denorm_mode_16_64 3
		.amdhsa_dx10_clamp 1
		.amdhsa_ieee_mode 1
		.amdhsa_fp16_overflow 0
		.amdhsa_tg_split 0
		.amdhsa_exception_fp_ieee_invalid_op 0
		.amdhsa_exception_fp_denorm_src 0
		.amdhsa_exception_fp_ieee_div_zero 0
		.amdhsa_exception_fp_ieee_overflow 0
		.amdhsa_exception_fp_ieee_underflow 0
		.amdhsa_exception_fp_ieee_inexact 0
		.amdhsa_exception_int_div_zero 0
	.end_amdhsa_kernel
	.section	.text._ZN7rocprim17ROCPRIM_400000_NS6detail17trampoline_kernelINS0_14default_configENS1_21merge_config_selectorIjNS0_10empty_typeEEEZNS1_10merge_implIS3_N6thrust23THRUST_200600_302600_NS6detail15normal_iteratorINS9_10device_ptrIKjEEEESF_NS9_16discard_iteratorINS9_11use_defaultEEEPS5_SJ_SJ_NS9_4lessIjEEEE10hipError_tPvRmT0_T1_T2_T3_T4_T5_mmT6_P12ihipStream_tbEUlT_E_NS1_11comp_targetILNS1_3genE4ELNS1_11target_archE910ELNS1_3gpuE8ELNS1_3repE0EEENS1_30default_config_static_selectorELNS0_4arch9wavefront6targetE1EEEvSQ_,"axG",@progbits,_ZN7rocprim17ROCPRIM_400000_NS6detail17trampoline_kernelINS0_14default_configENS1_21merge_config_selectorIjNS0_10empty_typeEEEZNS1_10merge_implIS3_N6thrust23THRUST_200600_302600_NS6detail15normal_iteratorINS9_10device_ptrIKjEEEESF_NS9_16discard_iteratorINS9_11use_defaultEEEPS5_SJ_SJ_NS9_4lessIjEEEE10hipError_tPvRmT0_T1_T2_T3_T4_T5_mmT6_P12ihipStream_tbEUlT_E_NS1_11comp_targetILNS1_3genE4ELNS1_11target_archE910ELNS1_3gpuE8ELNS1_3repE0EEENS1_30default_config_static_selectorELNS0_4arch9wavefront6targetE1EEEvSQ_,comdat
.Lfunc_end373:
	.size	_ZN7rocprim17ROCPRIM_400000_NS6detail17trampoline_kernelINS0_14default_configENS1_21merge_config_selectorIjNS0_10empty_typeEEEZNS1_10merge_implIS3_N6thrust23THRUST_200600_302600_NS6detail15normal_iteratorINS9_10device_ptrIKjEEEESF_NS9_16discard_iteratorINS9_11use_defaultEEEPS5_SJ_SJ_NS9_4lessIjEEEE10hipError_tPvRmT0_T1_T2_T3_T4_T5_mmT6_P12ihipStream_tbEUlT_E_NS1_11comp_targetILNS1_3genE4ELNS1_11target_archE910ELNS1_3gpuE8ELNS1_3repE0EEENS1_30default_config_static_selectorELNS0_4arch9wavefront6targetE1EEEvSQ_, .Lfunc_end373-_ZN7rocprim17ROCPRIM_400000_NS6detail17trampoline_kernelINS0_14default_configENS1_21merge_config_selectorIjNS0_10empty_typeEEEZNS1_10merge_implIS3_N6thrust23THRUST_200600_302600_NS6detail15normal_iteratorINS9_10device_ptrIKjEEEESF_NS9_16discard_iteratorINS9_11use_defaultEEEPS5_SJ_SJ_NS9_4lessIjEEEE10hipError_tPvRmT0_T1_T2_T3_T4_T5_mmT6_P12ihipStream_tbEUlT_E_NS1_11comp_targetILNS1_3genE4ELNS1_11target_archE910ELNS1_3gpuE8ELNS1_3repE0EEENS1_30default_config_static_selectorELNS0_4arch9wavefront6targetE1EEEvSQ_
                                        ; -- End function
	.section	.AMDGPU.csdata,"",@progbits
; Kernel info:
; codeLenInByte = 476
; NumSgprs: 18
; NumVgprs: 14
; NumAgprs: 0
; TotalNumVgprs: 14
; ScratchSize: 0
; MemoryBound: 0
; FloatMode: 240
; IeeeMode: 1
; LDSByteSize: 0 bytes/workgroup (compile time only)
; SGPRBlocks: 2
; VGPRBlocks: 1
; NumSGPRsForWavesPerEU: 18
; NumVGPRsForWavesPerEU: 14
; AccumOffset: 16
; Occupancy: 8
; WaveLimiterHint : 0
; COMPUTE_PGM_RSRC2:SCRATCH_EN: 0
; COMPUTE_PGM_RSRC2:USER_SGPR: 6
; COMPUTE_PGM_RSRC2:TRAP_HANDLER: 0
; COMPUTE_PGM_RSRC2:TGID_X_EN: 1
; COMPUTE_PGM_RSRC2:TGID_Y_EN: 0
; COMPUTE_PGM_RSRC2:TGID_Z_EN: 0
; COMPUTE_PGM_RSRC2:TIDIG_COMP_CNT: 0
; COMPUTE_PGM_RSRC3_GFX90A:ACCUM_OFFSET: 3
; COMPUTE_PGM_RSRC3_GFX90A:TG_SPLIT: 0
	.section	.text._ZN7rocprim17ROCPRIM_400000_NS6detail17trampoline_kernelINS0_14default_configENS1_21merge_config_selectorIjNS0_10empty_typeEEEZNS1_10merge_implIS3_N6thrust23THRUST_200600_302600_NS6detail15normal_iteratorINS9_10device_ptrIKjEEEESF_NS9_16discard_iteratorINS9_11use_defaultEEEPS5_SJ_SJ_NS9_4lessIjEEEE10hipError_tPvRmT0_T1_T2_T3_T4_T5_mmT6_P12ihipStream_tbEUlT_E_NS1_11comp_targetILNS1_3genE3ELNS1_11target_archE908ELNS1_3gpuE7ELNS1_3repE0EEENS1_30default_config_static_selectorELNS0_4arch9wavefront6targetE1EEEvSQ_,"axG",@progbits,_ZN7rocprim17ROCPRIM_400000_NS6detail17trampoline_kernelINS0_14default_configENS1_21merge_config_selectorIjNS0_10empty_typeEEEZNS1_10merge_implIS3_N6thrust23THRUST_200600_302600_NS6detail15normal_iteratorINS9_10device_ptrIKjEEEESF_NS9_16discard_iteratorINS9_11use_defaultEEEPS5_SJ_SJ_NS9_4lessIjEEEE10hipError_tPvRmT0_T1_T2_T3_T4_T5_mmT6_P12ihipStream_tbEUlT_E_NS1_11comp_targetILNS1_3genE3ELNS1_11target_archE908ELNS1_3gpuE7ELNS1_3repE0EEENS1_30default_config_static_selectorELNS0_4arch9wavefront6targetE1EEEvSQ_,comdat
	.protected	_ZN7rocprim17ROCPRIM_400000_NS6detail17trampoline_kernelINS0_14default_configENS1_21merge_config_selectorIjNS0_10empty_typeEEEZNS1_10merge_implIS3_N6thrust23THRUST_200600_302600_NS6detail15normal_iteratorINS9_10device_ptrIKjEEEESF_NS9_16discard_iteratorINS9_11use_defaultEEEPS5_SJ_SJ_NS9_4lessIjEEEE10hipError_tPvRmT0_T1_T2_T3_T4_T5_mmT6_P12ihipStream_tbEUlT_E_NS1_11comp_targetILNS1_3genE3ELNS1_11target_archE908ELNS1_3gpuE7ELNS1_3repE0EEENS1_30default_config_static_selectorELNS0_4arch9wavefront6targetE1EEEvSQ_ ; -- Begin function _ZN7rocprim17ROCPRIM_400000_NS6detail17trampoline_kernelINS0_14default_configENS1_21merge_config_selectorIjNS0_10empty_typeEEEZNS1_10merge_implIS3_N6thrust23THRUST_200600_302600_NS6detail15normal_iteratorINS9_10device_ptrIKjEEEESF_NS9_16discard_iteratorINS9_11use_defaultEEEPS5_SJ_SJ_NS9_4lessIjEEEE10hipError_tPvRmT0_T1_T2_T3_T4_T5_mmT6_P12ihipStream_tbEUlT_E_NS1_11comp_targetILNS1_3genE3ELNS1_11target_archE908ELNS1_3gpuE7ELNS1_3repE0EEENS1_30default_config_static_selectorELNS0_4arch9wavefront6targetE1EEEvSQ_
	.globl	_ZN7rocprim17ROCPRIM_400000_NS6detail17trampoline_kernelINS0_14default_configENS1_21merge_config_selectorIjNS0_10empty_typeEEEZNS1_10merge_implIS3_N6thrust23THRUST_200600_302600_NS6detail15normal_iteratorINS9_10device_ptrIKjEEEESF_NS9_16discard_iteratorINS9_11use_defaultEEEPS5_SJ_SJ_NS9_4lessIjEEEE10hipError_tPvRmT0_T1_T2_T3_T4_T5_mmT6_P12ihipStream_tbEUlT_E_NS1_11comp_targetILNS1_3genE3ELNS1_11target_archE908ELNS1_3gpuE7ELNS1_3repE0EEENS1_30default_config_static_selectorELNS0_4arch9wavefront6targetE1EEEvSQ_
	.p2align	8
	.type	_ZN7rocprim17ROCPRIM_400000_NS6detail17trampoline_kernelINS0_14default_configENS1_21merge_config_selectorIjNS0_10empty_typeEEEZNS1_10merge_implIS3_N6thrust23THRUST_200600_302600_NS6detail15normal_iteratorINS9_10device_ptrIKjEEEESF_NS9_16discard_iteratorINS9_11use_defaultEEEPS5_SJ_SJ_NS9_4lessIjEEEE10hipError_tPvRmT0_T1_T2_T3_T4_T5_mmT6_P12ihipStream_tbEUlT_E_NS1_11comp_targetILNS1_3genE3ELNS1_11target_archE908ELNS1_3gpuE7ELNS1_3repE0EEENS1_30default_config_static_selectorELNS0_4arch9wavefront6targetE1EEEvSQ_,@function
_ZN7rocprim17ROCPRIM_400000_NS6detail17trampoline_kernelINS0_14default_configENS1_21merge_config_selectorIjNS0_10empty_typeEEEZNS1_10merge_implIS3_N6thrust23THRUST_200600_302600_NS6detail15normal_iteratorINS9_10device_ptrIKjEEEESF_NS9_16discard_iteratorINS9_11use_defaultEEEPS5_SJ_SJ_NS9_4lessIjEEEE10hipError_tPvRmT0_T1_T2_T3_T4_T5_mmT6_P12ihipStream_tbEUlT_E_NS1_11comp_targetILNS1_3genE3ELNS1_11target_archE908ELNS1_3gpuE7ELNS1_3repE0EEENS1_30default_config_static_selectorELNS0_4arch9wavefront6targetE1EEEvSQ_: ; @_ZN7rocprim17ROCPRIM_400000_NS6detail17trampoline_kernelINS0_14default_configENS1_21merge_config_selectorIjNS0_10empty_typeEEEZNS1_10merge_implIS3_N6thrust23THRUST_200600_302600_NS6detail15normal_iteratorINS9_10device_ptrIKjEEEESF_NS9_16discard_iteratorINS9_11use_defaultEEEPS5_SJ_SJ_NS9_4lessIjEEEE10hipError_tPvRmT0_T1_T2_T3_T4_T5_mmT6_P12ihipStream_tbEUlT_E_NS1_11comp_targetILNS1_3genE3ELNS1_11target_archE908ELNS1_3gpuE7ELNS1_3repE0EEENS1_30default_config_static_selectorELNS0_4arch9wavefront6targetE1EEEvSQ_
; %bb.0:
	.section	.rodata,"a",@progbits
	.p2align	6, 0x0
	.amdhsa_kernel _ZN7rocprim17ROCPRIM_400000_NS6detail17trampoline_kernelINS0_14default_configENS1_21merge_config_selectorIjNS0_10empty_typeEEEZNS1_10merge_implIS3_N6thrust23THRUST_200600_302600_NS6detail15normal_iteratorINS9_10device_ptrIKjEEEESF_NS9_16discard_iteratorINS9_11use_defaultEEEPS5_SJ_SJ_NS9_4lessIjEEEE10hipError_tPvRmT0_T1_T2_T3_T4_T5_mmT6_P12ihipStream_tbEUlT_E_NS1_11comp_targetILNS1_3genE3ELNS1_11target_archE908ELNS1_3gpuE7ELNS1_3repE0EEENS1_30default_config_static_selectorELNS0_4arch9wavefront6targetE1EEEvSQ_
		.amdhsa_group_segment_fixed_size 0
		.amdhsa_private_segment_fixed_size 0
		.amdhsa_kernarg_size 48
		.amdhsa_user_sgpr_count 6
		.amdhsa_user_sgpr_private_segment_buffer 1
		.amdhsa_user_sgpr_dispatch_ptr 0
		.amdhsa_user_sgpr_queue_ptr 0
		.amdhsa_user_sgpr_kernarg_segment_ptr 1
		.amdhsa_user_sgpr_dispatch_id 0
		.amdhsa_user_sgpr_flat_scratch_init 0
		.amdhsa_user_sgpr_kernarg_preload_length 0
		.amdhsa_user_sgpr_kernarg_preload_offset 0
		.amdhsa_user_sgpr_private_segment_size 0
		.amdhsa_uses_dynamic_stack 0
		.amdhsa_system_sgpr_private_segment_wavefront_offset 0
		.amdhsa_system_sgpr_workgroup_id_x 1
		.amdhsa_system_sgpr_workgroup_id_y 0
		.amdhsa_system_sgpr_workgroup_id_z 0
		.amdhsa_system_sgpr_workgroup_info 0
		.amdhsa_system_vgpr_workitem_id 0
		.amdhsa_next_free_vgpr 1
		.amdhsa_next_free_sgpr 0
		.amdhsa_accum_offset 4
		.amdhsa_reserve_vcc 0
		.amdhsa_reserve_flat_scratch 0
		.amdhsa_float_round_mode_32 0
		.amdhsa_float_round_mode_16_64 0
		.amdhsa_float_denorm_mode_32 3
		.amdhsa_float_denorm_mode_16_64 3
		.amdhsa_dx10_clamp 1
		.amdhsa_ieee_mode 1
		.amdhsa_fp16_overflow 0
		.amdhsa_tg_split 0
		.amdhsa_exception_fp_ieee_invalid_op 0
		.amdhsa_exception_fp_denorm_src 0
		.amdhsa_exception_fp_ieee_div_zero 0
		.amdhsa_exception_fp_ieee_overflow 0
		.amdhsa_exception_fp_ieee_underflow 0
		.amdhsa_exception_fp_ieee_inexact 0
		.amdhsa_exception_int_div_zero 0
	.end_amdhsa_kernel
	.section	.text._ZN7rocprim17ROCPRIM_400000_NS6detail17trampoline_kernelINS0_14default_configENS1_21merge_config_selectorIjNS0_10empty_typeEEEZNS1_10merge_implIS3_N6thrust23THRUST_200600_302600_NS6detail15normal_iteratorINS9_10device_ptrIKjEEEESF_NS9_16discard_iteratorINS9_11use_defaultEEEPS5_SJ_SJ_NS9_4lessIjEEEE10hipError_tPvRmT0_T1_T2_T3_T4_T5_mmT6_P12ihipStream_tbEUlT_E_NS1_11comp_targetILNS1_3genE3ELNS1_11target_archE908ELNS1_3gpuE7ELNS1_3repE0EEENS1_30default_config_static_selectorELNS0_4arch9wavefront6targetE1EEEvSQ_,"axG",@progbits,_ZN7rocprim17ROCPRIM_400000_NS6detail17trampoline_kernelINS0_14default_configENS1_21merge_config_selectorIjNS0_10empty_typeEEEZNS1_10merge_implIS3_N6thrust23THRUST_200600_302600_NS6detail15normal_iteratorINS9_10device_ptrIKjEEEESF_NS9_16discard_iteratorINS9_11use_defaultEEEPS5_SJ_SJ_NS9_4lessIjEEEE10hipError_tPvRmT0_T1_T2_T3_T4_T5_mmT6_P12ihipStream_tbEUlT_E_NS1_11comp_targetILNS1_3genE3ELNS1_11target_archE908ELNS1_3gpuE7ELNS1_3repE0EEENS1_30default_config_static_selectorELNS0_4arch9wavefront6targetE1EEEvSQ_,comdat
.Lfunc_end374:
	.size	_ZN7rocprim17ROCPRIM_400000_NS6detail17trampoline_kernelINS0_14default_configENS1_21merge_config_selectorIjNS0_10empty_typeEEEZNS1_10merge_implIS3_N6thrust23THRUST_200600_302600_NS6detail15normal_iteratorINS9_10device_ptrIKjEEEESF_NS9_16discard_iteratorINS9_11use_defaultEEEPS5_SJ_SJ_NS9_4lessIjEEEE10hipError_tPvRmT0_T1_T2_T3_T4_T5_mmT6_P12ihipStream_tbEUlT_E_NS1_11comp_targetILNS1_3genE3ELNS1_11target_archE908ELNS1_3gpuE7ELNS1_3repE0EEENS1_30default_config_static_selectorELNS0_4arch9wavefront6targetE1EEEvSQ_, .Lfunc_end374-_ZN7rocprim17ROCPRIM_400000_NS6detail17trampoline_kernelINS0_14default_configENS1_21merge_config_selectorIjNS0_10empty_typeEEEZNS1_10merge_implIS3_N6thrust23THRUST_200600_302600_NS6detail15normal_iteratorINS9_10device_ptrIKjEEEESF_NS9_16discard_iteratorINS9_11use_defaultEEEPS5_SJ_SJ_NS9_4lessIjEEEE10hipError_tPvRmT0_T1_T2_T3_T4_T5_mmT6_P12ihipStream_tbEUlT_E_NS1_11comp_targetILNS1_3genE3ELNS1_11target_archE908ELNS1_3gpuE7ELNS1_3repE0EEENS1_30default_config_static_selectorELNS0_4arch9wavefront6targetE1EEEvSQ_
                                        ; -- End function
	.section	.AMDGPU.csdata,"",@progbits
; Kernel info:
; codeLenInByte = 0
; NumSgprs: 4
; NumVgprs: 0
; NumAgprs: 0
; TotalNumVgprs: 0
; ScratchSize: 0
; MemoryBound: 0
; FloatMode: 240
; IeeeMode: 1
; LDSByteSize: 0 bytes/workgroup (compile time only)
; SGPRBlocks: 0
; VGPRBlocks: 0
; NumSGPRsForWavesPerEU: 4
; NumVGPRsForWavesPerEU: 1
; AccumOffset: 4
; Occupancy: 8
; WaveLimiterHint : 0
; COMPUTE_PGM_RSRC2:SCRATCH_EN: 0
; COMPUTE_PGM_RSRC2:USER_SGPR: 6
; COMPUTE_PGM_RSRC2:TRAP_HANDLER: 0
; COMPUTE_PGM_RSRC2:TGID_X_EN: 1
; COMPUTE_PGM_RSRC2:TGID_Y_EN: 0
; COMPUTE_PGM_RSRC2:TGID_Z_EN: 0
; COMPUTE_PGM_RSRC2:TIDIG_COMP_CNT: 0
; COMPUTE_PGM_RSRC3_GFX90A:ACCUM_OFFSET: 0
; COMPUTE_PGM_RSRC3_GFX90A:TG_SPLIT: 0
	.section	.text._ZN7rocprim17ROCPRIM_400000_NS6detail17trampoline_kernelINS0_14default_configENS1_21merge_config_selectorIjNS0_10empty_typeEEEZNS1_10merge_implIS3_N6thrust23THRUST_200600_302600_NS6detail15normal_iteratorINS9_10device_ptrIKjEEEESF_NS9_16discard_iteratorINS9_11use_defaultEEEPS5_SJ_SJ_NS9_4lessIjEEEE10hipError_tPvRmT0_T1_T2_T3_T4_T5_mmT6_P12ihipStream_tbEUlT_E_NS1_11comp_targetILNS1_3genE2ELNS1_11target_archE906ELNS1_3gpuE6ELNS1_3repE0EEENS1_30default_config_static_selectorELNS0_4arch9wavefront6targetE1EEEvSQ_,"axG",@progbits,_ZN7rocprim17ROCPRIM_400000_NS6detail17trampoline_kernelINS0_14default_configENS1_21merge_config_selectorIjNS0_10empty_typeEEEZNS1_10merge_implIS3_N6thrust23THRUST_200600_302600_NS6detail15normal_iteratorINS9_10device_ptrIKjEEEESF_NS9_16discard_iteratorINS9_11use_defaultEEEPS5_SJ_SJ_NS9_4lessIjEEEE10hipError_tPvRmT0_T1_T2_T3_T4_T5_mmT6_P12ihipStream_tbEUlT_E_NS1_11comp_targetILNS1_3genE2ELNS1_11target_archE906ELNS1_3gpuE6ELNS1_3repE0EEENS1_30default_config_static_selectorELNS0_4arch9wavefront6targetE1EEEvSQ_,comdat
	.protected	_ZN7rocprim17ROCPRIM_400000_NS6detail17trampoline_kernelINS0_14default_configENS1_21merge_config_selectorIjNS0_10empty_typeEEEZNS1_10merge_implIS3_N6thrust23THRUST_200600_302600_NS6detail15normal_iteratorINS9_10device_ptrIKjEEEESF_NS9_16discard_iteratorINS9_11use_defaultEEEPS5_SJ_SJ_NS9_4lessIjEEEE10hipError_tPvRmT0_T1_T2_T3_T4_T5_mmT6_P12ihipStream_tbEUlT_E_NS1_11comp_targetILNS1_3genE2ELNS1_11target_archE906ELNS1_3gpuE6ELNS1_3repE0EEENS1_30default_config_static_selectorELNS0_4arch9wavefront6targetE1EEEvSQ_ ; -- Begin function _ZN7rocprim17ROCPRIM_400000_NS6detail17trampoline_kernelINS0_14default_configENS1_21merge_config_selectorIjNS0_10empty_typeEEEZNS1_10merge_implIS3_N6thrust23THRUST_200600_302600_NS6detail15normal_iteratorINS9_10device_ptrIKjEEEESF_NS9_16discard_iteratorINS9_11use_defaultEEEPS5_SJ_SJ_NS9_4lessIjEEEE10hipError_tPvRmT0_T1_T2_T3_T4_T5_mmT6_P12ihipStream_tbEUlT_E_NS1_11comp_targetILNS1_3genE2ELNS1_11target_archE906ELNS1_3gpuE6ELNS1_3repE0EEENS1_30default_config_static_selectorELNS0_4arch9wavefront6targetE1EEEvSQ_
	.globl	_ZN7rocprim17ROCPRIM_400000_NS6detail17trampoline_kernelINS0_14default_configENS1_21merge_config_selectorIjNS0_10empty_typeEEEZNS1_10merge_implIS3_N6thrust23THRUST_200600_302600_NS6detail15normal_iteratorINS9_10device_ptrIKjEEEESF_NS9_16discard_iteratorINS9_11use_defaultEEEPS5_SJ_SJ_NS9_4lessIjEEEE10hipError_tPvRmT0_T1_T2_T3_T4_T5_mmT6_P12ihipStream_tbEUlT_E_NS1_11comp_targetILNS1_3genE2ELNS1_11target_archE906ELNS1_3gpuE6ELNS1_3repE0EEENS1_30default_config_static_selectorELNS0_4arch9wavefront6targetE1EEEvSQ_
	.p2align	8
	.type	_ZN7rocprim17ROCPRIM_400000_NS6detail17trampoline_kernelINS0_14default_configENS1_21merge_config_selectorIjNS0_10empty_typeEEEZNS1_10merge_implIS3_N6thrust23THRUST_200600_302600_NS6detail15normal_iteratorINS9_10device_ptrIKjEEEESF_NS9_16discard_iteratorINS9_11use_defaultEEEPS5_SJ_SJ_NS9_4lessIjEEEE10hipError_tPvRmT0_T1_T2_T3_T4_T5_mmT6_P12ihipStream_tbEUlT_E_NS1_11comp_targetILNS1_3genE2ELNS1_11target_archE906ELNS1_3gpuE6ELNS1_3repE0EEENS1_30default_config_static_selectorELNS0_4arch9wavefront6targetE1EEEvSQ_,@function
_ZN7rocprim17ROCPRIM_400000_NS6detail17trampoline_kernelINS0_14default_configENS1_21merge_config_selectorIjNS0_10empty_typeEEEZNS1_10merge_implIS3_N6thrust23THRUST_200600_302600_NS6detail15normal_iteratorINS9_10device_ptrIKjEEEESF_NS9_16discard_iteratorINS9_11use_defaultEEEPS5_SJ_SJ_NS9_4lessIjEEEE10hipError_tPvRmT0_T1_T2_T3_T4_T5_mmT6_P12ihipStream_tbEUlT_E_NS1_11comp_targetILNS1_3genE2ELNS1_11target_archE906ELNS1_3gpuE6ELNS1_3repE0EEENS1_30default_config_static_selectorELNS0_4arch9wavefront6targetE1EEEvSQ_: ; @_ZN7rocprim17ROCPRIM_400000_NS6detail17trampoline_kernelINS0_14default_configENS1_21merge_config_selectorIjNS0_10empty_typeEEEZNS1_10merge_implIS3_N6thrust23THRUST_200600_302600_NS6detail15normal_iteratorINS9_10device_ptrIKjEEEESF_NS9_16discard_iteratorINS9_11use_defaultEEEPS5_SJ_SJ_NS9_4lessIjEEEE10hipError_tPvRmT0_T1_T2_T3_T4_T5_mmT6_P12ihipStream_tbEUlT_E_NS1_11comp_targetILNS1_3genE2ELNS1_11target_archE906ELNS1_3gpuE6ELNS1_3repE0EEENS1_30default_config_static_selectorELNS0_4arch9wavefront6targetE1EEEvSQ_
; %bb.0:
	.section	.rodata,"a",@progbits
	.p2align	6, 0x0
	.amdhsa_kernel _ZN7rocprim17ROCPRIM_400000_NS6detail17trampoline_kernelINS0_14default_configENS1_21merge_config_selectorIjNS0_10empty_typeEEEZNS1_10merge_implIS3_N6thrust23THRUST_200600_302600_NS6detail15normal_iteratorINS9_10device_ptrIKjEEEESF_NS9_16discard_iteratorINS9_11use_defaultEEEPS5_SJ_SJ_NS9_4lessIjEEEE10hipError_tPvRmT0_T1_T2_T3_T4_T5_mmT6_P12ihipStream_tbEUlT_E_NS1_11comp_targetILNS1_3genE2ELNS1_11target_archE906ELNS1_3gpuE6ELNS1_3repE0EEENS1_30default_config_static_selectorELNS0_4arch9wavefront6targetE1EEEvSQ_
		.amdhsa_group_segment_fixed_size 0
		.amdhsa_private_segment_fixed_size 0
		.amdhsa_kernarg_size 48
		.amdhsa_user_sgpr_count 6
		.amdhsa_user_sgpr_private_segment_buffer 1
		.amdhsa_user_sgpr_dispatch_ptr 0
		.amdhsa_user_sgpr_queue_ptr 0
		.amdhsa_user_sgpr_kernarg_segment_ptr 1
		.amdhsa_user_sgpr_dispatch_id 0
		.amdhsa_user_sgpr_flat_scratch_init 0
		.amdhsa_user_sgpr_kernarg_preload_length 0
		.amdhsa_user_sgpr_kernarg_preload_offset 0
		.amdhsa_user_sgpr_private_segment_size 0
		.amdhsa_uses_dynamic_stack 0
		.amdhsa_system_sgpr_private_segment_wavefront_offset 0
		.amdhsa_system_sgpr_workgroup_id_x 1
		.amdhsa_system_sgpr_workgroup_id_y 0
		.amdhsa_system_sgpr_workgroup_id_z 0
		.amdhsa_system_sgpr_workgroup_info 0
		.amdhsa_system_vgpr_workitem_id 0
		.amdhsa_next_free_vgpr 1
		.amdhsa_next_free_sgpr 0
		.amdhsa_accum_offset 4
		.amdhsa_reserve_vcc 0
		.amdhsa_reserve_flat_scratch 0
		.amdhsa_float_round_mode_32 0
		.amdhsa_float_round_mode_16_64 0
		.amdhsa_float_denorm_mode_32 3
		.amdhsa_float_denorm_mode_16_64 3
		.amdhsa_dx10_clamp 1
		.amdhsa_ieee_mode 1
		.amdhsa_fp16_overflow 0
		.amdhsa_tg_split 0
		.amdhsa_exception_fp_ieee_invalid_op 0
		.amdhsa_exception_fp_denorm_src 0
		.amdhsa_exception_fp_ieee_div_zero 0
		.amdhsa_exception_fp_ieee_overflow 0
		.amdhsa_exception_fp_ieee_underflow 0
		.amdhsa_exception_fp_ieee_inexact 0
		.amdhsa_exception_int_div_zero 0
	.end_amdhsa_kernel
	.section	.text._ZN7rocprim17ROCPRIM_400000_NS6detail17trampoline_kernelINS0_14default_configENS1_21merge_config_selectorIjNS0_10empty_typeEEEZNS1_10merge_implIS3_N6thrust23THRUST_200600_302600_NS6detail15normal_iteratorINS9_10device_ptrIKjEEEESF_NS9_16discard_iteratorINS9_11use_defaultEEEPS5_SJ_SJ_NS9_4lessIjEEEE10hipError_tPvRmT0_T1_T2_T3_T4_T5_mmT6_P12ihipStream_tbEUlT_E_NS1_11comp_targetILNS1_3genE2ELNS1_11target_archE906ELNS1_3gpuE6ELNS1_3repE0EEENS1_30default_config_static_selectorELNS0_4arch9wavefront6targetE1EEEvSQ_,"axG",@progbits,_ZN7rocprim17ROCPRIM_400000_NS6detail17trampoline_kernelINS0_14default_configENS1_21merge_config_selectorIjNS0_10empty_typeEEEZNS1_10merge_implIS3_N6thrust23THRUST_200600_302600_NS6detail15normal_iteratorINS9_10device_ptrIKjEEEESF_NS9_16discard_iteratorINS9_11use_defaultEEEPS5_SJ_SJ_NS9_4lessIjEEEE10hipError_tPvRmT0_T1_T2_T3_T4_T5_mmT6_P12ihipStream_tbEUlT_E_NS1_11comp_targetILNS1_3genE2ELNS1_11target_archE906ELNS1_3gpuE6ELNS1_3repE0EEENS1_30default_config_static_selectorELNS0_4arch9wavefront6targetE1EEEvSQ_,comdat
.Lfunc_end375:
	.size	_ZN7rocprim17ROCPRIM_400000_NS6detail17trampoline_kernelINS0_14default_configENS1_21merge_config_selectorIjNS0_10empty_typeEEEZNS1_10merge_implIS3_N6thrust23THRUST_200600_302600_NS6detail15normal_iteratorINS9_10device_ptrIKjEEEESF_NS9_16discard_iteratorINS9_11use_defaultEEEPS5_SJ_SJ_NS9_4lessIjEEEE10hipError_tPvRmT0_T1_T2_T3_T4_T5_mmT6_P12ihipStream_tbEUlT_E_NS1_11comp_targetILNS1_3genE2ELNS1_11target_archE906ELNS1_3gpuE6ELNS1_3repE0EEENS1_30default_config_static_selectorELNS0_4arch9wavefront6targetE1EEEvSQ_, .Lfunc_end375-_ZN7rocprim17ROCPRIM_400000_NS6detail17trampoline_kernelINS0_14default_configENS1_21merge_config_selectorIjNS0_10empty_typeEEEZNS1_10merge_implIS3_N6thrust23THRUST_200600_302600_NS6detail15normal_iteratorINS9_10device_ptrIKjEEEESF_NS9_16discard_iteratorINS9_11use_defaultEEEPS5_SJ_SJ_NS9_4lessIjEEEE10hipError_tPvRmT0_T1_T2_T3_T4_T5_mmT6_P12ihipStream_tbEUlT_E_NS1_11comp_targetILNS1_3genE2ELNS1_11target_archE906ELNS1_3gpuE6ELNS1_3repE0EEENS1_30default_config_static_selectorELNS0_4arch9wavefront6targetE1EEEvSQ_
                                        ; -- End function
	.section	.AMDGPU.csdata,"",@progbits
; Kernel info:
; codeLenInByte = 0
; NumSgprs: 4
; NumVgprs: 0
; NumAgprs: 0
; TotalNumVgprs: 0
; ScratchSize: 0
; MemoryBound: 0
; FloatMode: 240
; IeeeMode: 1
; LDSByteSize: 0 bytes/workgroup (compile time only)
; SGPRBlocks: 0
; VGPRBlocks: 0
; NumSGPRsForWavesPerEU: 4
; NumVGPRsForWavesPerEU: 1
; AccumOffset: 4
; Occupancy: 8
; WaveLimiterHint : 0
; COMPUTE_PGM_RSRC2:SCRATCH_EN: 0
; COMPUTE_PGM_RSRC2:USER_SGPR: 6
; COMPUTE_PGM_RSRC2:TRAP_HANDLER: 0
; COMPUTE_PGM_RSRC2:TGID_X_EN: 1
; COMPUTE_PGM_RSRC2:TGID_Y_EN: 0
; COMPUTE_PGM_RSRC2:TGID_Z_EN: 0
; COMPUTE_PGM_RSRC2:TIDIG_COMP_CNT: 0
; COMPUTE_PGM_RSRC3_GFX90A:ACCUM_OFFSET: 0
; COMPUTE_PGM_RSRC3_GFX90A:TG_SPLIT: 0
	.section	.text._ZN7rocprim17ROCPRIM_400000_NS6detail17trampoline_kernelINS0_14default_configENS1_21merge_config_selectorIjNS0_10empty_typeEEEZNS1_10merge_implIS3_N6thrust23THRUST_200600_302600_NS6detail15normal_iteratorINS9_10device_ptrIKjEEEESF_NS9_16discard_iteratorINS9_11use_defaultEEEPS5_SJ_SJ_NS9_4lessIjEEEE10hipError_tPvRmT0_T1_T2_T3_T4_T5_mmT6_P12ihipStream_tbEUlT_E_NS1_11comp_targetILNS1_3genE10ELNS1_11target_archE1201ELNS1_3gpuE5ELNS1_3repE0EEENS1_30default_config_static_selectorELNS0_4arch9wavefront6targetE1EEEvSQ_,"axG",@progbits,_ZN7rocprim17ROCPRIM_400000_NS6detail17trampoline_kernelINS0_14default_configENS1_21merge_config_selectorIjNS0_10empty_typeEEEZNS1_10merge_implIS3_N6thrust23THRUST_200600_302600_NS6detail15normal_iteratorINS9_10device_ptrIKjEEEESF_NS9_16discard_iteratorINS9_11use_defaultEEEPS5_SJ_SJ_NS9_4lessIjEEEE10hipError_tPvRmT0_T1_T2_T3_T4_T5_mmT6_P12ihipStream_tbEUlT_E_NS1_11comp_targetILNS1_3genE10ELNS1_11target_archE1201ELNS1_3gpuE5ELNS1_3repE0EEENS1_30default_config_static_selectorELNS0_4arch9wavefront6targetE1EEEvSQ_,comdat
	.protected	_ZN7rocprim17ROCPRIM_400000_NS6detail17trampoline_kernelINS0_14default_configENS1_21merge_config_selectorIjNS0_10empty_typeEEEZNS1_10merge_implIS3_N6thrust23THRUST_200600_302600_NS6detail15normal_iteratorINS9_10device_ptrIKjEEEESF_NS9_16discard_iteratorINS9_11use_defaultEEEPS5_SJ_SJ_NS9_4lessIjEEEE10hipError_tPvRmT0_T1_T2_T3_T4_T5_mmT6_P12ihipStream_tbEUlT_E_NS1_11comp_targetILNS1_3genE10ELNS1_11target_archE1201ELNS1_3gpuE5ELNS1_3repE0EEENS1_30default_config_static_selectorELNS0_4arch9wavefront6targetE1EEEvSQ_ ; -- Begin function _ZN7rocprim17ROCPRIM_400000_NS6detail17trampoline_kernelINS0_14default_configENS1_21merge_config_selectorIjNS0_10empty_typeEEEZNS1_10merge_implIS3_N6thrust23THRUST_200600_302600_NS6detail15normal_iteratorINS9_10device_ptrIKjEEEESF_NS9_16discard_iteratorINS9_11use_defaultEEEPS5_SJ_SJ_NS9_4lessIjEEEE10hipError_tPvRmT0_T1_T2_T3_T4_T5_mmT6_P12ihipStream_tbEUlT_E_NS1_11comp_targetILNS1_3genE10ELNS1_11target_archE1201ELNS1_3gpuE5ELNS1_3repE0EEENS1_30default_config_static_selectorELNS0_4arch9wavefront6targetE1EEEvSQ_
	.globl	_ZN7rocprim17ROCPRIM_400000_NS6detail17trampoline_kernelINS0_14default_configENS1_21merge_config_selectorIjNS0_10empty_typeEEEZNS1_10merge_implIS3_N6thrust23THRUST_200600_302600_NS6detail15normal_iteratorINS9_10device_ptrIKjEEEESF_NS9_16discard_iteratorINS9_11use_defaultEEEPS5_SJ_SJ_NS9_4lessIjEEEE10hipError_tPvRmT0_T1_T2_T3_T4_T5_mmT6_P12ihipStream_tbEUlT_E_NS1_11comp_targetILNS1_3genE10ELNS1_11target_archE1201ELNS1_3gpuE5ELNS1_3repE0EEENS1_30default_config_static_selectorELNS0_4arch9wavefront6targetE1EEEvSQ_
	.p2align	8
	.type	_ZN7rocprim17ROCPRIM_400000_NS6detail17trampoline_kernelINS0_14default_configENS1_21merge_config_selectorIjNS0_10empty_typeEEEZNS1_10merge_implIS3_N6thrust23THRUST_200600_302600_NS6detail15normal_iteratorINS9_10device_ptrIKjEEEESF_NS9_16discard_iteratorINS9_11use_defaultEEEPS5_SJ_SJ_NS9_4lessIjEEEE10hipError_tPvRmT0_T1_T2_T3_T4_T5_mmT6_P12ihipStream_tbEUlT_E_NS1_11comp_targetILNS1_3genE10ELNS1_11target_archE1201ELNS1_3gpuE5ELNS1_3repE0EEENS1_30default_config_static_selectorELNS0_4arch9wavefront6targetE1EEEvSQ_,@function
_ZN7rocprim17ROCPRIM_400000_NS6detail17trampoline_kernelINS0_14default_configENS1_21merge_config_selectorIjNS0_10empty_typeEEEZNS1_10merge_implIS3_N6thrust23THRUST_200600_302600_NS6detail15normal_iteratorINS9_10device_ptrIKjEEEESF_NS9_16discard_iteratorINS9_11use_defaultEEEPS5_SJ_SJ_NS9_4lessIjEEEE10hipError_tPvRmT0_T1_T2_T3_T4_T5_mmT6_P12ihipStream_tbEUlT_E_NS1_11comp_targetILNS1_3genE10ELNS1_11target_archE1201ELNS1_3gpuE5ELNS1_3repE0EEENS1_30default_config_static_selectorELNS0_4arch9wavefront6targetE1EEEvSQ_: ; @_ZN7rocprim17ROCPRIM_400000_NS6detail17trampoline_kernelINS0_14default_configENS1_21merge_config_selectorIjNS0_10empty_typeEEEZNS1_10merge_implIS3_N6thrust23THRUST_200600_302600_NS6detail15normal_iteratorINS9_10device_ptrIKjEEEESF_NS9_16discard_iteratorINS9_11use_defaultEEEPS5_SJ_SJ_NS9_4lessIjEEEE10hipError_tPvRmT0_T1_T2_T3_T4_T5_mmT6_P12ihipStream_tbEUlT_E_NS1_11comp_targetILNS1_3genE10ELNS1_11target_archE1201ELNS1_3gpuE5ELNS1_3repE0EEENS1_30default_config_static_selectorELNS0_4arch9wavefront6targetE1EEEvSQ_
; %bb.0:
	.section	.rodata,"a",@progbits
	.p2align	6, 0x0
	.amdhsa_kernel _ZN7rocprim17ROCPRIM_400000_NS6detail17trampoline_kernelINS0_14default_configENS1_21merge_config_selectorIjNS0_10empty_typeEEEZNS1_10merge_implIS3_N6thrust23THRUST_200600_302600_NS6detail15normal_iteratorINS9_10device_ptrIKjEEEESF_NS9_16discard_iteratorINS9_11use_defaultEEEPS5_SJ_SJ_NS9_4lessIjEEEE10hipError_tPvRmT0_T1_T2_T3_T4_T5_mmT6_P12ihipStream_tbEUlT_E_NS1_11comp_targetILNS1_3genE10ELNS1_11target_archE1201ELNS1_3gpuE5ELNS1_3repE0EEENS1_30default_config_static_selectorELNS0_4arch9wavefront6targetE1EEEvSQ_
		.amdhsa_group_segment_fixed_size 0
		.amdhsa_private_segment_fixed_size 0
		.amdhsa_kernarg_size 48
		.amdhsa_user_sgpr_count 6
		.amdhsa_user_sgpr_private_segment_buffer 1
		.amdhsa_user_sgpr_dispatch_ptr 0
		.amdhsa_user_sgpr_queue_ptr 0
		.amdhsa_user_sgpr_kernarg_segment_ptr 1
		.amdhsa_user_sgpr_dispatch_id 0
		.amdhsa_user_sgpr_flat_scratch_init 0
		.amdhsa_user_sgpr_kernarg_preload_length 0
		.amdhsa_user_sgpr_kernarg_preload_offset 0
		.amdhsa_user_sgpr_private_segment_size 0
		.amdhsa_uses_dynamic_stack 0
		.amdhsa_system_sgpr_private_segment_wavefront_offset 0
		.amdhsa_system_sgpr_workgroup_id_x 1
		.amdhsa_system_sgpr_workgroup_id_y 0
		.amdhsa_system_sgpr_workgroup_id_z 0
		.amdhsa_system_sgpr_workgroup_info 0
		.amdhsa_system_vgpr_workitem_id 0
		.amdhsa_next_free_vgpr 1
		.amdhsa_next_free_sgpr 0
		.amdhsa_accum_offset 4
		.amdhsa_reserve_vcc 0
		.amdhsa_reserve_flat_scratch 0
		.amdhsa_float_round_mode_32 0
		.amdhsa_float_round_mode_16_64 0
		.amdhsa_float_denorm_mode_32 3
		.amdhsa_float_denorm_mode_16_64 3
		.amdhsa_dx10_clamp 1
		.amdhsa_ieee_mode 1
		.amdhsa_fp16_overflow 0
		.amdhsa_tg_split 0
		.amdhsa_exception_fp_ieee_invalid_op 0
		.amdhsa_exception_fp_denorm_src 0
		.amdhsa_exception_fp_ieee_div_zero 0
		.amdhsa_exception_fp_ieee_overflow 0
		.amdhsa_exception_fp_ieee_underflow 0
		.amdhsa_exception_fp_ieee_inexact 0
		.amdhsa_exception_int_div_zero 0
	.end_amdhsa_kernel
	.section	.text._ZN7rocprim17ROCPRIM_400000_NS6detail17trampoline_kernelINS0_14default_configENS1_21merge_config_selectorIjNS0_10empty_typeEEEZNS1_10merge_implIS3_N6thrust23THRUST_200600_302600_NS6detail15normal_iteratorINS9_10device_ptrIKjEEEESF_NS9_16discard_iteratorINS9_11use_defaultEEEPS5_SJ_SJ_NS9_4lessIjEEEE10hipError_tPvRmT0_T1_T2_T3_T4_T5_mmT6_P12ihipStream_tbEUlT_E_NS1_11comp_targetILNS1_3genE10ELNS1_11target_archE1201ELNS1_3gpuE5ELNS1_3repE0EEENS1_30default_config_static_selectorELNS0_4arch9wavefront6targetE1EEEvSQ_,"axG",@progbits,_ZN7rocprim17ROCPRIM_400000_NS6detail17trampoline_kernelINS0_14default_configENS1_21merge_config_selectorIjNS0_10empty_typeEEEZNS1_10merge_implIS3_N6thrust23THRUST_200600_302600_NS6detail15normal_iteratorINS9_10device_ptrIKjEEEESF_NS9_16discard_iteratorINS9_11use_defaultEEEPS5_SJ_SJ_NS9_4lessIjEEEE10hipError_tPvRmT0_T1_T2_T3_T4_T5_mmT6_P12ihipStream_tbEUlT_E_NS1_11comp_targetILNS1_3genE10ELNS1_11target_archE1201ELNS1_3gpuE5ELNS1_3repE0EEENS1_30default_config_static_selectorELNS0_4arch9wavefront6targetE1EEEvSQ_,comdat
.Lfunc_end376:
	.size	_ZN7rocprim17ROCPRIM_400000_NS6detail17trampoline_kernelINS0_14default_configENS1_21merge_config_selectorIjNS0_10empty_typeEEEZNS1_10merge_implIS3_N6thrust23THRUST_200600_302600_NS6detail15normal_iteratorINS9_10device_ptrIKjEEEESF_NS9_16discard_iteratorINS9_11use_defaultEEEPS5_SJ_SJ_NS9_4lessIjEEEE10hipError_tPvRmT0_T1_T2_T3_T4_T5_mmT6_P12ihipStream_tbEUlT_E_NS1_11comp_targetILNS1_3genE10ELNS1_11target_archE1201ELNS1_3gpuE5ELNS1_3repE0EEENS1_30default_config_static_selectorELNS0_4arch9wavefront6targetE1EEEvSQ_, .Lfunc_end376-_ZN7rocprim17ROCPRIM_400000_NS6detail17trampoline_kernelINS0_14default_configENS1_21merge_config_selectorIjNS0_10empty_typeEEEZNS1_10merge_implIS3_N6thrust23THRUST_200600_302600_NS6detail15normal_iteratorINS9_10device_ptrIKjEEEESF_NS9_16discard_iteratorINS9_11use_defaultEEEPS5_SJ_SJ_NS9_4lessIjEEEE10hipError_tPvRmT0_T1_T2_T3_T4_T5_mmT6_P12ihipStream_tbEUlT_E_NS1_11comp_targetILNS1_3genE10ELNS1_11target_archE1201ELNS1_3gpuE5ELNS1_3repE0EEENS1_30default_config_static_selectorELNS0_4arch9wavefront6targetE1EEEvSQ_
                                        ; -- End function
	.section	.AMDGPU.csdata,"",@progbits
; Kernel info:
; codeLenInByte = 0
; NumSgprs: 4
; NumVgprs: 0
; NumAgprs: 0
; TotalNumVgprs: 0
; ScratchSize: 0
; MemoryBound: 0
; FloatMode: 240
; IeeeMode: 1
; LDSByteSize: 0 bytes/workgroup (compile time only)
; SGPRBlocks: 0
; VGPRBlocks: 0
; NumSGPRsForWavesPerEU: 4
; NumVGPRsForWavesPerEU: 1
; AccumOffset: 4
; Occupancy: 8
; WaveLimiterHint : 0
; COMPUTE_PGM_RSRC2:SCRATCH_EN: 0
; COMPUTE_PGM_RSRC2:USER_SGPR: 6
; COMPUTE_PGM_RSRC2:TRAP_HANDLER: 0
; COMPUTE_PGM_RSRC2:TGID_X_EN: 1
; COMPUTE_PGM_RSRC2:TGID_Y_EN: 0
; COMPUTE_PGM_RSRC2:TGID_Z_EN: 0
; COMPUTE_PGM_RSRC2:TIDIG_COMP_CNT: 0
; COMPUTE_PGM_RSRC3_GFX90A:ACCUM_OFFSET: 0
; COMPUTE_PGM_RSRC3_GFX90A:TG_SPLIT: 0
	.section	.text._ZN7rocprim17ROCPRIM_400000_NS6detail17trampoline_kernelINS0_14default_configENS1_21merge_config_selectorIjNS0_10empty_typeEEEZNS1_10merge_implIS3_N6thrust23THRUST_200600_302600_NS6detail15normal_iteratorINS9_10device_ptrIKjEEEESF_NS9_16discard_iteratorINS9_11use_defaultEEEPS5_SJ_SJ_NS9_4lessIjEEEE10hipError_tPvRmT0_T1_T2_T3_T4_T5_mmT6_P12ihipStream_tbEUlT_E_NS1_11comp_targetILNS1_3genE10ELNS1_11target_archE1200ELNS1_3gpuE4ELNS1_3repE0EEENS1_30default_config_static_selectorELNS0_4arch9wavefront6targetE1EEEvSQ_,"axG",@progbits,_ZN7rocprim17ROCPRIM_400000_NS6detail17trampoline_kernelINS0_14default_configENS1_21merge_config_selectorIjNS0_10empty_typeEEEZNS1_10merge_implIS3_N6thrust23THRUST_200600_302600_NS6detail15normal_iteratorINS9_10device_ptrIKjEEEESF_NS9_16discard_iteratorINS9_11use_defaultEEEPS5_SJ_SJ_NS9_4lessIjEEEE10hipError_tPvRmT0_T1_T2_T3_T4_T5_mmT6_P12ihipStream_tbEUlT_E_NS1_11comp_targetILNS1_3genE10ELNS1_11target_archE1200ELNS1_3gpuE4ELNS1_3repE0EEENS1_30default_config_static_selectorELNS0_4arch9wavefront6targetE1EEEvSQ_,comdat
	.protected	_ZN7rocprim17ROCPRIM_400000_NS6detail17trampoline_kernelINS0_14default_configENS1_21merge_config_selectorIjNS0_10empty_typeEEEZNS1_10merge_implIS3_N6thrust23THRUST_200600_302600_NS6detail15normal_iteratorINS9_10device_ptrIKjEEEESF_NS9_16discard_iteratorINS9_11use_defaultEEEPS5_SJ_SJ_NS9_4lessIjEEEE10hipError_tPvRmT0_T1_T2_T3_T4_T5_mmT6_P12ihipStream_tbEUlT_E_NS1_11comp_targetILNS1_3genE10ELNS1_11target_archE1200ELNS1_3gpuE4ELNS1_3repE0EEENS1_30default_config_static_selectorELNS0_4arch9wavefront6targetE1EEEvSQ_ ; -- Begin function _ZN7rocprim17ROCPRIM_400000_NS6detail17trampoline_kernelINS0_14default_configENS1_21merge_config_selectorIjNS0_10empty_typeEEEZNS1_10merge_implIS3_N6thrust23THRUST_200600_302600_NS6detail15normal_iteratorINS9_10device_ptrIKjEEEESF_NS9_16discard_iteratorINS9_11use_defaultEEEPS5_SJ_SJ_NS9_4lessIjEEEE10hipError_tPvRmT0_T1_T2_T3_T4_T5_mmT6_P12ihipStream_tbEUlT_E_NS1_11comp_targetILNS1_3genE10ELNS1_11target_archE1200ELNS1_3gpuE4ELNS1_3repE0EEENS1_30default_config_static_selectorELNS0_4arch9wavefront6targetE1EEEvSQ_
	.globl	_ZN7rocprim17ROCPRIM_400000_NS6detail17trampoline_kernelINS0_14default_configENS1_21merge_config_selectorIjNS0_10empty_typeEEEZNS1_10merge_implIS3_N6thrust23THRUST_200600_302600_NS6detail15normal_iteratorINS9_10device_ptrIKjEEEESF_NS9_16discard_iteratorINS9_11use_defaultEEEPS5_SJ_SJ_NS9_4lessIjEEEE10hipError_tPvRmT0_T1_T2_T3_T4_T5_mmT6_P12ihipStream_tbEUlT_E_NS1_11comp_targetILNS1_3genE10ELNS1_11target_archE1200ELNS1_3gpuE4ELNS1_3repE0EEENS1_30default_config_static_selectorELNS0_4arch9wavefront6targetE1EEEvSQ_
	.p2align	8
	.type	_ZN7rocprim17ROCPRIM_400000_NS6detail17trampoline_kernelINS0_14default_configENS1_21merge_config_selectorIjNS0_10empty_typeEEEZNS1_10merge_implIS3_N6thrust23THRUST_200600_302600_NS6detail15normal_iteratorINS9_10device_ptrIKjEEEESF_NS9_16discard_iteratorINS9_11use_defaultEEEPS5_SJ_SJ_NS9_4lessIjEEEE10hipError_tPvRmT0_T1_T2_T3_T4_T5_mmT6_P12ihipStream_tbEUlT_E_NS1_11comp_targetILNS1_3genE10ELNS1_11target_archE1200ELNS1_3gpuE4ELNS1_3repE0EEENS1_30default_config_static_selectorELNS0_4arch9wavefront6targetE1EEEvSQ_,@function
_ZN7rocprim17ROCPRIM_400000_NS6detail17trampoline_kernelINS0_14default_configENS1_21merge_config_selectorIjNS0_10empty_typeEEEZNS1_10merge_implIS3_N6thrust23THRUST_200600_302600_NS6detail15normal_iteratorINS9_10device_ptrIKjEEEESF_NS9_16discard_iteratorINS9_11use_defaultEEEPS5_SJ_SJ_NS9_4lessIjEEEE10hipError_tPvRmT0_T1_T2_T3_T4_T5_mmT6_P12ihipStream_tbEUlT_E_NS1_11comp_targetILNS1_3genE10ELNS1_11target_archE1200ELNS1_3gpuE4ELNS1_3repE0EEENS1_30default_config_static_selectorELNS0_4arch9wavefront6targetE1EEEvSQ_: ; @_ZN7rocprim17ROCPRIM_400000_NS6detail17trampoline_kernelINS0_14default_configENS1_21merge_config_selectorIjNS0_10empty_typeEEEZNS1_10merge_implIS3_N6thrust23THRUST_200600_302600_NS6detail15normal_iteratorINS9_10device_ptrIKjEEEESF_NS9_16discard_iteratorINS9_11use_defaultEEEPS5_SJ_SJ_NS9_4lessIjEEEE10hipError_tPvRmT0_T1_T2_T3_T4_T5_mmT6_P12ihipStream_tbEUlT_E_NS1_11comp_targetILNS1_3genE10ELNS1_11target_archE1200ELNS1_3gpuE4ELNS1_3repE0EEENS1_30default_config_static_selectorELNS0_4arch9wavefront6targetE1EEEvSQ_
; %bb.0:
	.section	.rodata,"a",@progbits
	.p2align	6, 0x0
	.amdhsa_kernel _ZN7rocprim17ROCPRIM_400000_NS6detail17trampoline_kernelINS0_14default_configENS1_21merge_config_selectorIjNS0_10empty_typeEEEZNS1_10merge_implIS3_N6thrust23THRUST_200600_302600_NS6detail15normal_iteratorINS9_10device_ptrIKjEEEESF_NS9_16discard_iteratorINS9_11use_defaultEEEPS5_SJ_SJ_NS9_4lessIjEEEE10hipError_tPvRmT0_T1_T2_T3_T4_T5_mmT6_P12ihipStream_tbEUlT_E_NS1_11comp_targetILNS1_3genE10ELNS1_11target_archE1200ELNS1_3gpuE4ELNS1_3repE0EEENS1_30default_config_static_selectorELNS0_4arch9wavefront6targetE1EEEvSQ_
		.amdhsa_group_segment_fixed_size 0
		.amdhsa_private_segment_fixed_size 0
		.amdhsa_kernarg_size 48
		.amdhsa_user_sgpr_count 6
		.amdhsa_user_sgpr_private_segment_buffer 1
		.amdhsa_user_sgpr_dispatch_ptr 0
		.amdhsa_user_sgpr_queue_ptr 0
		.amdhsa_user_sgpr_kernarg_segment_ptr 1
		.amdhsa_user_sgpr_dispatch_id 0
		.amdhsa_user_sgpr_flat_scratch_init 0
		.amdhsa_user_sgpr_kernarg_preload_length 0
		.amdhsa_user_sgpr_kernarg_preload_offset 0
		.amdhsa_user_sgpr_private_segment_size 0
		.amdhsa_uses_dynamic_stack 0
		.amdhsa_system_sgpr_private_segment_wavefront_offset 0
		.amdhsa_system_sgpr_workgroup_id_x 1
		.amdhsa_system_sgpr_workgroup_id_y 0
		.amdhsa_system_sgpr_workgroup_id_z 0
		.amdhsa_system_sgpr_workgroup_info 0
		.amdhsa_system_vgpr_workitem_id 0
		.amdhsa_next_free_vgpr 1
		.amdhsa_next_free_sgpr 0
		.amdhsa_accum_offset 4
		.amdhsa_reserve_vcc 0
		.amdhsa_reserve_flat_scratch 0
		.amdhsa_float_round_mode_32 0
		.amdhsa_float_round_mode_16_64 0
		.amdhsa_float_denorm_mode_32 3
		.amdhsa_float_denorm_mode_16_64 3
		.amdhsa_dx10_clamp 1
		.amdhsa_ieee_mode 1
		.amdhsa_fp16_overflow 0
		.amdhsa_tg_split 0
		.amdhsa_exception_fp_ieee_invalid_op 0
		.amdhsa_exception_fp_denorm_src 0
		.amdhsa_exception_fp_ieee_div_zero 0
		.amdhsa_exception_fp_ieee_overflow 0
		.amdhsa_exception_fp_ieee_underflow 0
		.amdhsa_exception_fp_ieee_inexact 0
		.amdhsa_exception_int_div_zero 0
	.end_amdhsa_kernel
	.section	.text._ZN7rocprim17ROCPRIM_400000_NS6detail17trampoline_kernelINS0_14default_configENS1_21merge_config_selectorIjNS0_10empty_typeEEEZNS1_10merge_implIS3_N6thrust23THRUST_200600_302600_NS6detail15normal_iteratorINS9_10device_ptrIKjEEEESF_NS9_16discard_iteratorINS9_11use_defaultEEEPS5_SJ_SJ_NS9_4lessIjEEEE10hipError_tPvRmT0_T1_T2_T3_T4_T5_mmT6_P12ihipStream_tbEUlT_E_NS1_11comp_targetILNS1_3genE10ELNS1_11target_archE1200ELNS1_3gpuE4ELNS1_3repE0EEENS1_30default_config_static_selectorELNS0_4arch9wavefront6targetE1EEEvSQ_,"axG",@progbits,_ZN7rocprim17ROCPRIM_400000_NS6detail17trampoline_kernelINS0_14default_configENS1_21merge_config_selectorIjNS0_10empty_typeEEEZNS1_10merge_implIS3_N6thrust23THRUST_200600_302600_NS6detail15normal_iteratorINS9_10device_ptrIKjEEEESF_NS9_16discard_iteratorINS9_11use_defaultEEEPS5_SJ_SJ_NS9_4lessIjEEEE10hipError_tPvRmT0_T1_T2_T3_T4_T5_mmT6_P12ihipStream_tbEUlT_E_NS1_11comp_targetILNS1_3genE10ELNS1_11target_archE1200ELNS1_3gpuE4ELNS1_3repE0EEENS1_30default_config_static_selectorELNS0_4arch9wavefront6targetE1EEEvSQ_,comdat
.Lfunc_end377:
	.size	_ZN7rocprim17ROCPRIM_400000_NS6detail17trampoline_kernelINS0_14default_configENS1_21merge_config_selectorIjNS0_10empty_typeEEEZNS1_10merge_implIS3_N6thrust23THRUST_200600_302600_NS6detail15normal_iteratorINS9_10device_ptrIKjEEEESF_NS9_16discard_iteratorINS9_11use_defaultEEEPS5_SJ_SJ_NS9_4lessIjEEEE10hipError_tPvRmT0_T1_T2_T3_T4_T5_mmT6_P12ihipStream_tbEUlT_E_NS1_11comp_targetILNS1_3genE10ELNS1_11target_archE1200ELNS1_3gpuE4ELNS1_3repE0EEENS1_30default_config_static_selectorELNS0_4arch9wavefront6targetE1EEEvSQ_, .Lfunc_end377-_ZN7rocprim17ROCPRIM_400000_NS6detail17trampoline_kernelINS0_14default_configENS1_21merge_config_selectorIjNS0_10empty_typeEEEZNS1_10merge_implIS3_N6thrust23THRUST_200600_302600_NS6detail15normal_iteratorINS9_10device_ptrIKjEEEESF_NS9_16discard_iteratorINS9_11use_defaultEEEPS5_SJ_SJ_NS9_4lessIjEEEE10hipError_tPvRmT0_T1_T2_T3_T4_T5_mmT6_P12ihipStream_tbEUlT_E_NS1_11comp_targetILNS1_3genE10ELNS1_11target_archE1200ELNS1_3gpuE4ELNS1_3repE0EEENS1_30default_config_static_selectorELNS0_4arch9wavefront6targetE1EEEvSQ_
                                        ; -- End function
	.section	.AMDGPU.csdata,"",@progbits
; Kernel info:
; codeLenInByte = 0
; NumSgprs: 4
; NumVgprs: 0
; NumAgprs: 0
; TotalNumVgprs: 0
; ScratchSize: 0
; MemoryBound: 0
; FloatMode: 240
; IeeeMode: 1
; LDSByteSize: 0 bytes/workgroup (compile time only)
; SGPRBlocks: 0
; VGPRBlocks: 0
; NumSGPRsForWavesPerEU: 4
; NumVGPRsForWavesPerEU: 1
; AccumOffset: 4
; Occupancy: 8
; WaveLimiterHint : 0
; COMPUTE_PGM_RSRC2:SCRATCH_EN: 0
; COMPUTE_PGM_RSRC2:USER_SGPR: 6
; COMPUTE_PGM_RSRC2:TRAP_HANDLER: 0
; COMPUTE_PGM_RSRC2:TGID_X_EN: 1
; COMPUTE_PGM_RSRC2:TGID_Y_EN: 0
; COMPUTE_PGM_RSRC2:TGID_Z_EN: 0
; COMPUTE_PGM_RSRC2:TIDIG_COMP_CNT: 0
; COMPUTE_PGM_RSRC3_GFX90A:ACCUM_OFFSET: 0
; COMPUTE_PGM_RSRC3_GFX90A:TG_SPLIT: 0
	.section	.text._ZN7rocprim17ROCPRIM_400000_NS6detail17trampoline_kernelINS0_14default_configENS1_21merge_config_selectorIjNS0_10empty_typeEEEZNS1_10merge_implIS3_N6thrust23THRUST_200600_302600_NS6detail15normal_iteratorINS9_10device_ptrIKjEEEESF_NS9_16discard_iteratorINS9_11use_defaultEEEPS5_SJ_SJ_NS9_4lessIjEEEE10hipError_tPvRmT0_T1_T2_T3_T4_T5_mmT6_P12ihipStream_tbEUlT_E_NS1_11comp_targetILNS1_3genE9ELNS1_11target_archE1100ELNS1_3gpuE3ELNS1_3repE0EEENS1_30default_config_static_selectorELNS0_4arch9wavefront6targetE1EEEvSQ_,"axG",@progbits,_ZN7rocprim17ROCPRIM_400000_NS6detail17trampoline_kernelINS0_14default_configENS1_21merge_config_selectorIjNS0_10empty_typeEEEZNS1_10merge_implIS3_N6thrust23THRUST_200600_302600_NS6detail15normal_iteratorINS9_10device_ptrIKjEEEESF_NS9_16discard_iteratorINS9_11use_defaultEEEPS5_SJ_SJ_NS9_4lessIjEEEE10hipError_tPvRmT0_T1_T2_T3_T4_T5_mmT6_P12ihipStream_tbEUlT_E_NS1_11comp_targetILNS1_3genE9ELNS1_11target_archE1100ELNS1_3gpuE3ELNS1_3repE0EEENS1_30default_config_static_selectorELNS0_4arch9wavefront6targetE1EEEvSQ_,comdat
	.protected	_ZN7rocprim17ROCPRIM_400000_NS6detail17trampoline_kernelINS0_14default_configENS1_21merge_config_selectorIjNS0_10empty_typeEEEZNS1_10merge_implIS3_N6thrust23THRUST_200600_302600_NS6detail15normal_iteratorINS9_10device_ptrIKjEEEESF_NS9_16discard_iteratorINS9_11use_defaultEEEPS5_SJ_SJ_NS9_4lessIjEEEE10hipError_tPvRmT0_T1_T2_T3_T4_T5_mmT6_P12ihipStream_tbEUlT_E_NS1_11comp_targetILNS1_3genE9ELNS1_11target_archE1100ELNS1_3gpuE3ELNS1_3repE0EEENS1_30default_config_static_selectorELNS0_4arch9wavefront6targetE1EEEvSQ_ ; -- Begin function _ZN7rocprim17ROCPRIM_400000_NS6detail17trampoline_kernelINS0_14default_configENS1_21merge_config_selectorIjNS0_10empty_typeEEEZNS1_10merge_implIS3_N6thrust23THRUST_200600_302600_NS6detail15normal_iteratorINS9_10device_ptrIKjEEEESF_NS9_16discard_iteratorINS9_11use_defaultEEEPS5_SJ_SJ_NS9_4lessIjEEEE10hipError_tPvRmT0_T1_T2_T3_T4_T5_mmT6_P12ihipStream_tbEUlT_E_NS1_11comp_targetILNS1_3genE9ELNS1_11target_archE1100ELNS1_3gpuE3ELNS1_3repE0EEENS1_30default_config_static_selectorELNS0_4arch9wavefront6targetE1EEEvSQ_
	.globl	_ZN7rocprim17ROCPRIM_400000_NS6detail17trampoline_kernelINS0_14default_configENS1_21merge_config_selectorIjNS0_10empty_typeEEEZNS1_10merge_implIS3_N6thrust23THRUST_200600_302600_NS6detail15normal_iteratorINS9_10device_ptrIKjEEEESF_NS9_16discard_iteratorINS9_11use_defaultEEEPS5_SJ_SJ_NS9_4lessIjEEEE10hipError_tPvRmT0_T1_T2_T3_T4_T5_mmT6_P12ihipStream_tbEUlT_E_NS1_11comp_targetILNS1_3genE9ELNS1_11target_archE1100ELNS1_3gpuE3ELNS1_3repE0EEENS1_30default_config_static_selectorELNS0_4arch9wavefront6targetE1EEEvSQ_
	.p2align	8
	.type	_ZN7rocprim17ROCPRIM_400000_NS6detail17trampoline_kernelINS0_14default_configENS1_21merge_config_selectorIjNS0_10empty_typeEEEZNS1_10merge_implIS3_N6thrust23THRUST_200600_302600_NS6detail15normal_iteratorINS9_10device_ptrIKjEEEESF_NS9_16discard_iteratorINS9_11use_defaultEEEPS5_SJ_SJ_NS9_4lessIjEEEE10hipError_tPvRmT0_T1_T2_T3_T4_T5_mmT6_P12ihipStream_tbEUlT_E_NS1_11comp_targetILNS1_3genE9ELNS1_11target_archE1100ELNS1_3gpuE3ELNS1_3repE0EEENS1_30default_config_static_selectorELNS0_4arch9wavefront6targetE1EEEvSQ_,@function
_ZN7rocprim17ROCPRIM_400000_NS6detail17trampoline_kernelINS0_14default_configENS1_21merge_config_selectorIjNS0_10empty_typeEEEZNS1_10merge_implIS3_N6thrust23THRUST_200600_302600_NS6detail15normal_iteratorINS9_10device_ptrIKjEEEESF_NS9_16discard_iteratorINS9_11use_defaultEEEPS5_SJ_SJ_NS9_4lessIjEEEE10hipError_tPvRmT0_T1_T2_T3_T4_T5_mmT6_P12ihipStream_tbEUlT_E_NS1_11comp_targetILNS1_3genE9ELNS1_11target_archE1100ELNS1_3gpuE3ELNS1_3repE0EEENS1_30default_config_static_selectorELNS0_4arch9wavefront6targetE1EEEvSQ_: ; @_ZN7rocprim17ROCPRIM_400000_NS6detail17trampoline_kernelINS0_14default_configENS1_21merge_config_selectorIjNS0_10empty_typeEEEZNS1_10merge_implIS3_N6thrust23THRUST_200600_302600_NS6detail15normal_iteratorINS9_10device_ptrIKjEEEESF_NS9_16discard_iteratorINS9_11use_defaultEEEPS5_SJ_SJ_NS9_4lessIjEEEE10hipError_tPvRmT0_T1_T2_T3_T4_T5_mmT6_P12ihipStream_tbEUlT_E_NS1_11comp_targetILNS1_3genE9ELNS1_11target_archE1100ELNS1_3gpuE3ELNS1_3repE0EEENS1_30default_config_static_selectorELNS0_4arch9wavefront6targetE1EEEvSQ_
; %bb.0:
	.section	.rodata,"a",@progbits
	.p2align	6, 0x0
	.amdhsa_kernel _ZN7rocprim17ROCPRIM_400000_NS6detail17trampoline_kernelINS0_14default_configENS1_21merge_config_selectorIjNS0_10empty_typeEEEZNS1_10merge_implIS3_N6thrust23THRUST_200600_302600_NS6detail15normal_iteratorINS9_10device_ptrIKjEEEESF_NS9_16discard_iteratorINS9_11use_defaultEEEPS5_SJ_SJ_NS9_4lessIjEEEE10hipError_tPvRmT0_T1_T2_T3_T4_T5_mmT6_P12ihipStream_tbEUlT_E_NS1_11comp_targetILNS1_3genE9ELNS1_11target_archE1100ELNS1_3gpuE3ELNS1_3repE0EEENS1_30default_config_static_selectorELNS0_4arch9wavefront6targetE1EEEvSQ_
		.amdhsa_group_segment_fixed_size 0
		.amdhsa_private_segment_fixed_size 0
		.amdhsa_kernarg_size 48
		.amdhsa_user_sgpr_count 6
		.amdhsa_user_sgpr_private_segment_buffer 1
		.amdhsa_user_sgpr_dispatch_ptr 0
		.amdhsa_user_sgpr_queue_ptr 0
		.amdhsa_user_sgpr_kernarg_segment_ptr 1
		.amdhsa_user_sgpr_dispatch_id 0
		.amdhsa_user_sgpr_flat_scratch_init 0
		.amdhsa_user_sgpr_kernarg_preload_length 0
		.amdhsa_user_sgpr_kernarg_preload_offset 0
		.amdhsa_user_sgpr_private_segment_size 0
		.amdhsa_uses_dynamic_stack 0
		.amdhsa_system_sgpr_private_segment_wavefront_offset 0
		.amdhsa_system_sgpr_workgroup_id_x 1
		.amdhsa_system_sgpr_workgroup_id_y 0
		.amdhsa_system_sgpr_workgroup_id_z 0
		.amdhsa_system_sgpr_workgroup_info 0
		.amdhsa_system_vgpr_workitem_id 0
		.amdhsa_next_free_vgpr 1
		.amdhsa_next_free_sgpr 0
		.amdhsa_accum_offset 4
		.amdhsa_reserve_vcc 0
		.amdhsa_reserve_flat_scratch 0
		.amdhsa_float_round_mode_32 0
		.amdhsa_float_round_mode_16_64 0
		.amdhsa_float_denorm_mode_32 3
		.amdhsa_float_denorm_mode_16_64 3
		.amdhsa_dx10_clamp 1
		.amdhsa_ieee_mode 1
		.amdhsa_fp16_overflow 0
		.amdhsa_tg_split 0
		.amdhsa_exception_fp_ieee_invalid_op 0
		.amdhsa_exception_fp_denorm_src 0
		.amdhsa_exception_fp_ieee_div_zero 0
		.amdhsa_exception_fp_ieee_overflow 0
		.amdhsa_exception_fp_ieee_underflow 0
		.amdhsa_exception_fp_ieee_inexact 0
		.amdhsa_exception_int_div_zero 0
	.end_amdhsa_kernel
	.section	.text._ZN7rocprim17ROCPRIM_400000_NS6detail17trampoline_kernelINS0_14default_configENS1_21merge_config_selectorIjNS0_10empty_typeEEEZNS1_10merge_implIS3_N6thrust23THRUST_200600_302600_NS6detail15normal_iteratorINS9_10device_ptrIKjEEEESF_NS9_16discard_iteratorINS9_11use_defaultEEEPS5_SJ_SJ_NS9_4lessIjEEEE10hipError_tPvRmT0_T1_T2_T3_T4_T5_mmT6_P12ihipStream_tbEUlT_E_NS1_11comp_targetILNS1_3genE9ELNS1_11target_archE1100ELNS1_3gpuE3ELNS1_3repE0EEENS1_30default_config_static_selectorELNS0_4arch9wavefront6targetE1EEEvSQ_,"axG",@progbits,_ZN7rocprim17ROCPRIM_400000_NS6detail17trampoline_kernelINS0_14default_configENS1_21merge_config_selectorIjNS0_10empty_typeEEEZNS1_10merge_implIS3_N6thrust23THRUST_200600_302600_NS6detail15normal_iteratorINS9_10device_ptrIKjEEEESF_NS9_16discard_iteratorINS9_11use_defaultEEEPS5_SJ_SJ_NS9_4lessIjEEEE10hipError_tPvRmT0_T1_T2_T3_T4_T5_mmT6_P12ihipStream_tbEUlT_E_NS1_11comp_targetILNS1_3genE9ELNS1_11target_archE1100ELNS1_3gpuE3ELNS1_3repE0EEENS1_30default_config_static_selectorELNS0_4arch9wavefront6targetE1EEEvSQ_,comdat
.Lfunc_end378:
	.size	_ZN7rocprim17ROCPRIM_400000_NS6detail17trampoline_kernelINS0_14default_configENS1_21merge_config_selectorIjNS0_10empty_typeEEEZNS1_10merge_implIS3_N6thrust23THRUST_200600_302600_NS6detail15normal_iteratorINS9_10device_ptrIKjEEEESF_NS9_16discard_iteratorINS9_11use_defaultEEEPS5_SJ_SJ_NS9_4lessIjEEEE10hipError_tPvRmT0_T1_T2_T3_T4_T5_mmT6_P12ihipStream_tbEUlT_E_NS1_11comp_targetILNS1_3genE9ELNS1_11target_archE1100ELNS1_3gpuE3ELNS1_3repE0EEENS1_30default_config_static_selectorELNS0_4arch9wavefront6targetE1EEEvSQ_, .Lfunc_end378-_ZN7rocprim17ROCPRIM_400000_NS6detail17trampoline_kernelINS0_14default_configENS1_21merge_config_selectorIjNS0_10empty_typeEEEZNS1_10merge_implIS3_N6thrust23THRUST_200600_302600_NS6detail15normal_iteratorINS9_10device_ptrIKjEEEESF_NS9_16discard_iteratorINS9_11use_defaultEEEPS5_SJ_SJ_NS9_4lessIjEEEE10hipError_tPvRmT0_T1_T2_T3_T4_T5_mmT6_P12ihipStream_tbEUlT_E_NS1_11comp_targetILNS1_3genE9ELNS1_11target_archE1100ELNS1_3gpuE3ELNS1_3repE0EEENS1_30default_config_static_selectorELNS0_4arch9wavefront6targetE1EEEvSQ_
                                        ; -- End function
	.section	.AMDGPU.csdata,"",@progbits
; Kernel info:
; codeLenInByte = 0
; NumSgprs: 4
; NumVgprs: 0
; NumAgprs: 0
; TotalNumVgprs: 0
; ScratchSize: 0
; MemoryBound: 0
; FloatMode: 240
; IeeeMode: 1
; LDSByteSize: 0 bytes/workgroup (compile time only)
; SGPRBlocks: 0
; VGPRBlocks: 0
; NumSGPRsForWavesPerEU: 4
; NumVGPRsForWavesPerEU: 1
; AccumOffset: 4
; Occupancy: 8
; WaveLimiterHint : 0
; COMPUTE_PGM_RSRC2:SCRATCH_EN: 0
; COMPUTE_PGM_RSRC2:USER_SGPR: 6
; COMPUTE_PGM_RSRC2:TRAP_HANDLER: 0
; COMPUTE_PGM_RSRC2:TGID_X_EN: 1
; COMPUTE_PGM_RSRC2:TGID_Y_EN: 0
; COMPUTE_PGM_RSRC2:TGID_Z_EN: 0
; COMPUTE_PGM_RSRC2:TIDIG_COMP_CNT: 0
; COMPUTE_PGM_RSRC3_GFX90A:ACCUM_OFFSET: 0
; COMPUTE_PGM_RSRC3_GFX90A:TG_SPLIT: 0
	.section	.text._ZN7rocprim17ROCPRIM_400000_NS6detail17trampoline_kernelINS0_14default_configENS1_21merge_config_selectorIjNS0_10empty_typeEEEZNS1_10merge_implIS3_N6thrust23THRUST_200600_302600_NS6detail15normal_iteratorINS9_10device_ptrIKjEEEESF_NS9_16discard_iteratorINS9_11use_defaultEEEPS5_SJ_SJ_NS9_4lessIjEEEE10hipError_tPvRmT0_T1_T2_T3_T4_T5_mmT6_P12ihipStream_tbEUlT_E_NS1_11comp_targetILNS1_3genE8ELNS1_11target_archE1030ELNS1_3gpuE2ELNS1_3repE0EEENS1_30default_config_static_selectorELNS0_4arch9wavefront6targetE1EEEvSQ_,"axG",@progbits,_ZN7rocprim17ROCPRIM_400000_NS6detail17trampoline_kernelINS0_14default_configENS1_21merge_config_selectorIjNS0_10empty_typeEEEZNS1_10merge_implIS3_N6thrust23THRUST_200600_302600_NS6detail15normal_iteratorINS9_10device_ptrIKjEEEESF_NS9_16discard_iteratorINS9_11use_defaultEEEPS5_SJ_SJ_NS9_4lessIjEEEE10hipError_tPvRmT0_T1_T2_T3_T4_T5_mmT6_P12ihipStream_tbEUlT_E_NS1_11comp_targetILNS1_3genE8ELNS1_11target_archE1030ELNS1_3gpuE2ELNS1_3repE0EEENS1_30default_config_static_selectorELNS0_4arch9wavefront6targetE1EEEvSQ_,comdat
	.protected	_ZN7rocprim17ROCPRIM_400000_NS6detail17trampoline_kernelINS0_14default_configENS1_21merge_config_selectorIjNS0_10empty_typeEEEZNS1_10merge_implIS3_N6thrust23THRUST_200600_302600_NS6detail15normal_iteratorINS9_10device_ptrIKjEEEESF_NS9_16discard_iteratorINS9_11use_defaultEEEPS5_SJ_SJ_NS9_4lessIjEEEE10hipError_tPvRmT0_T1_T2_T3_T4_T5_mmT6_P12ihipStream_tbEUlT_E_NS1_11comp_targetILNS1_3genE8ELNS1_11target_archE1030ELNS1_3gpuE2ELNS1_3repE0EEENS1_30default_config_static_selectorELNS0_4arch9wavefront6targetE1EEEvSQ_ ; -- Begin function _ZN7rocprim17ROCPRIM_400000_NS6detail17trampoline_kernelINS0_14default_configENS1_21merge_config_selectorIjNS0_10empty_typeEEEZNS1_10merge_implIS3_N6thrust23THRUST_200600_302600_NS6detail15normal_iteratorINS9_10device_ptrIKjEEEESF_NS9_16discard_iteratorINS9_11use_defaultEEEPS5_SJ_SJ_NS9_4lessIjEEEE10hipError_tPvRmT0_T1_T2_T3_T4_T5_mmT6_P12ihipStream_tbEUlT_E_NS1_11comp_targetILNS1_3genE8ELNS1_11target_archE1030ELNS1_3gpuE2ELNS1_3repE0EEENS1_30default_config_static_selectorELNS0_4arch9wavefront6targetE1EEEvSQ_
	.globl	_ZN7rocprim17ROCPRIM_400000_NS6detail17trampoline_kernelINS0_14default_configENS1_21merge_config_selectorIjNS0_10empty_typeEEEZNS1_10merge_implIS3_N6thrust23THRUST_200600_302600_NS6detail15normal_iteratorINS9_10device_ptrIKjEEEESF_NS9_16discard_iteratorINS9_11use_defaultEEEPS5_SJ_SJ_NS9_4lessIjEEEE10hipError_tPvRmT0_T1_T2_T3_T4_T5_mmT6_P12ihipStream_tbEUlT_E_NS1_11comp_targetILNS1_3genE8ELNS1_11target_archE1030ELNS1_3gpuE2ELNS1_3repE0EEENS1_30default_config_static_selectorELNS0_4arch9wavefront6targetE1EEEvSQ_
	.p2align	8
	.type	_ZN7rocprim17ROCPRIM_400000_NS6detail17trampoline_kernelINS0_14default_configENS1_21merge_config_selectorIjNS0_10empty_typeEEEZNS1_10merge_implIS3_N6thrust23THRUST_200600_302600_NS6detail15normal_iteratorINS9_10device_ptrIKjEEEESF_NS9_16discard_iteratorINS9_11use_defaultEEEPS5_SJ_SJ_NS9_4lessIjEEEE10hipError_tPvRmT0_T1_T2_T3_T4_T5_mmT6_P12ihipStream_tbEUlT_E_NS1_11comp_targetILNS1_3genE8ELNS1_11target_archE1030ELNS1_3gpuE2ELNS1_3repE0EEENS1_30default_config_static_selectorELNS0_4arch9wavefront6targetE1EEEvSQ_,@function
_ZN7rocprim17ROCPRIM_400000_NS6detail17trampoline_kernelINS0_14default_configENS1_21merge_config_selectorIjNS0_10empty_typeEEEZNS1_10merge_implIS3_N6thrust23THRUST_200600_302600_NS6detail15normal_iteratorINS9_10device_ptrIKjEEEESF_NS9_16discard_iteratorINS9_11use_defaultEEEPS5_SJ_SJ_NS9_4lessIjEEEE10hipError_tPvRmT0_T1_T2_T3_T4_T5_mmT6_P12ihipStream_tbEUlT_E_NS1_11comp_targetILNS1_3genE8ELNS1_11target_archE1030ELNS1_3gpuE2ELNS1_3repE0EEENS1_30default_config_static_selectorELNS0_4arch9wavefront6targetE1EEEvSQ_: ; @_ZN7rocprim17ROCPRIM_400000_NS6detail17trampoline_kernelINS0_14default_configENS1_21merge_config_selectorIjNS0_10empty_typeEEEZNS1_10merge_implIS3_N6thrust23THRUST_200600_302600_NS6detail15normal_iteratorINS9_10device_ptrIKjEEEESF_NS9_16discard_iteratorINS9_11use_defaultEEEPS5_SJ_SJ_NS9_4lessIjEEEE10hipError_tPvRmT0_T1_T2_T3_T4_T5_mmT6_P12ihipStream_tbEUlT_E_NS1_11comp_targetILNS1_3genE8ELNS1_11target_archE1030ELNS1_3gpuE2ELNS1_3repE0EEENS1_30default_config_static_selectorELNS0_4arch9wavefront6targetE1EEEvSQ_
; %bb.0:
	.section	.rodata,"a",@progbits
	.p2align	6, 0x0
	.amdhsa_kernel _ZN7rocprim17ROCPRIM_400000_NS6detail17trampoline_kernelINS0_14default_configENS1_21merge_config_selectorIjNS0_10empty_typeEEEZNS1_10merge_implIS3_N6thrust23THRUST_200600_302600_NS6detail15normal_iteratorINS9_10device_ptrIKjEEEESF_NS9_16discard_iteratorINS9_11use_defaultEEEPS5_SJ_SJ_NS9_4lessIjEEEE10hipError_tPvRmT0_T1_T2_T3_T4_T5_mmT6_P12ihipStream_tbEUlT_E_NS1_11comp_targetILNS1_3genE8ELNS1_11target_archE1030ELNS1_3gpuE2ELNS1_3repE0EEENS1_30default_config_static_selectorELNS0_4arch9wavefront6targetE1EEEvSQ_
		.amdhsa_group_segment_fixed_size 0
		.amdhsa_private_segment_fixed_size 0
		.amdhsa_kernarg_size 48
		.amdhsa_user_sgpr_count 6
		.amdhsa_user_sgpr_private_segment_buffer 1
		.amdhsa_user_sgpr_dispatch_ptr 0
		.amdhsa_user_sgpr_queue_ptr 0
		.amdhsa_user_sgpr_kernarg_segment_ptr 1
		.amdhsa_user_sgpr_dispatch_id 0
		.amdhsa_user_sgpr_flat_scratch_init 0
		.amdhsa_user_sgpr_kernarg_preload_length 0
		.amdhsa_user_sgpr_kernarg_preload_offset 0
		.amdhsa_user_sgpr_private_segment_size 0
		.amdhsa_uses_dynamic_stack 0
		.amdhsa_system_sgpr_private_segment_wavefront_offset 0
		.amdhsa_system_sgpr_workgroup_id_x 1
		.amdhsa_system_sgpr_workgroup_id_y 0
		.amdhsa_system_sgpr_workgroup_id_z 0
		.amdhsa_system_sgpr_workgroup_info 0
		.amdhsa_system_vgpr_workitem_id 0
		.amdhsa_next_free_vgpr 1
		.amdhsa_next_free_sgpr 0
		.amdhsa_accum_offset 4
		.amdhsa_reserve_vcc 0
		.amdhsa_reserve_flat_scratch 0
		.amdhsa_float_round_mode_32 0
		.amdhsa_float_round_mode_16_64 0
		.amdhsa_float_denorm_mode_32 3
		.amdhsa_float_denorm_mode_16_64 3
		.amdhsa_dx10_clamp 1
		.amdhsa_ieee_mode 1
		.amdhsa_fp16_overflow 0
		.amdhsa_tg_split 0
		.amdhsa_exception_fp_ieee_invalid_op 0
		.amdhsa_exception_fp_denorm_src 0
		.amdhsa_exception_fp_ieee_div_zero 0
		.amdhsa_exception_fp_ieee_overflow 0
		.amdhsa_exception_fp_ieee_underflow 0
		.amdhsa_exception_fp_ieee_inexact 0
		.amdhsa_exception_int_div_zero 0
	.end_amdhsa_kernel
	.section	.text._ZN7rocprim17ROCPRIM_400000_NS6detail17trampoline_kernelINS0_14default_configENS1_21merge_config_selectorIjNS0_10empty_typeEEEZNS1_10merge_implIS3_N6thrust23THRUST_200600_302600_NS6detail15normal_iteratorINS9_10device_ptrIKjEEEESF_NS9_16discard_iteratorINS9_11use_defaultEEEPS5_SJ_SJ_NS9_4lessIjEEEE10hipError_tPvRmT0_T1_T2_T3_T4_T5_mmT6_P12ihipStream_tbEUlT_E_NS1_11comp_targetILNS1_3genE8ELNS1_11target_archE1030ELNS1_3gpuE2ELNS1_3repE0EEENS1_30default_config_static_selectorELNS0_4arch9wavefront6targetE1EEEvSQ_,"axG",@progbits,_ZN7rocprim17ROCPRIM_400000_NS6detail17trampoline_kernelINS0_14default_configENS1_21merge_config_selectorIjNS0_10empty_typeEEEZNS1_10merge_implIS3_N6thrust23THRUST_200600_302600_NS6detail15normal_iteratorINS9_10device_ptrIKjEEEESF_NS9_16discard_iteratorINS9_11use_defaultEEEPS5_SJ_SJ_NS9_4lessIjEEEE10hipError_tPvRmT0_T1_T2_T3_T4_T5_mmT6_P12ihipStream_tbEUlT_E_NS1_11comp_targetILNS1_3genE8ELNS1_11target_archE1030ELNS1_3gpuE2ELNS1_3repE0EEENS1_30default_config_static_selectorELNS0_4arch9wavefront6targetE1EEEvSQ_,comdat
.Lfunc_end379:
	.size	_ZN7rocprim17ROCPRIM_400000_NS6detail17trampoline_kernelINS0_14default_configENS1_21merge_config_selectorIjNS0_10empty_typeEEEZNS1_10merge_implIS3_N6thrust23THRUST_200600_302600_NS6detail15normal_iteratorINS9_10device_ptrIKjEEEESF_NS9_16discard_iteratorINS9_11use_defaultEEEPS5_SJ_SJ_NS9_4lessIjEEEE10hipError_tPvRmT0_T1_T2_T3_T4_T5_mmT6_P12ihipStream_tbEUlT_E_NS1_11comp_targetILNS1_3genE8ELNS1_11target_archE1030ELNS1_3gpuE2ELNS1_3repE0EEENS1_30default_config_static_selectorELNS0_4arch9wavefront6targetE1EEEvSQ_, .Lfunc_end379-_ZN7rocprim17ROCPRIM_400000_NS6detail17trampoline_kernelINS0_14default_configENS1_21merge_config_selectorIjNS0_10empty_typeEEEZNS1_10merge_implIS3_N6thrust23THRUST_200600_302600_NS6detail15normal_iteratorINS9_10device_ptrIKjEEEESF_NS9_16discard_iteratorINS9_11use_defaultEEEPS5_SJ_SJ_NS9_4lessIjEEEE10hipError_tPvRmT0_T1_T2_T3_T4_T5_mmT6_P12ihipStream_tbEUlT_E_NS1_11comp_targetILNS1_3genE8ELNS1_11target_archE1030ELNS1_3gpuE2ELNS1_3repE0EEENS1_30default_config_static_selectorELNS0_4arch9wavefront6targetE1EEEvSQ_
                                        ; -- End function
	.section	.AMDGPU.csdata,"",@progbits
; Kernel info:
; codeLenInByte = 0
; NumSgprs: 4
; NumVgprs: 0
; NumAgprs: 0
; TotalNumVgprs: 0
; ScratchSize: 0
; MemoryBound: 0
; FloatMode: 240
; IeeeMode: 1
; LDSByteSize: 0 bytes/workgroup (compile time only)
; SGPRBlocks: 0
; VGPRBlocks: 0
; NumSGPRsForWavesPerEU: 4
; NumVGPRsForWavesPerEU: 1
; AccumOffset: 4
; Occupancy: 8
; WaveLimiterHint : 0
; COMPUTE_PGM_RSRC2:SCRATCH_EN: 0
; COMPUTE_PGM_RSRC2:USER_SGPR: 6
; COMPUTE_PGM_RSRC2:TRAP_HANDLER: 0
; COMPUTE_PGM_RSRC2:TGID_X_EN: 1
; COMPUTE_PGM_RSRC2:TGID_Y_EN: 0
; COMPUTE_PGM_RSRC2:TGID_Z_EN: 0
; COMPUTE_PGM_RSRC2:TIDIG_COMP_CNT: 0
; COMPUTE_PGM_RSRC3_GFX90A:ACCUM_OFFSET: 0
; COMPUTE_PGM_RSRC3_GFX90A:TG_SPLIT: 0
	.section	.text._ZN7rocprim17ROCPRIM_400000_NS6detail17trampoline_kernelINS0_14default_configENS1_21merge_config_selectorIjNS0_10empty_typeEEEZNS1_10merge_implIS3_N6thrust23THRUST_200600_302600_NS6detail15normal_iteratorINS9_10device_ptrIKjEEEESF_NS9_16discard_iteratorINS9_11use_defaultEEEPS5_SJ_SJ_NS9_4lessIjEEEE10hipError_tPvRmT0_T1_T2_T3_T4_T5_mmT6_P12ihipStream_tbEUlT_E0_NS1_11comp_targetILNS1_3genE0ELNS1_11target_archE4294967295ELNS1_3gpuE0ELNS1_3repE0EEENS1_30default_config_static_selectorELNS0_4arch9wavefront6targetE1EEEvSQ_,"axG",@progbits,_ZN7rocprim17ROCPRIM_400000_NS6detail17trampoline_kernelINS0_14default_configENS1_21merge_config_selectorIjNS0_10empty_typeEEEZNS1_10merge_implIS3_N6thrust23THRUST_200600_302600_NS6detail15normal_iteratorINS9_10device_ptrIKjEEEESF_NS9_16discard_iteratorINS9_11use_defaultEEEPS5_SJ_SJ_NS9_4lessIjEEEE10hipError_tPvRmT0_T1_T2_T3_T4_T5_mmT6_P12ihipStream_tbEUlT_E0_NS1_11comp_targetILNS1_3genE0ELNS1_11target_archE4294967295ELNS1_3gpuE0ELNS1_3repE0EEENS1_30default_config_static_selectorELNS0_4arch9wavefront6targetE1EEEvSQ_,comdat
	.protected	_ZN7rocprim17ROCPRIM_400000_NS6detail17trampoline_kernelINS0_14default_configENS1_21merge_config_selectorIjNS0_10empty_typeEEEZNS1_10merge_implIS3_N6thrust23THRUST_200600_302600_NS6detail15normal_iteratorINS9_10device_ptrIKjEEEESF_NS9_16discard_iteratorINS9_11use_defaultEEEPS5_SJ_SJ_NS9_4lessIjEEEE10hipError_tPvRmT0_T1_T2_T3_T4_T5_mmT6_P12ihipStream_tbEUlT_E0_NS1_11comp_targetILNS1_3genE0ELNS1_11target_archE4294967295ELNS1_3gpuE0ELNS1_3repE0EEENS1_30default_config_static_selectorELNS0_4arch9wavefront6targetE1EEEvSQ_ ; -- Begin function _ZN7rocprim17ROCPRIM_400000_NS6detail17trampoline_kernelINS0_14default_configENS1_21merge_config_selectorIjNS0_10empty_typeEEEZNS1_10merge_implIS3_N6thrust23THRUST_200600_302600_NS6detail15normal_iteratorINS9_10device_ptrIKjEEEESF_NS9_16discard_iteratorINS9_11use_defaultEEEPS5_SJ_SJ_NS9_4lessIjEEEE10hipError_tPvRmT0_T1_T2_T3_T4_T5_mmT6_P12ihipStream_tbEUlT_E0_NS1_11comp_targetILNS1_3genE0ELNS1_11target_archE4294967295ELNS1_3gpuE0ELNS1_3repE0EEENS1_30default_config_static_selectorELNS0_4arch9wavefront6targetE1EEEvSQ_
	.globl	_ZN7rocprim17ROCPRIM_400000_NS6detail17trampoline_kernelINS0_14default_configENS1_21merge_config_selectorIjNS0_10empty_typeEEEZNS1_10merge_implIS3_N6thrust23THRUST_200600_302600_NS6detail15normal_iteratorINS9_10device_ptrIKjEEEESF_NS9_16discard_iteratorINS9_11use_defaultEEEPS5_SJ_SJ_NS9_4lessIjEEEE10hipError_tPvRmT0_T1_T2_T3_T4_T5_mmT6_P12ihipStream_tbEUlT_E0_NS1_11comp_targetILNS1_3genE0ELNS1_11target_archE4294967295ELNS1_3gpuE0ELNS1_3repE0EEENS1_30default_config_static_selectorELNS0_4arch9wavefront6targetE1EEEvSQ_
	.p2align	8
	.type	_ZN7rocprim17ROCPRIM_400000_NS6detail17trampoline_kernelINS0_14default_configENS1_21merge_config_selectorIjNS0_10empty_typeEEEZNS1_10merge_implIS3_N6thrust23THRUST_200600_302600_NS6detail15normal_iteratorINS9_10device_ptrIKjEEEESF_NS9_16discard_iteratorINS9_11use_defaultEEEPS5_SJ_SJ_NS9_4lessIjEEEE10hipError_tPvRmT0_T1_T2_T3_T4_T5_mmT6_P12ihipStream_tbEUlT_E0_NS1_11comp_targetILNS1_3genE0ELNS1_11target_archE4294967295ELNS1_3gpuE0ELNS1_3repE0EEENS1_30default_config_static_selectorELNS0_4arch9wavefront6targetE1EEEvSQ_,@function
_ZN7rocprim17ROCPRIM_400000_NS6detail17trampoline_kernelINS0_14default_configENS1_21merge_config_selectorIjNS0_10empty_typeEEEZNS1_10merge_implIS3_N6thrust23THRUST_200600_302600_NS6detail15normal_iteratorINS9_10device_ptrIKjEEEESF_NS9_16discard_iteratorINS9_11use_defaultEEEPS5_SJ_SJ_NS9_4lessIjEEEE10hipError_tPvRmT0_T1_T2_T3_T4_T5_mmT6_P12ihipStream_tbEUlT_E0_NS1_11comp_targetILNS1_3genE0ELNS1_11target_archE4294967295ELNS1_3gpuE0ELNS1_3repE0EEENS1_30default_config_static_selectorELNS0_4arch9wavefront6targetE1EEEvSQ_: ; @_ZN7rocprim17ROCPRIM_400000_NS6detail17trampoline_kernelINS0_14default_configENS1_21merge_config_selectorIjNS0_10empty_typeEEEZNS1_10merge_implIS3_N6thrust23THRUST_200600_302600_NS6detail15normal_iteratorINS9_10device_ptrIKjEEEESF_NS9_16discard_iteratorINS9_11use_defaultEEEPS5_SJ_SJ_NS9_4lessIjEEEE10hipError_tPvRmT0_T1_T2_T3_T4_T5_mmT6_P12ihipStream_tbEUlT_E0_NS1_11comp_targetILNS1_3genE0ELNS1_11target_archE4294967295ELNS1_3gpuE0ELNS1_3repE0EEENS1_30default_config_static_selectorELNS0_4arch9wavefront6targetE1EEEvSQ_
; %bb.0:
	.section	.rodata,"a",@progbits
	.p2align	6, 0x0
	.amdhsa_kernel _ZN7rocprim17ROCPRIM_400000_NS6detail17trampoline_kernelINS0_14default_configENS1_21merge_config_selectorIjNS0_10empty_typeEEEZNS1_10merge_implIS3_N6thrust23THRUST_200600_302600_NS6detail15normal_iteratorINS9_10device_ptrIKjEEEESF_NS9_16discard_iteratorINS9_11use_defaultEEEPS5_SJ_SJ_NS9_4lessIjEEEE10hipError_tPvRmT0_T1_T2_T3_T4_T5_mmT6_P12ihipStream_tbEUlT_E0_NS1_11comp_targetILNS1_3genE0ELNS1_11target_archE4294967295ELNS1_3gpuE0ELNS1_3repE0EEENS1_30default_config_static_selectorELNS0_4arch9wavefront6targetE1EEEvSQ_
		.amdhsa_group_segment_fixed_size 0
		.amdhsa_private_segment_fixed_size 0
		.amdhsa_kernarg_size 96
		.amdhsa_user_sgpr_count 6
		.amdhsa_user_sgpr_private_segment_buffer 1
		.amdhsa_user_sgpr_dispatch_ptr 0
		.amdhsa_user_sgpr_queue_ptr 0
		.amdhsa_user_sgpr_kernarg_segment_ptr 1
		.amdhsa_user_sgpr_dispatch_id 0
		.amdhsa_user_sgpr_flat_scratch_init 0
		.amdhsa_user_sgpr_kernarg_preload_length 0
		.amdhsa_user_sgpr_kernarg_preload_offset 0
		.amdhsa_user_sgpr_private_segment_size 0
		.amdhsa_uses_dynamic_stack 0
		.amdhsa_system_sgpr_private_segment_wavefront_offset 0
		.amdhsa_system_sgpr_workgroup_id_x 1
		.amdhsa_system_sgpr_workgroup_id_y 0
		.amdhsa_system_sgpr_workgroup_id_z 0
		.amdhsa_system_sgpr_workgroup_info 0
		.amdhsa_system_vgpr_workitem_id 0
		.amdhsa_next_free_vgpr 1
		.amdhsa_next_free_sgpr 0
		.amdhsa_accum_offset 4
		.amdhsa_reserve_vcc 0
		.amdhsa_reserve_flat_scratch 0
		.amdhsa_float_round_mode_32 0
		.amdhsa_float_round_mode_16_64 0
		.amdhsa_float_denorm_mode_32 3
		.amdhsa_float_denorm_mode_16_64 3
		.amdhsa_dx10_clamp 1
		.amdhsa_ieee_mode 1
		.amdhsa_fp16_overflow 0
		.amdhsa_tg_split 0
		.amdhsa_exception_fp_ieee_invalid_op 0
		.amdhsa_exception_fp_denorm_src 0
		.amdhsa_exception_fp_ieee_div_zero 0
		.amdhsa_exception_fp_ieee_overflow 0
		.amdhsa_exception_fp_ieee_underflow 0
		.amdhsa_exception_fp_ieee_inexact 0
		.amdhsa_exception_int_div_zero 0
	.end_amdhsa_kernel
	.section	.text._ZN7rocprim17ROCPRIM_400000_NS6detail17trampoline_kernelINS0_14default_configENS1_21merge_config_selectorIjNS0_10empty_typeEEEZNS1_10merge_implIS3_N6thrust23THRUST_200600_302600_NS6detail15normal_iteratorINS9_10device_ptrIKjEEEESF_NS9_16discard_iteratorINS9_11use_defaultEEEPS5_SJ_SJ_NS9_4lessIjEEEE10hipError_tPvRmT0_T1_T2_T3_T4_T5_mmT6_P12ihipStream_tbEUlT_E0_NS1_11comp_targetILNS1_3genE0ELNS1_11target_archE4294967295ELNS1_3gpuE0ELNS1_3repE0EEENS1_30default_config_static_selectorELNS0_4arch9wavefront6targetE1EEEvSQ_,"axG",@progbits,_ZN7rocprim17ROCPRIM_400000_NS6detail17trampoline_kernelINS0_14default_configENS1_21merge_config_selectorIjNS0_10empty_typeEEEZNS1_10merge_implIS3_N6thrust23THRUST_200600_302600_NS6detail15normal_iteratorINS9_10device_ptrIKjEEEESF_NS9_16discard_iteratorINS9_11use_defaultEEEPS5_SJ_SJ_NS9_4lessIjEEEE10hipError_tPvRmT0_T1_T2_T3_T4_T5_mmT6_P12ihipStream_tbEUlT_E0_NS1_11comp_targetILNS1_3genE0ELNS1_11target_archE4294967295ELNS1_3gpuE0ELNS1_3repE0EEENS1_30default_config_static_selectorELNS0_4arch9wavefront6targetE1EEEvSQ_,comdat
.Lfunc_end380:
	.size	_ZN7rocprim17ROCPRIM_400000_NS6detail17trampoline_kernelINS0_14default_configENS1_21merge_config_selectorIjNS0_10empty_typeEEEZNS1_10merge_implIS3_N6thrust23THRUST_200600_302600_NS6detail15normal_iteratorINS9_10device_ptrIKjEEEESF_NS9_16discard_iteratorINS9_11use_defaultEEEPS5_SJ_SJ_NS9_4lessIjEEEE10hipError_tPvRmT0_T1_T2_T3_T4_T5_mmT6_P12ihipStream_tbEUlT_E0_NS1_11comp_targetILNS1_3genE0ELNS1_11target_archE4294967295ELNS1_3gpuE0ELNS1_3repE0EEENS1_30default_config_static_selectorELNS0_4arch9wavefront6targetE1EEEvSQ_, .Lfunc_end380-_ZN7rocprim17ROCPRIM_400000_NS6detail17trampoline_kernelINS0_14default_configENS1_21merge_config_selectorIjNS0_10empty_typeEEEZNS1_10merge_implIS3_N6thrust23THRUST_200600_302600_NS6detail15normal_iteratorINS9_10device_ptrIKjEEEESF_NS9_16discard_iteratorINS9_11use_defaultEEEPS5_SJ_SJ_NS9_4lessIjEEEE10hipError_tPvRmT0_T1_T2_T3_T4_T5_mmT6_P12ihipStream_tbEUlT_E0_NS1_11comp_targetILNS1_3genE0ELNS1_11target_archE4294967295ELNS1_3gpuE0ELNS1_3repE0EEENS1_30default_config_static_selectorELNS0_4arch9wavefront6targetE1EEEvSQ_
                                        ; -- End function
	.section	.AMDGPU.csdata,"",@progbits
; Kernel info:
; codeLenInByte = 0
; NumSgprs: 4
; NumVgprs: 0
; NumAgprs: 0
; TotalNumVgprs: 0
; ScratchSize: 0
; MemoryBound: 0
; FloatMode: 240
; IeeeMode: 1
; LDSByteSize: 0 bytes/workgroup (compile time only)
; SGPRBlocks: 0
; VGPRBlocks: 0
; NumSGPRsForWavesPerEU: 4
; NumVGPRsForWavesPerEU: 1
; AccumOffset: 4
; Occupancy: 8
; WaveLimiterHint : 0
; COMPUTE_PGM_RSRC2:SCRATCH_EN: 0
; COMPUTE_PGM_RSRC2:USER_SGPR: 6
; COMPUTE_PGM_RSRC2:TRAP_HANDLER: 0
; COMPUTE_PGM_RSRC2:TGID_X_EN: 1
; COMPUTE_PGM_RSRC2:TGID_Y_EN: 0
; COMPUTE_PGM_RSRC2:TGID_Z_EN: 0
; COMPUTE_PGM_RSRC2:TIDIG_COMP_CNT: 0
; COMPUTE_PGM_RSRC3_GFX90A:ACCUM_OFFSET: 0
; COMPUTE_PGM_RSRC3_GFX90A:TG_SPLIT: 0
	.section	.text._ZN7rocprim17ROCPRIM_400000_NS6detail17trampoline_kernelINS0_14default_configENS1_21merge_config_selectorIjNS0_10empty_typeEEEZNS1_10merge_implIS3_N6thrust23THRUST_200600_302600_NS6detail15normal_iteratorINS9_10device_ptrIKjEEEESF_NS9_16discard_iteratorINS9_11use_defaultEEEPS5_SJ_SJ_NS9_4lessIjEEEE10hipError_tPvRmT0_T1_T2_T3_T4_T5_mmT6_P12ihipStream_tbEUlT_E0_NS1_11comp_targetILNS1_3genE5ELNS1_11target_archE942ELNS1_3gpuE9ELNS1_3repE0EEENS1_30default_config_static_selectorELNS0_4arch9wavefront6targetE1EEEvSQ_,"axG",@progbits,_ZN7rocprim17ROCPRIM_400000_NS6detail17trampoline_kernelINS0_14default_configENS1_21merge_config_selectorIjNS0_10empty_typeEEEZNS1_10merge_implIS3_N6thrust23THRUST_200600_302600_NS6detail15normal_iteratorINS9_10device_ptrIKjEEEESF_NS9_16discard_iteratorINS9_11use_defaultEEEPS5_SJ_SJ_NS9_4lessIjEEEE10hipError_tPvRmT0_T1_T2_T3_T4_T5_mmT6_P12ihipStream_tbEUlT_E0_NS1_11comp_targetILNS1_3genE5ELNS1_11target_archE942ELNS1_3gpuE9ELNS1_3repE0EEENS1_30default_config_static_selectorELNS0_4arch9wavefront6targetE1EEEvSQ_,comdat
	.protected	_ZN7rocprim17ROCPRIM_400000_NS6detail17trampoline_kernelINS0_14default_configENS1_21merge_config_selectorIjNS0_10empty_typeEEEZNS1_10merge_implIS3_N6thrust23THRUST_200600_302600_NS6detail15normal_iteratorINS9_10device_ptrIKjEEEESF_NS9_16discard_iteratorINS9_11use_defaultEEEPS5_SJ_SJ_NS9_4lessIjEEEE10hipError_tPvRmT0_T1_T2_T3_T4_T5_mmT6_P12ihipStream_tbEUlT_E0_NS1_11comp_targetILNS1_3genE5ELNS1_11target_archE942ELNS1_3gpuE9ELNS1_3repE0EEENS1_30default_config_static_selectorELNS0_4arch9wavefront6targetE1EEEvSQ_ ; -- Begin function _ZN7rocprim17ROCPRIM_400000_NS6detail17trampoline_kernelINS0_14default_configENS1_21merge_config_selectorIjNS0_10empty_typeEEEZNS1_10merge_implIS3_N6thrust23THRUST_200600_302600_NS6detail15normal_iteratorINS9_10device_ptrIKjEEEESF_NS9_16discard_iteratorINS9_11use_defaultEEEPS5_SJ_SJ_NS9_4lessIjEEEE10hipError_tPvRmT0_T1_T2_T3_T4_T5_mmT6_P12ihipStream_tbEUlT_E0_NS1_11comp_targetILNS1_3genE5ELNS1_11target_archE942ELNS1_3gpuE9ELNS1_3repE0EEENS1_30default_config_static_selectorELNS0_4arch9wavefront6targetE1EEEvSQ_
	.globl	_ZN7rocprim17ROCPRIM_400000_NS6detail17trampoline_kernelINS0_14default_configENS1_21merge_config_selectorIjNS0_10empty_typeEEEZNS1_10merge_implIS3_N6thrust23THRUST_200600_302600_NS6detail15normal_iteratorINS9_10device_ptrIKjEEEESF_NS9_16discard_iteratorINS9_11use_defaultEEEPS5_SJ_SJ_NS9_4lessIjEEEE10hipError_tPvRmT0_T1_T2_T3_T4_T5_mmT6_P12ihipStream_tbEUlT_E0_NS1_11comp_targetILNS1_3genE5ELNS1_11target_archE942ELNS1_3gpuE9ELNS1_3repE0EEENS1_30default_config_static_selectorELNS0_4arch9wavefront6targetE1EEEvSQ_
	.p2align	8
	.type	_ZN7rocprim17ROCPRIM_400000_NS6detail17trampoline_kernelINS0_14default_configENS1_21merge_config_selectorIjNS0_10empty_typeEEEZNS1_10merge_implIS3_N6thrust23THRUST_200600_302600_NS6detail15normal_iteratorINS9_10device_ptrIKjEEEESF_NS9_16discard_iteratorINS9_11use_defaultEEEPS5_SJ_SJ_NS9_4lessIjEEEE10hipError_tPvRmT0_T1_T2_T3_T4_T5_mmT6_P12ihipStream_tbEUlT_E0_NS1_11comp_targetILNS1_3genE5ELNS1_11target_archE942ELNS1_3gpuE9ELNS1_3repE0EEENS1_30default_config_static_selectorELNS0_4arch9wavefront6targetE1EEEvSQ_,@function
_ZN7rocprim17ROCPRIM_400000_NS6detail17trampoline_kernelINS0_14default_configENS1_21merge_config_selectorIjNS0_10empty_typeEEEZNS1_10merge_implIS3_N6thrust23THRUST_200600_302600_NS6detail15normal_iteratorINS9_10device_ptrIKjEEEESF_NS9_16discard_iteratorINS9_11use_defaultEEEPS5_SJ_SJ_NS9_4lessIjEEEE10hipError_tPvRmT0_T1_T2_T3_T4_T5_mmT6_P12ihipStream_tbEUlT_E0_NS1_11comp_targetILNS1_3genE5ELNS1_11target_archE942ELNS1_3gpuE9ELNS1_3repE0EEENS1_30default_config_static_selectorELNS0_4arch9wavefront6targetE1EEEvSQ_: ; @_ZN7rocprim17ROCPRIM_400000_NS6detail17trampoline_kernelINS0_14default_configENS1_21merge_config_selectorIjNS0_10empty_typeEEEZNS1_10merge_implIS3_N6thrust23THRUST_200600_302600_NS6detail15normal_iteratorINS9_10device_ptrIKjEEEESF_NS9_16discard_iteratorINS9_11use_defaultEEEPS5_SJ_SJ_NS9_4lessIjEEEE10hipError_tPvRmT0_T1_T2_T3_T4_T5_mmT6_P12ihipStream_tbEUlT_E0_NS1_11comp_targetILNS1_3genE5ELNS1_11target_archE942ELNS1_3gpuE9ELNS1_3repE0EEENS1_30default_config_static_selectorELNS0_4arch9wavefront6targetE1EEEvSQ_
; %bb.0:
	.section	.rodata,"a",@progbits
	.p2align	6, 0x0
	.amdhsa_kernel _ZN7rocprim17ROCPRIM_400000_NS6detail17trampoline_kernelINS0_14default_configENS1_21merge_config_selectorIjNS0_10empty_typeEEEZNS1_10merge_implIS3_N6thrust23THRUST_200600_302600_NS6detail15normal_iteratorINS9_10device_ptrIKjEEEESF_NS9_16discard_iteratorINS9_11use_defaultEEEPS5_SJ_SJ_NS9_4lessIjEEEE10hipError_tPvRmT0_T1_T2_T3_T4_T5_mmT6_P12ihipStream_tbEUlT_E0_NS1_11comp_targetILNS1_3genE5ELNS1_11target_archE942ELNS1_3gpuE9ELNS1_3repE0EEENS1_30default_config_static_selectorELNS0_4arch9wavefront6targetE1EEEvSQ_
		.amdhsa_group_segment_fixed_size 0
		.amdhsa_private_segment_fixed_size 0
		.amdhsa_kernarg_size 96
		.amdhsa_user_sgpr_count 6
		.amdhsa_user_sgpr_private_segment_buffer 1
		.amdhsa_user_sgpr_dispatch_ptr 0
		.amdhsa_user_sgpr_queue_ptr 0
		.amdhsa_user_sgpr_kernarg_segment_ptr 1
		.amdhsa_user_sgpr_dispatch_id 0
		.amdhsa_user_sgpr_flat_scratch_init 0
		.amdhsa_user_sgpr_kernarg_preload_length 0
		.amdhsa_user_sgpr_kernarg_preload_offset 0
		.amdhsa_user_sgpr_private_segment_size 0
		.amdhsa_uses_dynamic_stack 0
		.amdhsa_system_sgpr_private_segment_wavefront_offset 0
		.amdhsa_system_sgpr_workgroup_id_x 1
		.amdhsa_system_sgpr_workgroup_id_y 0
		.amdhsa_system_sgpr_workgroup_id_z 0
		.amdhsa_system_sgpr_workgroup_info 0
		.amdhsa_system_vgpr_workitem_id 0
		.amdhsa_next_free_vgpr 1
		.amdhsa_next_free_sgpr 0
		.amdhsa_accum_offset 4
		.amdhsa_reserve_vcc 0
		.amdhsa_reserve_flat_scratch 0
		.amdhsa_float_round_mode_32 0
		.amdhsa_float_round_mode_16_64 0
		.amdhsa_float_denorm_mode_32 3
		.amdhsa_float_denorm_mode_16_64 3
		.amdhsa_dx10_clamp 1
		.amdhsa_ieee_mode 1
		.amdhsa_fp16_overflow 0
		.amdhsa_tg_split 0
		.amdhsa_exception_fp_ieee_invalid_op 0
		.amdhsa_exception_fp_denorm_src 0
		.amdhsa_exception_fp_ieee_div_zero 0
		.amdhsa_exception_fp_ieee_overflow 0
		.amdhsa_exception_fp_ieee_underflow 0
		.amdhsa_exception_fp_ieee_inexact 0
		.amdhsa_exception_int_div_zero 0
	.end_amdhsa_kernel
	.section	.text._ZN7rocprim17ROCPRIM_400000_NS6detail17trampoline_kernelINS0_14default_configENS1_21merge_config_selectorIjNS0_10empty_typeEEEZNS1_10merge_implIS3_N6thrust23THRUST_200600_302600_NS6detail15normal_iteratorINS9_10device_ptrIKjEEEESF_NS9_16discard_iteratorINS9_11use_defaultEEEPS5_SJ_SJ_NS9_4lessIjEEEE10hipError_tPvRmT0_T1_T2_T3_T4_T5_mmT6_P12ihipStream_tbEUlT_E0_NS1_11comp_targetILNS1_3genE5ELNS1_11target_archE942ELNS1_3gpuE9ELNS1_3repE0EEENS1_30default_config_static_selectorELNS0_4arch9wavefront6targetE1EEEvSQ_,"axG",@progbits,_ZN7rocprim17ROCPRIM_400000_NS6detail17trampoline_kernelINS0_14default_configENS1_21merge_config_selectorIjNS0_10empty_typeEEEZNS1_10merge_implIS3_N6thrust23THRUST_200600_302600_NS6detail15normal_iteratorINS9_10device_ptrIKjEEEESF_NS9_16discard_iteratorINS9_11use_defaultEEEPS5_SJ_SJ_NS9_4lessIjEEEE10hipError_tPvRmT0_T1_T2_T3_T4_T5_mmT6_P12ihipStream_tbEUlT_E0_NS1_11comp_targetILNS1_3genE5ELNS1_11target_archE942ELNS1_3gpuE9ELNS1_3repE0EEENS1_30default_config_static_selectorELNS0_4arch9wavefront6targetE1EEEvSQ_,comdat
.Lfunc_end381:
	.size	_ZN7rocprim17ROCPRIM_400000_NS6detail17trampoline_kernelINS0_14default_configENS1_21merge_config_selectorIjNS0_10empty_typeEEEZNS1_10merge_implIS3_N6thrust23THRUST_200600_302600_NS6detail15normal_iteratorINS9_10device_ptrIKjEEEESF_NS9_16discard_iteratorINS9_11use_defaultEEEPS5_SJ_SJ_NS9_4lessIjEEEE10hipError_tPvRmT0_T1_T2_T3_T4_T5_mmT6_P12ihipStream_tbEUlT_E0_NS1_11comp_targetILNS1_3genE5ELNS1_11target_archE942ELNS1_3gpuE9ELNS1_3repE0EEENS1_30default_config_static_selectorELNS0_4arch9wavefront6targetE1EEEvSQ_, .Lfunc_end381-_ZN7rocprim17ROCPRIM_400000_NS6detail17trampoline_kernelINS0_14default_configENS1_21merge_config_selectorIjNS0_10empty_typeEEEZNS1_10merge_implIS3_N6thrust23THRUST_200600_302600_NS6detail15normal_iteratorINS9_10device_ptrIKjEEEESF_NS9_16discard_iteratorINS9_11use_defaultEEEPS5_SJ_SJ_NS9_4lessIjEEEE10hipError_tPvRmT0_T1_T2_T3_T4_T5_mmT6_P12ihipStream_tbEUlT_E0_NS1_11comp_targetILNS1_3genE5ELNS1_11target_archE942ELNS1_3gpuE9ELNS1_3repE0EEENS1_30default_config_static_selectorELNS0_4arch9wavefront6targetE1EEEvSQ_
                                        ; -- End function
	.section	.AMDGPU.csdata,"",@progbits
; Kernel info:
; codeLenInByte = 0
; NumSgprs: 4
; NumVgprs: 0
; NumAgprs: 0
; TotalNumVgprs: 0
; ScratchSize: 0
; MemoryBound: 0
; FloatMode: 240
; IeeeMode: 1
; LDSByteSize: 0 bytes/workgroup (compile time only)
; SGPRBlocks: 0
; VGPRBlocks: 0
; NumSGPRsForWavesPerEU: 4
; NumVGPRsForWavesPerEU: 1
; AccumOffset: 4
; Occupancy: 8
; WaveLimiterHint : 0
; COMPUTE_PGM_RSRC2:SCRATCH_EN: 0
; COMPUTE_PGM_RSRC2:USER_SGPR: 6
; COMPUTE_PGM_RSRC2:TRAP_HANDLER: 0
; COMPUTE_PGM_RSRC2:TGID_X_EN: 1
; COMPUTE_PGM_RSRC2:TGID_Y_EN: 0
; COMPUTE_PGM_RSRC2:TGID_Z_EN: 0
; COMPUTE_PGM_RSRC2:TIDIG_COMP_CNT: 0
; COMPUTE_PGM_RSRC3_GFX90A:ACCUM_OFFSET: 0
; COMPUTE_PGM_RSRC3_GFX90A:TG_SPLIT: 0
	.section	.text._ZN7rocprim17ROCPRIM_400000_NS6detail17trampoline_kernelINS0_14default_configENS1_21merge_config_selectorIjNS0_10empty_typeEEEZNS1_10merge_implIS3_N6thrust23THRUST_200600_302600_NS6detail15normal_iteratorINS9_10device_ptrIKjEEEESF_NS9_16discard_iteratorINS9_11use_defaultEEEPS5_SJ_SJ_NS9_4lessIjEEEE10hipError_tPvRmT0_T1_T2_T3_T4_T5_mmT6_P12ihipStream_tbEUlT_E0_NS1_11comp_targetILNS1_3genE4ELNS1_11target_archE910ELNS1_3gpuE8ELNS1_3repE0EEENS1_30default_config_static_selectorELNS0_4arch9wavefront6targetE1EEEvSQ_,"axG",@progbits,_ZN7rocprim17ROCPRIM_400000_NS6detail17trampoline_kernelINS0_14default_configENS1_21merge_config_selectorIjNS0_10empty_typeEEEZNS1_10merge_implIS3_N6thrust23THRUST_200600_302600_NS6detail15normal_iteratorINS9_10device_ptrIKjEEEESF_NS9_16discard_iteratorINS9_11use_defaultEEEPS5_SJ_SJ_NS9_4lessIjEEEE10hipError_tPvRmT0_T1_T2_T3_T4_T5_mmT6_P12ihipStream_tbEUlT_E0_NS1_11comp_targetILNS1_3genE4ELNS1_11target_archE910ELNS1_3gpuE8ELNS1_3repE0EEENS1_30default_config_static_selectorELNS0_4arch9wavefront6targetE1EEEvSQ_,comdat
	.protected	_ZN7rocprim17ROCPRIM_400000_NS6detail17trampoline_kernelINS0_14default_configENS1_21merge_config_selectorIjNS0_10empty_typeEEEZNS1_10merge_implIS3_N6thrust23THRUST_200600_302600_NS6detail15normal_iteratorINS9_10device_ptrIKjEEEESF_NS9_16discard_iteratorINS9_11use_defaultEEEPS5_SJ_SJ_NS9_4lessIjEEEE10hipError_tPvRmT0_T1_T2_T3_T4_T5_mmT6_P12ihipStream_tbEUlT_E0_NS1_11comp_targetILNS1_3genE4ELNS1_11target_archE910ELNS1_3gpuE8ELNS1_3repE0EEENS1_30default_config_static_selectorELNS0_4arch9wavefront6targetE1EEEvSQ_ ; -- Begin function _ZN7rocprim17ROCPRIM_400000_NS6detail17trampoline_kernelINS0_14default_configENS1_21merge_config_selectorIjNS0_10empty_typeEEEZNS1_10merge_implIS3_N6thrust23THRUST_200600_302600_NS6detail15normal_iteratorINS9_10device_ptrIKjEEEESF_NS9_16discard_iteratorINS9_11use_defaultEEEPS5_SJ_SJ_NS9_4lessIjEEEE10hipError_tPvRmT0_T1_T2_T3_T4_T5_mmT6_P12ihipStream_tbEUlT_E0_NS1_11comp_targetILNS1_3genE4ELNS1_11target_archE910ELNS1_3gpuE8ELNS1_3repE0EEENS1_30default_config_static_selectorELNS0_4arch9wavefront6targetE1EEEvSQ_
	.globl	_ZN7rocprim17ROCPRIM_400000_NS6detail17trampoline_kernelINS0_14default_configENS1_21merge_config_selectorIjNS0_10empty_typeEEEZNS1_10merge_implIS3_N6thrust23THRUST_200600_302600_NS6detail15normal_iteratorINS9_10device_ptrIKjEEEESF_NS9_16discard_iteratorINS9_11use_defaultEEEPS5_SJ_SJ_NS9_4lessIjEEEE10hipError_tPvRmT0_T1_T2_T3_T4_T5_mmT6_P12ihipStream_tbEUlT_E0_NS1_11comp_targetILNS1_3genE4ELNS1_11target_archE910ELNS1_3gpuE8ELNS1_3repE0EEENS1_30default_config_static_selectorELNS0_4arch9wavefront6targetE1EEEvSQ_
	.p2align	8
	.type	_ZN7rocprim17ROCPRIM_400000_NS6detail17trampoline_kernelINS0_14default_configENS1_21merge_config_selectorIjNS0_10empty_typeEEEZNS1_10merge_implIS3_N6thrust23THRUST_200600_302600_NS6detail15normal_iteratorINS9_10device_ptrIKjEEEESF_NS9_16discard_iteratorINS9_11use_defaultEEEPS5_SJ_SJ_NS9_4lessIjEEEE10hipError_tPvRmT0_T1_T2_T3_T4_T5_mmT6_P12ihipStream_tbEUlT_E0_NS1_11comp_targetILNS1_3genE4ELNS1_11target_archE910ELNS1_3gpuE8ELNS1_3repE0EEENS1_30default_config_static_selectorELNS0_4arch9wavefront6targetE1EEEvSQ_,@function
_ZN7rocprim17ROCPRIM_400000_NS6detail17trampoline_kernelINS0_14default_configENS1_21merge_config_selectorIjNS0_10empty_typeEEEZNS1_10merge_implIS3_N6thrust23THRUST_200600_302600_NS6detail15normal_iteratorINS9_10device_ptrIKjEEEESF_NS9_16discard_iteratorINS9_11use_defaultEEEPS5_SJ_SJ_NS9_4lessIjEEEE10hipError_tPvRmT0_T1_T2_T3_T4_T5_mmT6_P12ihipStream_tbEUlT_E0_NS1_11comp_targetILNS1_3genE4ELNS1_11target_archE910ELNS1_3gpuE8ELNS1_3repE0EEENS1_30default_config_static_selectorELNS0_4arch9wavefront6targetE1EEEvSQ_: ; @_ZN7rocprim17ROCPRIM_400000_NS6detail17trampoline_kernelINS0_14default_configENS1_21merge_config_selectorIjNS0_10empty_typeEEEZNS1_10merge_implIS3_N6thrust23THRUST_200600_302600_NS6detail15normal_iteratorINS9_10device_ptrIKjEEEESF_NS9_16discard_iteratorINS9_11use_defaultEEEPS5_SJ_SJ_NS9_4lessIjEEEE10hipError_tPvRmT0_T1_T2_T3_T4_T5_mmT6_P12ihipStream_tbEUlT_E0_NS1_11comp_targetILNS1_3genE4ELNS1_11target_archE910ELNS1_3gpuE8ELNS1_3repE0EEENS1_30default_config_static_selectorELNS0_4arch9wavefront6targetE1EEEvSQ_
; %bb.0:
	s_load_dwordx4 s[0:3], s[4:5], 0x48
	s_load_dwordx4 s[8:11], s[4:5], 0x8
	s_load_dwordx2 s[12:13], s[4:5], 0x18
	s_mul_i32 s20, s6, 0xa00
	s_mov_b32 s17, 0
	s_waitcnt lgkmcnt(0)
	s_add_i32 s21, s2, s0
	s_add_i32 s0, s21, 0x9ff
	s_mul_hi_u32 s0, s0, 0xcccccccd
	s_lshr_b32 s0, s0, 11
	s_min_u32 s1, s6, s0
	s_lshl_b32 s1, s1, 2
	s_load_dword s16, s[8:9], s1 offset:0x0
	s_add_i32 s6, s6, 1
	s_min_u32 s0, s6, s0
	s_lshl_b32 s0, s0, 2
	s_load_dword s6, s[8:9], s0 offset:0x0
	s_add_i32 s0, s20, 0xa00
	s_min_u32 s7, s21, s0
	s_waitcnt lgkmcnt(0)
	s_sub_i32 s2, s20, s16
	s_lshl_b64 s[0:1], s[16:17], 2
	s_add_u32 s0, s10, s0
	s_mov_b32 s3, s17
	s_addc_u32 s1, s11, s1
	s_lshl_b64 s[4:5], s[2:3], 2
	s_add_u32 s9, s12, s4
	s_addc_u32 s10, s13, s5
	s_add_i32 s2, s2, s6
	s_sub_i32 s16, s6, s16
	s_sub_i32 s8, s7, s2
	s_add_u32 s2, s8, s16
	s_addc_u32 s3, 0, 0
	v_mov_b32_e32 v1, 0
	v_cmp_le_u32_e32 vcc, s16, v0
	s_and_saveexec_b64 s[4:5], vcc
	s_xor_b64 s[4:5], exec, s[4:5]
	s_cbranch_execz .LBB382_4
; %bb.1:
	v_cmp_gt_u64_e32 vcc, s[2:3], v[0:1]
	s_and_saveexec_b64 s[6:7], vcc
	s_cbranch_execz .LBB382_3
; %bb.2:
	v_mov_b32_e32 v1, s17
	v_subrev_co_u32_e32 v2, vcc, s16, v0
	v_subb_co_u32_e32 v3, vcc, 0, v1, vcc
	v_lshlrev_b64 v[2:3], 2, v[2:3]
	v_mov_b32_e32 v1, s10
	v_add_co_u32_e32 v2, vcc, s9, v2
	v_addc_co_u32_e32 v3, vcc, v1, v3, vcc
	global_load_dword v1, v[2:3], off
	v_lshlrev_b32_e32 v2, 2, v0
	s_waitcnt vmcnt(0)
	ds_write_b32 v2, v1
.LBB382_3:
	s_or_b64 exec, exec, s[6:7]
.LBB382_4:
	s_or_saveexec_b64 s[4:5], s[4:5]
	v_lshlrev_b32_e32 v1, 2, v0
	s_xor_b64 exec, exec, s[4:5]
	s_cbranch_execz .LBB382_6
; %bb.5:
	global_load_dword v2, v1, s[0:1]
	s_waitcnt vmcnt(0)
	ds_write_b32 v1, v2
.LBB382_6:
	s_or_b64 exec, exec, s[4:5]
	v_or_b32_e32 v2, 0x100, v0
	v_cmp_le_u32_e32 vcc, s16, v2
	s_and_saveexec_b64 s[4:5], vcc
	s_xor_b64 s[4:5], exec, s[4:5]
	s_cbranch_execz .LBB382_10
; %bb.7:
	v_mov_b32_e32 v3, 0
	v_cmp_gt_u64_e32 vcc, s[2:3], v[2:3]
	s_and_saveexec_b64 s[6:7], vcc
	s_cbranch_execz .LBB382_9
; %bb.8:
	v_mov_b32_e32 v3, s17
	v_subrev_co_u32_e32 v2, vcc, s16, v0
	v_subb_co_u32_e32 v3, vcc, 0, v3, vcc
	v_lshlrev_b64 v[2:3], 2, v[2:3]
	v_mov_b32_e32 v4, s10
	v_add_co_u32_e32 v2, vcc, s9, v2
	v_addc_co_u32_e32 v3, vcc, v4, v3, vcc
	global_load_dword v2, v[2:3], off offset:1024
	s_waitcnt vmcnt(0)
	ds_write_b32 v1, v2 offset:1024
.LBB382_9:
	s_or_b64 exec, exec, s[6:7]
.LBB382_10:
	s_andn2_saveexec_b64 s[4:5], s[4:5]
	s_cbranch_execz .LBB382_12
; %bb.11:
	global_load_dword v2, v1, s[0:1] offset:1024
	s_waitcnt vmcnt(0)
	ds_write_b32 v1, v2 offset:1024
.LBB382_12:
	s_or_b64 exec, exec, s[4:5]
	v_or_b32_e32 v2, 0x200, v0
	v_cmp_le_u32_e32 vcc, s16, v2
	s_and_saveexec_b64 s[4:5], vcc
	s_xor_b64 s[4:5], exec, s[4:5]
	s_cbranch_execz .LBB382_16
; %bb.13:
	v_mov_b32_e32 v3, 0
	v_cmp_gt_u64_e32 vcc, s[2:3], v[2:3]
	s_and_saveexec_b64 s[6:7], vcc
	s_cbranch_execz .LBB382_15
; %bb.14:
	v_mov_b32_e32 v3, s17
	v_subrev_co_u32_e32 v2, vcc, s16, v0
	v_subb_co_u32_e32 v3, vcc, 0, v3, vcc
	v_lshlrev_b64 v[2:3], 2, v[2:3]
	v_mov_b32_e32 v4, s10
	v_add_co_u32_e32 v2, vcc, s9, v2
	v_addc_co_u32_e32 v3, vcc, v4, v3, vcc
	global_load_dword v2, v[2:3], off offset:2048
	s_waitcnt vmcnt(0)
	ds_write_b32 v1, v2 offset:2048
.LBB382_15:
	s_or_b64 exec, exec, s[6:7]
.LBB382_16:
	s_andn2_saveexec_b64 s[4:5], s[4:5]
	s_cbranch_execz .LBB382_18
; %bb.17:
	global_load_dword v2, v1, s[0:1] offset:2048
	s_waitcnt vmcnt(0)
	ds_write_b32 v1, v2 offset:2048
.LBB382_18:
	;; [unrolled: 32-line block ×3, first 2 shown]
	s_or_b64 exec, exec, s[4:5]
	v_or_b32_e32 v2, 0x400, v0
	v_mov_b32_e32 v3, 0
	v_cmp_le_u32_e32 vcc, s16, v2
	s_and_saveexec_b64 s[4:5], vcc
	s_xor_b64 s[4:5], exec, s[4:5]
	s_cbranch_execz .LBB382_28
; %bb.25:
	v_cmp_gt_u64_e32 vcc, s[2:3], v[2:3]
	s_and_saveexec_b64 s[6:7], vcc
	s_cbranch_execz .LBB382_27
; %bb.26:
	v_mov_b32_e32 v3, s17
	v_subrev_co_u32_e32 v2, vcc, s16, v2
	v_subb_co_u32_e32 v3, vcc, 0, v3, vcc
	v_lshlrev_b64 v[2:3], 2, v[2:3]
	v_mov_b32_e32 v4, s10
	v_add_co_u32_e32 v2, vcc, s9, v2
	v_addc_co_u32_e32 v3, vcc, v4, v3, vcc
	global_load_dword v2, v[2:3], off
	s_waitcnt vmcnt(0)
	ds_write_b32 v1, v2 offset:4096
.LBB382_27:
	s_or_b64 exec, exec, s[6:7]
                                        ; implicit-def: $vgpr2_vgpr3
.LBB382_28:
	s_andn2_saveexec_b64 s[4:5], s[4:5]
	s_cbranch_execz .LBB382_30
; %bb.29:
	v_lshlrev_b32_e32 v2, 2, v2
	global_load_dword v2, v2, s[0:1]
	s_waitcnt vmcnt(0)
	ds_write_b32 v1, v2 offset:4096
.LBB382_30:
	s_or_b64 exec, exec, s[4:5]
	v_or_b32_e32 v2, 0x500, v0
	v_mov_b32_e32 v3, 0
	v_cmp_le_u32_e32 vcc, s16, v2
	s_and_saveexec_b64 s[4:5], vcc
	s_xor_b64 s[4:5], exec, s[4:5]
	s_cbranch_execz .LBB382_34
; %bb.31:
	v_cmp_gt_u64_e32 vcc, s[2:3], v[2:3]
	s_and_saveexec_b64 s[6:7], vcc
	s_cbranch_execz .LBB382_33
; %bb.32:
	v_mov_b32_e32 v3, s17
	v_subrev_co_u32_e32 v2, vcc, s16, v2
	v_subb_co_u32_e32 v3, vcc, 0, v3, vcc
	v_lshlrev_b64 v[2:3], 2, v[2:3]
	v_mov_b32_e32 v4, s10
	v_add_co_u32_e32 v2, vcc, s9, v2
	v_addc_co_u32_e32 v3, vcc, v4, v3, vcc
	global_load_dword v2, v[2:3], off
	s_waitcnt vmcnt(0)
	ds_write_b32 v1, v2 offset:5120
.LBB382_33:
	s_or_b64 exec, exec, s[6:7]
                                        ; implicit-def: $vgpr2_vgpr3
.LBB382_34:
	s_andn2_saveexec_b64 s[4:5], s[4:5]
	s_cbranch_execz .LBB382_36
; %bb.35:
	v_lshlrev_b32_e32 v2, 2, v2
	global_load_dword v2, v2, s[0:1]
	s_waitcnt vmcnt(0)
	ds_write_b32 v1, v2 offset:5120
.LBB382_36:
	;; [unrolled: 34-line block ×5, first 2 shown]
	s_or_b64 exec, exec, s[4:5]
	v_or_b32_e32 v2, 0x900, v0
	v_mov_b32_e32 v3, 0
	v_cmp_le_u32_e32 vcc, s16, v2
	s_and_saveexec_b64 s[4:5], vcc
	s_xor_b64 s[4:5], exec, s[4:5]
	s_cbranch_execz .LBB382_58
; %bb.55:
	v_cmp_gt_u64_e32 vcc, s[2:3], v[2:3]
	s_and_saveexec_b64 s[2:3], vcc
	s_cbranch_execz .LBB382_57
; %bb.56:
	v_mov_b32_e32 v3, s17
	v_subrev_co_u32_e32 v2, vcc, s16, v2
	v_subb_co_u32_e32 v3, vcc, 0, v3, vcc
	v_lshlrev_b64 v[2:3], 2, v[2:3]
	v_mov_b32_e32 v4, s10
	v_add_co_u32_e32 v2, vcc, s9, v2
	v_addc_co_u32_e32 v3, vcc, v4, v3, vcc
	global_load_dword v2, v[2:3], off
	s_waitcnt vmcnt(0)
	ds_write_b32 v1, v2 offset:9216
.LBB382_57:
	s_or_b64 exec, exec, s[2:3]
                                        ; implicit-def: $vgpr2_vgpr3
                                        ; implicit-def: $vgpr1
.LBB382_58:
	s_andn2_saveexec_b64 s[2:3], s[4:5]
	s_cbranch_execz .LBB382_60
; %bb.59:
	v_lshlrev_b32_e32 v2, 2, v2
	global_load_dword v2, v2, s[0:1]
	s_waitcnt vmcnt(0)
	ds_write_b32 v1, v2 offset:9216
.LBB382_60:
	s_or_b64 exec, exec, s[2:3]
	v_mul_u32_u24_e32 v0, 10, v0
	v_sub_u32_e64 v8, v0, s8 clamp
	v_min_u32_e32 v1, s16, v0
	v_cmp_lt_u32_e32 vcc, v8, v1
	v_lshlrev_b32_e32 v14, 2, v0
	s_waitcnt lgkmcnt(0)
	s_barrier
	s_and_saveexec_b64 s[0:1], vcc
	s_cbranch_execz .LBB382_64
; %bb.61:
	v_lshl_add_u32 v2, s16, 2, v14
	s_mov_b64 s[2:3], 0
.LBB382_62:                             ; =>This Inner Loop Header: Depth=1
	v_add_u32_e32 v3, v1, v8
	v_lshrrev_b32_e32 v3, 1, v3
	v_not_b32_e32 v4, v3
	v_lshlrev_b32_e32 v5, 2, v3
	v_lshl_add_u32 v4, v4, 2, v2
	ds_read_b32 v5, v5
	ds_read_b32 v4, v4
	v_add_u32_e32 v6, 1, v3
	s_waitcnt lgkmcnt(0)
	v_cmp_lt_u32_e32 vcc, v4, v5
	v_cndmask_b32_e32 v1, v1, v3, vcc
	v_cndmask_b32_e32 v8, v6, v8, vcc
	v_cmp_ge_u32_e32 vcc, v8, v1
	s_or_b64 s[2:3], vcc, s[2:3]
	s_andn2_b64 exec, exec, s[2:3]
	s_cbranch_execnz .LBB382_62
; %bb.63:
	s_or_b64 exec, exec, s[2:3]
.LBB382_64:
	s_or_b64 exec, exec, s[0:1]
	v_add_u32_e32 v0, s16, v0
	s_add_i32 s17, s8, s16
	v_sub_u32_e32 v10, v0, v8
	v_cmp_ge_u32_e32 vcc, s16, v8
	v_cmp_ge_u32_e64 s[0:1], s17, v10
	s_or_b64 s[0:1], vcc, s[0:1]
                                        ; implicit-def: $vgpr11
                                        ; implicit-def: $vgpr13
                                        ; implicit-def: $vgpr9
	s_and_saveexec_b64 s[18:19], s[0:1]
                                        ; implicit-def: $vgpr4_vgpr5_vgpr6_vgpr7
                                        ; implicit-def: $vgpr0_vgpr1_vgpr2_vgpr3
	s_cbranch_execz .LBB382_70
; %bb.65:
	v_cmp_gt_u32_e32 vcc, s16, v8
                                        ; implicit-def: $vgpr0
	s_and_saveexec_b64 s[0:1], vcc
	s_cbranch_execz .LBB382_67
; %bb.66:
	v_lshlrev_b32_e32 v0, 2, v8
	ds_read_b32 v0, v0
.LBB382_67:
	s_or_b64 exec, exec, s[0:1]
	v_cmp_le_u32_e64 s[0:1], s17, v10
	v_cmp_gt_u32_e64 s[2:3], s17, v10
                                        ; implicit-def: $vgpr1
	s_and_saveexec_b64 s[4:5], s[2:3]
	s_cbranch_execz .LBB382_69
; %bb.68:
	v_lshlrev_b32_e32 v1, 2, v10
	ds_read_b32 v1, v1
.LBB382_69:
	s_or_b64 exec, exec, s[4:5]
	s_waitcnt lgkmcnt(0)
	v_cmp_ge_u32_e64 s[2:3], v1, v0
	s_and_b64 s[2:3], vcc, s[2:3]
	s_or_b64 vcc, s[0:1], s[2:3]
	v_mov_b32_e32 v3, s17
	v_mov_b32_e32 v5, s16
	v_cndmask_b32_e32 v2, v10, v8, vcc
	v_cndmask_b32_e32 v4, v3, v5, vcc
	v_add_u32_e32 v2, 1, v2
	v_add_u32_e32 v4, -1, v4
	v_min_u32_e32 v4, v2, v4
	v_lshlrev_b32_e32 v4, 2, v4
	ds_read_b32 v4, v4
	v_cndmask_b32_e32 v7, v2, v10, vcc
	v_cndmask_b32_e32 v2, v8, v2, vcc
	v_cmp_gt_u32_e64 s[2:3], s16, v2
	v_cmp_le_u32_e64 s[0:1], s17, v7
	s_waitcnt lgkmcnt(0)
	v_cndmask_b32_e32 v6, v4, v1, vcc
	v_cndmask_b32_e32 v4, v0, v4, vcc
	v_cmp_ge_u32_e64 s[4:5], v6, v4
	s_and_b64 s[2:3], s[2:3], s[4:5]
	s_or_b64 s[0:1], s[0:1], s[2:3]
	v_cndmask_b32_e64 v8, v7, v2, s[0:1]
	v_cndmask_b32_e64 v9, v3, v5, s[0:1]
	v_add_u32_e32 v8, 1, v8
	v_add_u32_e32 v9, -1, v9
	v_min_u32_e32 v9, v8, v9
	v_lshlrev_b32_e32 v9, 2, v9
	ds_read_b32 v9, v9
	v_cndmask_b32_e64 v2, v2, v8, s[0:1]
	v_cndmask_b32_e64 v7, v8, v7, s[0:1]
	v_cmp_gt_u32_e64 s[4:5], s16, v2
	v_cmp_le_u32_e64 s[2:3], s17, v7
	s_waitcnt lgkmcnt(0)
	v_cndmask_b32_e64 v10, v9, v6, s[0:1]
	v_cndmask_b32_e64 v9, v4, v9, s[0:1]
	v_cmp_ge_u32_e64 s[6:7], v10, v9
	s_and_b64 s[4:5], s[4:5], s[6:7]
	s_or_b64 s[2:3], s[2:3], s[4:5]
	v_cndmask_b32_e64 v8, v7, v2, s[2:3]
	v_cndmask_b32_e64 v11, v3, v5, s[2:3]
	v_add_u32_e32 v8, 1, v8
	v_add_u32_e32 v11, -1, v11
	v_min_u32_e32 v11, v8, v11
	v_lshlrev_b32_e32 v11, 2, v11
	ds_read_b32 v11, v11
	v_cndmask_b32_e64 v2, v2, v8, s[2:3]
	v_cndmask_b32_e64 v7, v8, v7, s[2:3]
	v_cmp_gt_u32_e64 s[6:7], s16, v2
	v_cmp_le_u32_e64 s[4:5], s17, v7
	s_waitcnt lgkmcnt(0)
	v_cndmask_b32_e64 v12, v11, v10, s[2:3]
	v_cndmask_b32_e64 v11, v9, v11, s[2:3]
	;; [unrolled: 17-line block ×5, first 2 shown]
	v_cmp_ge_u32_e64 s[14:15], v19, v18
	s_and_b64 s[12:13], s[12:13], s[14:15]
	s_or_b64 s[10:11], s[10:11], s[12:13]
	v_cndmask_b32_e64 v8, v7, v2, s[10:11]
	v_cndmask_b32_e64 v20, v3, v5, s[10:11]
	v_add_u32_e32 v8, 1, v8
	v_add_u32_e32 v20, -1, v20
	v_min_u32_e32 v20, v8, v20
	v_lshlrev_b32_e32 v20, 2, v20
	ds_read_b32 v20, v20
	v_cndmask_b32_e64 v2, v2, v8, s[10:11]
	v_cndmask_b32_e64 v7, v8, v7, s[10:11]
	v_cmp_gt_u32_e64 s[12:13], s16, v2
	v_cndmask_b32_e32 v0, v1, v0, vcc
	s_waitcnt lgkmcnt(0)
	v_cndmask_b32_e64 v21, v20, v19, s[10:11]
	v_cndmask_b32_e64 v20, v18, v20, s[10:11]
	v_cmp_ge_u32_e64 s[14:15], v21, v20
	v_cmp_le_u32_e32 vcc, s17, v7
	s_and_b64 s[12:13], s[12:13], s[14:15]
	s_or_b64 vcc, vcc, s[12:13]
	v_cndmask_b32_e32 v1, v7, v2, vcc
	v_cndmask_b32_e32 v8, v3, v5, vcc
	v_add_u32_e32 v22, 1, v1
	v_add_u32_e32 v1, -1, v8
	v_min_u32_e32 v1, v22, v1
	v_lshlrev_b32_e32 v1, 2, v1
	ds_read_b32 v23, v1
	v_cndmask_b32_e64 v1, v6, v4, s[0:1]
	v_cndmask_b32_e64 v8, v10, v9, s[2:3]
	;; [unrolled: 1-line block ×3, first 2 shown]
	v_cndmask_b32_e32 v2, v2, v22, vcc
	s_waitcnt lgkmcnt(0)
	v_cndmask_b32_e32 v6, v23, v21, vcc
	v_cndmask_b32_e32 v11, v20, v23, vcc
	;; [unrolled: 1-line block ×3, first 2 shown]
	v_cmp_gt_u32_e64 s[2:3], s16, v2
	v_cmp_ge_u32_e64 s[4:5], v6, v11
	v_cmp_le_u32_e64 s[0:1], s17, v7
	s_and_b64 s[2:3], s[2:3], s[4:5]
	s_or_b64 s[0:1], s[0:1], s[2:3]
	v_cndmask_b32_e64 v10, v7, v2, s[0:1]
	v_cndmask_b32_e64 v3, v3, v5, s[0:1]
	v_cndmask_b32_e64 v4, v15, v13, s[6:7]
	v_add_u32_e32 v15, 1, v10
	v_add_u32_e32 v3, -1, v3
	v_min_u32_e32 v3, v15, v3
	v_lshlrev_b32_e32 v3, 2, v3
	ds_read_b32 v3, v3
	v_cndmask_b32_e64 v10, v6, v11, s[0:1]
	v_cndmask_b32_e64 v2, v2, v15, s[0:1]
	;; [unrolled: 1-line block ×3, first 2 shown]
	v_cndmask_b32_e32 v13, v21, v20, vcc
	s_waitcnt lgkmcnt(0)
	v_cndmask_b32_e64 v6, v3, v6, s[0:1]
	v_cndmask_b32_e64 v3, v11, v3, s[0:1]
	v_cmp_gt_u32_e64 s[0:1], s16, v2
	v_cmp_ge_u32_e64 s[2:3], v6, v3
	v_cmp_le_u32_e32 vcc, s17, v7
	s_and_b64 s[0:1], s[0:1], s[2:3]
	s_or_b64 vcc, vcc, s[0:1]
	v_cndmask_b32_e64 v5, v17, v16, s[8:9]
	v_cndmask_b32_e64 v12, v19, v18, s[10:11]
	v_cndmask_b32_e32 v11, v6, v3, vcc
.LBB382_70:
	s_or_b64 exec, exec, s[18:19]
	s_sub_i32 s0, s21, s20
	s_cmpk_gt_u32 s0, 0x9ff
	s_mov_b64 s[0:1], -1
	s_barrier
	ds_write2_b64 v14, v[0:1], v[8:9] offset1:1
	ds_write2_b64 v14, v[4:5], v[12:13] offset0:2 offset1:3
	ds_write_b64 v14, v[10:11] offset:32
	s_waitcnt lgkmcnt(0)
	s_cbranch_scc1 .LBB382_73
; %bb.71:
	s_andn2_b64 vcc, exec, s[0:1]
	s_cbranch_vccz .LBB382_74
.LBB382_72:
	s_endpgm
.LBB382_73:
	s_barrier
	s_cbranch_execnz .LBB382_72
.LBB382_74:
	s_barrier
	s_endpgm
	.section	.rodata,"a",@progbits
	.p2align	6, 0x0
	.amdhsa_kernel _ZN7rocprim17ROCPRIM_400000_NS6detail17trampoline_kernelINS0_14default_configENS1_21merge_config_selectorIjNS0_10empty_typeEEEZNS1_10merge_implIS3_N6thrust23THRUST_200600_302600_NS6detail15normal_iteratorINS9_10device_ptrIKjEEEESF_NS9_16discard_iteratorINS9_11use_defaultEEEPS5_SJ_SJ_NS9_4lessIjEEEE10hipError_tPvRmT0_T1_T2_T3_T4_T5_mmT6_P12ihipStream_tbEUlT_E0_NS1_11comp_targetILNS1_3genE4ELNS1_11target_archE910ELNS1_3gpuE8ELNS1_3repE0EEENS1_30default_config_static_selectorELNS0_4arch9wavefront6targetE1EEEvSQ_
		.amdhsa_group_segment_fixed_size 10256
		.amdhsa_private_segment_fixed_size 0
		.amdhsa_kernarg_size 96
		.amdhsa_user_sgpr_count 6
		.amdhsa_user_sgpr_private_segment_buffer 1
		.amdhsa_user_sgpr_dispatch_ptr 0
		.amdhsa_user_sgpr_queue_ptr 0
		.amdhsa_user_sgpr_kernarg_segment_ptr 1
		.amdhsa_user_sgpr_dispatch_id 0
		.amdhsa_user_sgpr_flat_scratch_init 0
		.amdhsa_user_sgpr_kernarg_preload_length 0
		.amdhsa_user_sgpr_kernarg_preload_offset 0
		.amdhsa_user_sgpr_private_segment_size 0
		.amdhsa_uses_dynamic_stack 0
		.amdhsa_system_sgpr_private_segment_wavefront_offset 0
		.amdhsa_system_sgpr_workgroup_id_x 1
		.amdhsa_system_sgpr_workgroup_id_y 0
		.amdhsa_system_sgpr_workgroup_id_z 0
		.amdhsa_system_sgpr_workgroup_info 0
		.amdhsa_system_vgpr_workitem_id 0
		.amdhsa_next_free_vgpr 24
		.amdhsa_next_free_sgpr 22
		.amdhsa_accum_offset 24
		.amdhsa_reserve_vcc 1
		.amdhsa_reserve_flat_scratch 0
		.amdhsa_float_round_mode_32 0
		.amdhsa_float_round_mode_16_64 0
		.amdhsa_float_denorm_mode_32 3
		.amdhsa_float_denorm_mode_16_64 3
		.amdhsa_dx10_clamp 1
		.amdhsa_ieee_mode 1
		.amdhsa_fp16_overflow 0
		.amdhsa_tg_split 0
		.amdhsa_exception_fp_ieee_invalid_op 0
		.amdhsa_exception_fp_denorm_src 0
		.amdhsa_exception_fp_ieee_div_zero 0
		.amdhsa_exception_fp_ieee_overflow 0
		.amdhsa_exception_fp_ieee_underflow 0
		.amdhsa_exception_fp_ieee_inexact 0
		.amdhsa_exception_int_div_zero 0
	.end_amdhsa_kernel
	.section	.text._ZN7rocprim17ROCPRIM_400000_NS6detail17trampoline_kernelINS0_14default_configENS1_21merge_config_selectorIjNS0_10empty_typeEEEZNS1_10merge_implIS3_N6thrust23THRUST_200600_302600_NS6detail15normal_iteratorINS9_10device_ptrIKjEEEESF_NS9_16discard_iteratorINS9_11use_defaultEEEPS5_SJ_SJ_NS9_4lessIjEEEE10hipError_tPvRmT0_T1_T2_T3_T4_T5_mmT6_P12ihipStream_tbEUlT_E0_NS1_11comp_targetILNS1_3genE4ELNS1_11target_archE910ELNS1_3gpuE8ELNS1_3repE0EEENS1_30default_config_static_selectorELNS0_4arch9wavefront6targetE1EEEvSQ_,"axG",@progbits,_ZN7rocprim17ROCPRIM_400000_NS6detail17trampoline_kernelINS0_14default_configENS1_21merge_config_selectorIjNS0_10empty_typeEEEZNS1_10merge_implIS3_N6thrust23THRUST_200600_302600_NS6detail15normal_iteratorINS9_10device_ptrIKjEEEESF_NS9_16discard_iteratorINS9_11use_defaultEEEPS5_SJ_SJ_NS9_4lessIjEEEE10hipError_tPvRmT0_T1_T2_T3_T4_T5_mmT6_P12ihipStream_tbEUlT_E0_NS1_11comp_targetILNS1_3genE4ELNS1_11target_archE910ELNS1_3gpuE8ELNS1_3repE0EEENS1_30default_config_static_selectorELNS0_4arch9wavefront6targetE1EEEvSQ_,comdat
.Lfunc_end382:
	.size	_ZN7rocprim17ROCPRIM_400000_NS6detail17trampoline_kernelINS0_14default_configENS1_21merge_config_selectorIjNS0_10empty_typeEEEZNS1_10merge_implIS3_N6thrust23THRUST_200600_302600_NS6detail15normal_iteratorINS9_10device_ptrIKjEEEESF_NS9_16discard_iteratorINS9_11use_defaultEEEPS5_SJ_SJ_NS9_4lessIjEEEE10hipError_tPvRmT0_T1_T2_T3_T4_T5_mmT6_P12ihipStream_tbEUlT_E0_NS1_11comp_targetILNS1_3genE4ELNS1_11target_archE910ELNS1_3gpuE8ELNS1_3repE0EEENS1_30default_config_static_selectorELNS0_4arch9wavefront6targetE1EEEvSQ_, .Lfunc_end382-_ZN7rocprim17ROCPRIM_400000_NS6detail17trampoline_kernelINS0_14default_configENS1_21merge_config_selectorIjNS0_10empty_typeEEEZNS1_10merge_implIS3_N6thrust23THRUST_200600_302600_NS6detail15normal_iteratorINS9_10device_ptrIKjEEEESF_NS9_16discard_iteratorINS9_11use_defaultEEEPS5_SJ_SJ_NS9_4lessIjEEEE10hipError_tPvRmT0_T1_T2_T3_T4_T5_mmT6_P12ihipStream_tbEUlT_E0_NS1_11comp_targetILNS1_3genE4ELNS1_11target_archE910ELNS1_3gpuE8ELNS1_3repE0EEENS1_30default_config_static_selectorELNS0_4arch9wavefront6targetE1EEEvSQ_
                                        ; -- End function
	.section	.AMDGPU.csdata,"",@progbits
; Kernel info:
; codeLenInByte = 2808
; NumSgprs: 26
; NumVgprs: 24
; NumAgprs: 0
; TotalNumVgprs: 24
; ScratchSize: 0
; MemoryBound: 0
; FloatMode: 240
; IeeeMode: 1
; LDSByteSize: 10256 bytes/workgroup (compile time only)
; SGPRBlocks: 3
; VGPRBlocks: 2
; NumSGPRsForWavesPerEU: 26
; NumVGPRsForWavesPerEU: 24
; AccumOffset: 24
; Occupancy: 6
; WaveLimiterHint : 1
; COMPUTE_PGM_RSRC2:SCRATCH_EN: 0
; COMPUTE_PGM_RSRC2:USER_SGPR: 6
; COMPUTE_PGM_RSRC2:TRAP_HANDLER: 0
; COMPUTE_PGM_RSRC2:TGID_X_EN: 1
; COMPUTE_PGM_RSRC2:TGID_Y_EN: 0
; COMPUTE_PGM_RSRC2:TGID_Z_EN: 0
; COMPUTE_PGM_RSRC2:TIDIG_COMP_CNT: 0
; COMPUTE_PGM_RSRC3_GFX90A:ACCUM_OFFSET: 5
; COMPUTE_PGM_RSRC3_GFX90A:TG_SPLIT: 0
	.section	.text._ZN7rocprim17ROCPRIM_400000_NS6detail17trampoline_kernelINS0_14default_configENS1_21merge_config_selectorIjNS0_10empty_typeEEEZNS1_10merge_implIS3_N6thrust23THRUST_200600_302600_NS6detail15normal_iteratorINS9_10device_ptrIKjEEEESF_NS9_16discard_iteratorINS9_11use_defaultEEEPS5_SJ_SJ_NS9_4lessIjEEEE10hipError_tPvRmT0_T1_T2_T3_T4_T5_mmT6_P12ihipStream_tbEUlT_E0_NS1_11comp_targetILNS1_3genE3ELNS1_11target_archE908ELNS1_3gpuE7ELNS1_3repE0EEENS1_30default_config_static_selectorELNS0_4arch9wavefront6targetE1EEEvSQ_,"axG",@progbits,_ZN7rocprim17ROCPRIM_400000_NS6detail17trampoline_kernelINS0_14default_configENS1_21merge_config_selectorIjNS0_10empty_typeEEEZNS1_10merge_implIS3_N6thrust23THRUST_200600_302600_NS6detail15normal_iteratorINS9_10device_ptrIKjEEEESF_NS9_16discard_iteratorINS9_11use_defaultEEEPS5_SJ_SJ_NS9_4lessIjEEEE10hipError_tPvRmT0_T1_T2_T3_T4_T5_mmT6_P12ihipStream_tbEUlT_E0_NS1_11comp_targetILNS1_3genE3ELNS1_11target_archE908ELNS1_3gpuE7ELNS1_3repE0EEENS1_30default_config_static_selectorELNS0_4arch9wavefront6targetE1EEEvSQ_,comdat
	.protected	_ZN7rocprim17ROCPRIM_400000_NS6detail17trampoline_kernelINS0_14default_configENS1_21merge_config_selectorIjNS0_10empty_typeEEEZNS1_10merge_implIS3_N6thrust23THRUST_200600_302600_NS6detail15normal_iteratorINS9_10device_ptrIKjEEEESF_NS9_16discard_iteratorINS9_11use_defaultEEEPS5_SJ_SJ_NS9_4lessIjEEEE10hipError_tPvRmT0_T1_T2_T3_T4_T5_mmT6_P12ihipStream_tbEUlT_E0_NS1_11comp_targetILNS1_3genE3ELNS1_11target_archE908ELNS1_3gpuE7ELNS1_3repE0EEENS1_30default_config_static_selectorELNS0_4arch9wavefront6targetE1EEEvSQ_ ; -- Begin function _ZN7rocprim17ROCPRIM_400000_NS6detail17trampoline_kernelINS0_14default_configENS1_21merge_config_selectorIjNS0_10empty_typeEEEZNS1_10merge_implIS3_N6thrust23THRUST_200600_302600_NS6detail15normal_iteratorINS9_10device_ptrIKjEEEESF_NS9_16discard_iteratorINS9_11use_defaultEEEPS5_SJ_SJ_NS9_4lessIjEEEE10hipError_tPvRmT0_T1_T2_T3_T4_T5_mmT6_P12ihipStream_tbEUlT_E0_NS1_11comp_targetILNS1_3genE3ELNS1_11target_archE908ELNS1_3gpuE7ELNS1_3repE0EEENS1_30default_config_static_selectorELNS0_4arch9wavefront6targetE1EEEvSQ_
	.globl	_ZN7rocprim17ROCPRIM_400000_NS6detail17trampoline_kernelINS0_14default_configENS1_21merge_config_selectorIjNS0_10empty_typeEEEZNS1_10merge_implIS3_N6thrust23THRUST_200600_302600_NS6detail15normal_iteratorINS9_10device_ptrIKjEEEESF_NS9_16discard_iteratorINS9_11use_defaultEEEPS5_SJ_SJ_NS9_4lessIjEEEE10hipError_tPvRmT0_T1_T2_T3_T4_T5_mmT6_P12ihipStream_tbEUlT_E0_NS1_11comp_targetILNS1_3genE3ELNS1_11target_archE908ELNS1_3gpuE7ELNS1_3repE0EEENS1_30default_config_static_selectorELNS0_4arch9wavefront6targetE1EEEvSQ_
	.p2align	8
	.type	_ZN7rocprim17ROCPRIM_400000_NS6detail17trampoline_kernelINS0_14default_configENS1_21merge_config_selectorIjNS0_10empty_typeEEEZNS1_10merge_implIS3_N6thrust23THRUST_200600_302600_NS6detail15normal_iteratorINS9_10device_ptrIKjEEEESF_NS9_16discard_iteratorINS9_11use_defaultEEEPS5_SJ_SJ_NS9_4lessIjEEEE10hipError_tPvRmT0_T1_T2_T3_T4_T5_mmT6_P12ihipStream_tbEUlT_E0_NS1_11comp_targetILNS1_3genE3ELNS1_11target_archE908ELNS1_3gpuE7ELNS1_3repE0EEENS1_30default_config_static_selectorELNS0_4arch9wavefront6targetE1EEEvSQ_,@function
_ZN7rocprim17ROCPRIM_400000_NS6detail17trampoline_kernelINS0_14default_configENS1_21merge_config_selectorIjNS0_10empty_typeEEEZNS1_10merge_implIS3_N6thrust23THRUST_200600_302600_NS6detail15normal_iteratorINS9_10device_ptrIKjEEEESF_NS9_16discard_iteratorINS9_11use_defaultEEEPS5_SJ_SJ_NS9_4lessIjEEEE10hipError_tPvRmT0_T1_T2_T3_T4_T5_mmT6_P12ihipStream_tbEUlT_E0_NS1_11comp_targetILNS1_3genE3ELNS1_11target_archE908ELNS1_3gpuE7ELNS1_3repE0EEENS1_30default_config_static_selectorELNS0_4arch9wavefront6targetE1EEEvSQ_: ; @_ZN7rocprim17ROCPRIM_400000_NS6detail17trampoline_kernelINS0_14default_configENS1_21merge_config_selectorIjNS0_10empty_typeEEEZNS1_10merge_implIS3_N6thrust23THRUST_200600_302600_NS6detail15normal_iteratorINS9_10device_ptrIKjEEEESF_NS9_16discard_iteratorINS9_11use_defaultEEEPS5_SJ_SJ_NS9_4lessIjEEEE10hipError_tPvRmT0_T1_T2_T3_T4_T5_mmT6_P12ihipStream_tbEUlT_E0_NS1_11comp_targetILNS1_3genE3ELNS1_11target_archE908ELNS1_3gpuE7ELNS1_3repE0EEENS1_30default_config_static_selectorELNS0_4arch9wavefront6targetE1EEEvSQ_
; %bb.0:
	.section	.rodata,"a",@progbits
	.p2align	6, 0x0
	.amdhsa_kernel _ZN7rocprim17ROCPRIM_400000_NS6detail17trampoline_kernelINS0_14default_configENS1_21merge_config_selectorIjNS0_10empty_typeEEEZNS1_10merge_implIS3_N6thrust23THRUST_200600_302600_NS6detail15normal_iteratorINS9_10device_ptrIKjEEEESF_NS9_16discard_iteratorINS9_11use_defaultEEEPS5_SJ_SJ_NS9_4lessIjEEEE10hipError_tPvRmT0_T1_T2_T3_T4_T5_mmT6_P12ihipStream_tbEUlT_E0_NS1_11comp_targetILNS1_3genE3ELNS1_11target_archE908ELNS1_3gpuE7ELNS1_3repE0EEENS1_30default_config_static_selectorELNS0_4arch9wavefront6targetE1EEEvSQ_
		.amdhsa_group_segment_fixed_size 0
		.amdhsa_private_segment_fixed_size 0
		.amdhsa_kernarg_size 96
		.amdhsa_user_sgpr_count 6
		.amdhsa_user_sgpr_private_segment_buffer 1
		.amdhsa_user_sgpr_dispatch_ptr 0
		.amdhsa_user_sgpr_queue_ptr 0
		.amdhsa_user_sgpr_kernarg_segment_ptr 1
		.amdhsa_user_sgpr_dispatch_id 0
		.amdhsa_user_sgpr_flat_scratch_init 0
		.amdhsa_user_sgpr_kernarg_preload_length 0
		.amdhsa_user_sgpr_kernarg_preload_offset 0
		.amdhsa_user_sgpr_private_segment_size 0
		.amdhsa_uses_dynamic_stack 0
		.amdhsa_system_sgpr_private_segment_wavefront_offset 0
		.amdhsa_system_sgpr_workgroup_id_x 1
		.amdhsa_system_sgpr_workgroup_id_y 0
		.amdhsa_system_sgpr_workgroup_id_z 0
		.amdhsa_system_sgpr_workgroup_info 0
		.amdhsa_system_vgpr_workitem_id 0
		.amdhsa_next_free_vgpr 1
		.amdhsa_next_free_sgpr 0
		.amdhsa_accum_offset 4
		.amdhsa_reserve_vcc 0
		.amdhsa_reserve_flat_scratch 0
		.amdhsa_float_round_mode_32 0
		.amdhsa_float_round_mode_16_64 0
		.amdhsa_float_denorm_mode_32 3
		.amdhsa_float_denorm_mode_16_64 3
		.amdhsa_dx10_clamp 1
		.amdhsa_ieee_mode 1
		.amdhsa_fp16_overflow 0
		.amdhsa_tg_split 0
		.amdhsa_exception_fp_ieee_invalid_op 0
		.amdhsa_exception_fp_denorm_src 0
		.amdhsa_exception_fp_ieee_div_zero 0
		.amdhsa_exception_fp_ieee_overflow 0
		.amdhsa_exception_fp_ieee_underflow 0
		.amdhsa_exception_fp_ieee_inexact 0
		.amdhsa_exception_int_div_zero 0
	.end_amdhsa_kernel
	.section	.text._ZN7rocprim17ROCPRIM_400000_NS6detail17trampoline_kernelINS0_14default_configENS1_21merge_config_selectorIjNS0_10empty_typeEEEZNS1_10merge_implIS3_N6thrust23THRUST_200600_302600_NS6detail15normal_iteratorINS9_10device_ptrIKjEEEESF_NS9_16discard_iteratorINS9_11use_defaultEEEPS5_SJ_SJ_NS9_4lessIjEEEE10hipError_tPvRmT0_T1_T2_T3_T4_T5_mmT6_P12ihipStream_tbEUlT_E0_NS1_11comp_targetILNS1_3genE3ELNS1_11target_archE908ELNS1_3gpuE7ELNS1_3repE0EEENS1_30default_config_static_selectorELNS0_4arch9wavefront6targetE1EEEvSQ_,"axG",@progbits,_ZN7rocprim17ROCPRIM_400000_NS6detail17trampoline_kernelINS0_14default_configENS1_21merge_config_selectorIjNS0_10empty_typeEEEZNS1_10merge_implIS3_N6thrust23THRUST_200600_302600_NS6detail15normal_iteratorINS9_10device_ptrIKjEEEESF_NS9_16discard_iteratorINS9_11use_defaultEEEPS5_SJ_SJ_NS9_4lessIjEEEE10hipError_tPvRmT0_T1_T2_T3_T4_T5_mmT6_P12ihipStream_tbEUlT_E0_NS1_11comp_targetILNS1_3genE3ELNS1_11target_archE908ELNS1_3gpuE7ELNS1_3repE0EEENS1_30default_config_static_selectorELNS0_4arch9wavefront6targetE1EEEvSQ_,comdat
.Lfunc_end383:
	.size	_ZN7rocprim17ROCPRIM_400000_NS6detail17trampoline_kernelINS0_14default_configENS1_21merge_config_selectorIjNS0_10empty_typeEEEZNS1_10merge_implIS3_N6thrust23THRUST_200600_302600_NS6detail15normal_iteratorINS9_10device_ptrIKjEEEESF_NS9_16discard_iteratorINS9_11use_defaultEEEPS5_SJ_SJ_NS9_4lessIjEEEE10hipError_tPvRmT0_T1_T2_T3_T4_T5_mmT6_P12ihipStream_tbEUlT_E0_NS1_11comp_targetILNS1_3genE3ELNS1_11target_archE908ELNS1_3gpuE7ELNS1_3repE0EEENS1_30default_config_static_selectorELNS0_4arch9wavefront6targetE1EEEvSQ_, .Lfunc_end383-_ZN7rocprim17ROCPRIM_400000_NS6detail17trampoline_kernelINS0_14default_configENS1_21merge_config_selectorIjNS0_10empty_typeEEEZNS1_10merge_implIS3_N6thrust23THRUST_200600_302600_NS6detail15normal_iteratorINS9_10device_ptrIKjEEEESF_NS9_16discard_iteratorINS9_11use_defaultEEEPS5_SJ_SJ_NS9_4lessIjEEEE10hipError_tPvRmT0_T1_T2_T3_T4_T5_mmT6_P12ihipStream_tbEUlT_E0_NS1_11comp_targetILNS1_3genE3ELNS1_11target_archE908ELNS1_3gpuE7ELNS1_3repE0EEENS1_30default_config_static_selectorELNS0_4arch9wavefront6targetE1EEEvSQ_
                                        ; -- End function
	.section	.AMDGPU.csdata,"",@progbits
; Kernel info:
; codeLenInByte = 0
; NumSgprs: 4
; NumVgprs: 0
; NumAgprs: 0
; TotalNumVgprs: 0
; ScratchSize: 0
; MemoryBound: 0
; FloatMode: 240
; IeeeMode: 1
; LDSByteSize: 0 bytes/workgroup (compile time only)
; SGPRBlocks: 0
; VGPRBlocks: 0
; NumSGPRsForWavesPerEU: 4
; NumVGPRsForWavesPerEU: 1
; AccumOffset: 4
; Occupancy: 8
; WaveLimiterHint : 0
; COMPUTE_PGM_RSRC2:SCRATCH_EN: 0
; COMPUTE_PGM_RSRC2:USER_SGPR: 6
; COMPUTE_PGM_RSRC2:TRAP_HANDLER: 0
; COMPUTE_PGM_RSRC2:TGID_X_EN: 1
; COMPUTE_PGM_RSRC2:TGID_Y_EN: 0
; COMPUTE_PGM_RSRC2:TGID_Z_EN: 0
; COMPUTE_PGM_RSRC2:TIDIG_COMP_CNT: 0
; COMPUTE_PGM_RSRC3_GFX90A:ACCUM_OFFSET: 0
; COMPUTE_PGM_RSRC3_GFX90A:TG_SPLIT: 0
	.section	.text._ZN7rocprim17ROCPRIM_400000_NS6detail17trampoline_kernelINS0_14default_configENS1_21merge_config_selectorIjNS0_10empty_typeEEEZNS1_10merge_implIS3_N6thrust23THRUST_200600_302600_NS6detail15normal_iteratorINS9_10device_ptrIKjEEEESF_NS9_16discard_iteratorINS9_11use_defaultEEEPS5_SJ_SJ_NS9_4lessIjEEEE10hipError_tPvRmT0_T1_T2_T3_T4_T5_mmT6_P12ihipStream_tbEUlT_E0_NS1_11comp_targetILNS1_3genE2ELNS1_11target_archE906ELNS1_3gpuE6ELNS1_3repE0EEENS1_30default_config_static_selectorELNS0_4arch9wavefront6targetE1EEEvSQ_,"axG",@progbits,_ZN7rocprim17ROCPRIM_400000_NS6detail17trampoline_kernelINS0_14default_configENS1_21merge_config_selectorIjNS0_10empty_typeEEEZNS1_10merge_implIS3_N6thrust23THRUST_200600_302600_NS6detail15normal_iteratorINS9_10device_ptrIKjEEEESF_NS9_16discard_iteratorINS9_11use_defaultEEEPS5_SJ_SJ_NS9_4lessIjEEEE10hipError_tPvRmT0_T1_T2_T3_T4_T5_mmT6_P12ihipStream_tbEUlT_E0_NS1_11comp_targetILNS1_3genE2ELNS1_11target_archE906ELNS1_3gpuE6ELNS1_3repE0EEENS1_30default_config_static_selectorELNS0_4arch9wavefront6targetE1EEEvSQ_,comdat
	.protected	_ZN7rocprim17ROCPRIM_400000_NS6detail17trampoline_kernelINS0_14default_configENS1_21merge_config_selectorIjNS0_10empty_typeEEEZNS1_10merge_implIS3_N6thrust23THRUST_200600_302600_NS6detail15normal_iteratorINS9_10device_ptrIKjEEEESF_NS9_16discard_iteratorINS9_11use_defaultEEEPS5_SJ_SJ_NS9_4lessIjEEEE10hipError_tPvRmT0_T1_T2_T3_T4_T5_mmT6_P12ihipStream_tbEUlT_E0_NS1_11comp_targetILNS1_3genE2ELNS1_11target_archE906ELNS1_3gpuE6ELNS1_3repE0EEENS1_30default_config_static_selectorELNS0_4arch9wavefront6targetE1EEEvSQ_ ; -- Begin function _ZN7rocprim17ROCPRIM_400000_NS6detail17trampoline_kernelINS0_14default_configENS1_21merge_config_selectorIjNS0_10empty_typeEEEZNS1_10merge_implIS3_N6thrust23THRUST_200600_302600_NS6detail15normal_iteratorINS9_10device_ptrIKjEEEESF_NS9_16discard_iteratorINS9_11use_defaultEEEPS5_SJ_SJ_NS9_4lessIjEEEE10hipError_tPvRmT0_T1_T2_T3_T4_T5_mmT6_P12ihipStream_tbEUlT_E0_NS1_11comp_targetILNS1_3genE2ELNS1_11target_archE906ELNS1_3gpuE6ELNS1_3repE0EEENS1_30default_config_static_selectorELNS0_4arch9wavefront6targetE1EEEvSQ_
	.globl	_ZN7rocprim17ROCPRIM_400000_NS6detail17trampoline_kernelINS0_14default_configENS1_21merge_config_selectorIjNS0_10empty_typeEEEZNS1_10merge_implIS3_N6thrust23THRUST_200600_302600_NS6detail15normal_iteratorINS9_10device_ptrIKjEEEESF_NS9_16discard_iteratorINS9_11use_defaultEEEPS5_SJ_SJ_NS9_4lessIjEEEE10hipError_tPvRmT0_T1_T2_T3_T4_T5_mmT6_P12ihipStream_tbEUlT_E0_NS1_11comp_targetILNS1_3genE2ELNS1_11target_archE906ELNS1_3gpuE6ELNS1_3repE0EEENS1_30default_config_static_selectorELNS0_4arch9wavefront6targetE1EEEvSQ_
	.p2align	8
	.type	_ZN7rocprim17ROCPRIM_400000_NS6detail17trampoline_kernelINS0_14default_configENS1_21merge_config_selectorIjNS0_10empty_typeEEEZNS1_10merge_implIS3_N6thrust23THRUST_200600_302600_NS6detail15normal_iteratorINS9_10device_ptrIKjEEEESF_NS9_16discard_iteratorINS9_11use_defaultEEEPS5_SJ_SJ_NS9_4lessIjEEEE10hipError_tPvRmT0_T1_T2_T3_T4_T5_mmT6_P12ihipStream_tbEUlT_E0_NS1_11comp_targetILNS1_3genE2ELNS1_11target_archE906ELNS1_3gpuE6ELNS1_3repE0EEENS1_30default_config_static_selectorELNS0_4arch9wavefront6targetE1EEEvSQ_,@function
_ZN7rocprim17ROCPRIM_400000_NS6detail17trampoline_kernelINS0_14default_configENS1_21merge_config_selectorIjNS0_10empty_typeEEEZNS1_10merge_implIS3_N6thrust23THRUST_200600_302600_NS6detail15normal_iteratorINS9_10device_ptrIKjEEEESF_NS9_16discard_iteratorINS9_11use_defaultEEEPS5_SJ_SJ_NS9_4lessIjEEEE10hipError_tPvRmT0_T1_T2_T3_T4_T5_mmT6_P12ihipStream_tbEUlT_E0_NS1_11comp_targetILNS1_3genE2ELNS1_11target_archE906ELNS1_3gpuE6ELNS1_3repE0EEENS1_30default_config_static_selectorELNS0_4arch9wavefront6targetE1EEEvSQ_: ; @_ZN7rocprim17ROCPRIM_400000_NS6detail17trampoline_kernelINS0_14default_configENS1_21merge_config_selectorIjNS0_10empty_typeEEEZNS1_10merge_implIS3_N6thrust23THRUST_200600_302600_NS6detail15normal_iteratorINS9_10device_ptrIKjEEEESF_NS9_16discard_iteratorINS9_11use_defaultEEEPS5_SJ_SJ_NS9_4lessIjEEEE10hipError_tPvRmT0_T1_T2_T3_T4_T5_mmT6_P12ihipStream_tbEUlT_E0_NS1_11comp_targetILNS1_3genE2ELNS1_11target_archE906ELNS1_3gpuE6ELNS1_3repE0EEENS1_30default_config_static_selectorELNS0_4arch9wavefront6targetE1EEEvSQ_
; %bb.0:
	.section	.rodata,"a",@progbits
	.p2align	6, 0x0
	.amdhsa_kernel _ZN7rocprim17ROCPRIM_400000_NS6detail17trampoline_kernelINS0_14default_configENS1_21merge_config_selectorIjNS0_10empty_typeEEEZNS1_10merge_implIS3_N6thrust23THRUST_200600_302600_NS6detail15normal_iteratorINS9_10device_ptrIKjEEEESF_NS9_16discard_iteratorINS9_11use_defaultEEEPS5_SJ_SJ_NS9_4lessIjEEEE10hipError_tPvRmT0_T1_T2_T3_T4_T5_mmT6_P12ihipStream_tbEUlT_E0_NS1_11comp_targetILNS1_3genE2ELNS1_11target_archE906ELNS1_3gpuE6ELNS1_3repE0EEENS1_30default_config_static_selectorELNS0_4arch9wavefront6targetE1EEEvSQ_
		.amdhsa_group_segment_fixed_size 0
		.amdhsa_private_segment_fixed_size 0
		.amdhsa_kernarg_size 96
		.amdhsa_user_sgpr_count 6
		.amdhsa_user_sgpr_private_segment_buffer 1
		.amdhsa_user_sgpr_dispatch_ptr 0
		.amdhsa_user_sgpr_queue_ptr 0
		.amdhsa_user_sgpr_kernarg_segment_ptr 1
		.amdhsa_user_sgpr_dispatch_id 0
		.amdhsa_user_sgpr_flat_scratch_init 0
		.amdhsa_user_sgpr_kernarg_preload_length 0
		.amdhsa_user_sgpr_kernarg_preload_offset 0
		.amdhsa_user_sgpr_private_segment_size 0
		.amdhsa_uses_dynamic_stack 0
		.amdhsa_system_sgpr_private_segment_wavefront_offset 0
		.amdhsa_system_sgpr_workgroup_id_x 1
		.amdhsa_system_sgpr_workgroup_id_y 0
		.amdhsa_system_sgpr_workgroup_id_z 0
		.amdhsa_system_sgpr_workgroup_info 0
		.amdhsa_system_vgpr_workitem_id 0
		.amdhsa_next_free_vgpr 1
		.amdhsa_next_free_sgpr 0
		.amdhsa_accum_offset 4
		.amdhsa_reserve_vcc 0
		.amdhsa_reserve_flat_scratch 0
		.amdhsa_float_round_mode_32 0
		.amdhsa_float_round_mode_16_64 0
		.amdhsa_float_denorm_mode_32 3
		.amdhsa_float_denorm_mode_16_64 3
		.amdhsa_dx10_clamp 1
		.amdhsa_ieee_mode 1
		.amdhsa_fp16_overflow 0
		.amdhsa_tg_split 0
		.amdhsa_exception_fp_ieee_invalid_op 0
		.amdhsa_exception_fp_denorm_src 0
		.amdhsa_exception_fp_ieee_div_zero 0
		.amdhsa_exception_fp_ieee_overflow 0
		.amdhsa_exception_fp_ieee_underflow 0
		.amdhsa_exception_fp_ieee_inexact 0
		.amdhsa_exception_int_div_zero 0
	.end_amdhsa_kernel
	.section	.text._ZN7rocprim17ROCPRIM_400000_NS6detail17trampoline_kernelINS0_14default_configENS1_21merge_config_selectorIjNS0_10empty_typeEEEZNS1_10merge_implIS3_N6thrust23THRUST_200600_302600_NS6detail15normal_iteratorINS9_10device_ptrIKjEEEESF_NS9_16discard_iteratorINS9_11use_defaultEEEPS5_SJ_SJ_NS9_4lessIjEEEE10hipError_tPvRmT0_T1_T2_T3_T4_T5_mmT6_P12ihipStream_tbEUlT_E0_NS1_11comp_targetILNS1_3genE2ELNS1_11target_archE906ELNS1_3gpuE6ELNS1_3repE0EEENS1_30default_config_static_selectorELNS0_4arch9wavefront6targetE1EEEvSQ_,"axG",@progbits,_ZN7rocprim17ROCPRIM_400000_NS6detail17trampoline_kernelINS0_14default_configENS1_21merge_config_selectorIjNS0_10empty_typeEEEZNS1_10merge_implIS3_N6thrust23THRUST_200600_302600_NS6detail15normal_iteratorINS9_10device_ptrIKjEEEESF_NS9_16discard_iteratorINS9_11use_defaultEEEPS5_SJ_SJ_NS9_4lessIjEEEE10hipError_tPvRmT0_T1_T2_T3_T4_T5_mmT6_P12ihipStream_tbEUlT_E0_NS1_11comp_targetILNS1_3genE2ELNS1_11target_archE906ELNS1_3gpuE6ELNS1_3repE0EEENS1_30default_config_static_selectorELNS0_4arch9wavefront6targetE1EEEvSQ_,comdat
.Lfunc_end384:
	.size	_ZN7rocprim17ROCPRIM_400000_NS6detail17trampoline_kernelINS0_14default_configENS1_21merge_config_selectorIjNS0_10empty_typeEEEZNS1_10merge_implIS3_N6thrust23THRUST_200600_302600_NS6detail15normal_iteratorINS9_10device_ptrIKjEEEESF_NS9_16discard_iteratorINS9_11use_defaultEEEPS5_SJ_SJ_NS9_4lessIjEEEE10hipError_tPvRmT0_T1_T2_T3_T4_T5_mmT6_P12ihipStream_tbEUlT_E0_NS1_11comp_targetILNS1_3genE2ELNS1_11target_archE906ELNS1_3gpuE6ELNS1_3repE0EEENS1_30default_config_static_selectorELNS0_4arch9wavefront6targetE1EEEvSQ_, .Lfunc_end384-_ZN7rocprim17ROCPRIM_400000_NS6detail17trampoline_kernelINS0_14default_configENS1_21merge_config_selectorIjNS0_10empty_typeEEEZNS1_10merge_implIS3_N6thrust23THRUST_200600_302600_NS6detail15normal_iteratorINS9_10device_ptrIKjEEEESF_NS9_16discard_iteratorINS9_11use_defaultEEEPS5_SJ_SJ_NS9_4lessIjEEEE10hipError_tPvRmT0_T1_T2_T3_T4_T5_mmT6_P12ihipStream_tbEUlT_E0_NS1_11comp_targetILNS1_3genE2ELNS1_11target_archE906ELNS1_3gpuE6ELNS1_3repE0EEENS1_30default_config_static_selectorELNS0_4arch9wavefront6targetE1EEEvSQ_
                                        ; -- End function
	.section	.AMDGPU.csdata,"",@progbits
; Kernel info:
; codeLenInByte = 0
; NumSgprs: 4
; NumVgprs: 0
; NumAgprs: 0
; TotalNumVgprs: 0
; ScratchSize: 0
; MemoryBound: 0
; FloatMode: 240
; IeeeMode: 1
; LDSByteSize: 0 bytes/workgroup (compile time only)
; SGPRBlocks: 0
; VGPRBlocks: 0
; NumSGPRsForWavesPerEU: 4
; NumVGPRsForWavesPerEU: 1
; AccumOffset: 4
; Occupancy: 8
; WaveLimiterHint : 0
; COMPUTE_PGM_RSRC2:SCRATCH_EN: 0
; COMPUTE_PGM_RSRC2:USER_SGPR: 6
; COMPUTE_PGM_RSRC2:TRAP_HANDLER: 0
; COMPUTE_PGM_RSRC2:TGID_X_EN: 1
; COMPUTE_PGM_RSRC2:TGID_Y_EN: 0
; COMPUTE_PGM_RSRC2:TGID_Z_EN: 0
; COMPUTE_PGM_RSRC2:TIDIG_COMP_CNT: 0
; COMPUTE_PGM_RSRC3_GFX90A:ACCUM_OFFSET: 0
; COMPUTE_PGM_RSRC3_GFX90A:TG_SPLIT: 0
	.section	.text._ZN7rocprim17ROCPRIM_400000_NS6detail17trampoline_kernelINS0_14default_configENS1_21merge_config_selectorIjNS0_10empty_typeEEEZNS1_10merge_implIS3_N6thrust23THRUST_200600_302600_NS6detail15normal_iteratorINS9_10device_ptrIKjEEEESF_NS9_16discard_iteratorINS9_11use_defaultEEEPS5_SJ_SJ_NS9_4lessIjEEEE10hipError_tPvRmT0_T1_T2_T3_T4_T5_mmT6_P12ihipStream_tbEUlT_E0_NS1_11comp_targetILNS1_3genE10ELNS1_11target_archE1201ELNS1_3gpuE5ELNS1_3repE0EEENS1_30default_config_static_selectorELNS0_4arch9wavefront6targetE1EEEvSQ_,"axG",@progbits,_ZN7rocprim17ROCPRIM_400000_NS6detail17trampoline_kernelINS0_14default_configENS1_21merge_config_selectorIjNS0_10empty_typeEEEZNS1_10merge_implIS3_N6thrust23THRUST_200600_302600_NS6detail15normal_iteratorINS9_10device_ptrIKjEEEESF_NS9_16discard_iteratorINS9_11use_defaultEEEPS5_SJ_SJ_NS9_4lessIjEEEE10hipError_tPvRmT0_T1_T2_T3_T4_T5_mmT6_P12ihipStream_tbEUlT_E0_NS1_11comp_targetILNS1_3genE10ELNS1_11target_archE1201ELNS1_3gpuE5ELNS1_3repE0EEENS1_30default_config_static_selectorELNS0_4arch9wavefront6targetE1EEEvSQ_,comdat
	.protected	_ZN7rocprim17ROCPRIM_400000_NS6detail17trampoline_kernelINS0_14default_configENS1_21merge_config_selectorIjNS0_10empty_typeEEEZNS1_10merge_implIS3_N6thrust23THRUST_200600_302600_NS6detail15normal_iteratorINS9_10device_ptrIKjEEEESF_NS9_16discard_iteratorINS9_11use_defaultEEEPS5_SJ_SJ_NS9_4lessIjEEEE10hipError_tPvRmT0_T1_T2_T3_T4_T5_mmT6_P12ihipStream_tbEUlT_E0_NS1_11comp_targetILNS1_3genE10ELNS1_11target_archE1201ELNS1_3gpuE5ELNS1_3repE0EEENS1_30default_config_static_selectorELNS0_4arch9wavefront6targetE1EEEvSQ_ ; -- Begin function _ZN7rocprim17ROCPRIM_400000_NS6detail17trampoline_kernelINS0_14default_configENS1_21merge_config_selectorIjNS0_10empty_typeEEEZNS1_10merge_implIS3_N6thrust23THRUST_200600_302600_NS6detail15normal_iteratorINS9_10device_ptrIKjEEEESF_NS9_16discard_iteratorINS9_11use_defaultEEEPS5_SJ_SJ_NS9_4lessIjEEEE10hipError_tPvRmT0_T1_T2_T3_T4_T5_mmT6_P12ihipStream_tbEUlT_E0_NS1_11comp_targetILNS1_3genE10ELNS1_11target_archE1201ELNS1_3gpuE5ELNS1_3repE0EEENS1_30default_config_static_selectorELNS0_4arch9wavefront6targetE1EEEvSQ_
	.globl	_ZN7rocprim17ROCPRIM_400000_NS6detail17trampoline_kernelINS0_14default_configENS1_21merge_config_selectorIjNS0_10empty_typeEEEZNS1_10merge_implIS3_N6thrust23THRUST_200600_302600_NS6detail15normal_iteratorINS9_10device_ptrIKjEEEESF_NS9_16discard_iteratorINS9_11use_defaultEEEPS5_SJ_SJ_NS9_4lessIjEEEE10hipError_tPvRmT0_T1_T2_T3_T4_T5_mmT6_P12ihipStream_tbEUlT_E0_NS1_11comp_targetILNS1_3genE10ELNS1_11target_archE1201ELNS1_3gpuE5ELNS1_3repE0EEENS1_30default_config_static_selectorELNS0_4arch9wavefront6targetE1EEEvSQ_
	.p2align	8
	.type	_ZN7rocprim17ROCPRIM_400000_NS6detail17trampoline_kernelINS0_14default_configENS1_21merge_config_selectorIjNS0_10empty_typeEEEZNS1_10merge_implIS3_N6thrust23THRUST_200600_302600_NS6detail15normal_iteratorINS9_10device_ptrIKjEEEESF_NS9_16discard_iteratorINS9_11use_defaultEEEPS5_SJ_SJ_NS9_4lessIjEEEE10hipError_tPvRmT0_T1_T2_T3_T4_T5_mmT6_P12ihipStream_tbEUlT_E0_NS1_11comp_targetILNS1_3genE10ELNS1_11target_archE1201ELNS1_3gpuE5ELNS1_3repE0EEENS1_30default_config_static_selectorELNS0_4arch9wavefront6targetE1EEEvSQ_,@function
_ZN7rocprim17ROCPRIM_400000_NS6detail17trampoline_kernelINS0_14default_configENS1_21merge_config_selectorIjNS0_10empty_typeEEEZNS1_10merge_implIS3_N6thrust23THRUST_200600_302600_NS6detail15normal_iteratorINS9_10device_ptrIKjEEEESF_NS9_16discard_iteratorINS9_11use_defaultEEEPS5_SJ_SJ_NS9_4lessIjEEEE10hipError_tPvRmT0_T1_T2_T3_T4_T5_mmT6_P12ihipStream_tbEUlT_E0_NS1_11comp_targetILNS1_3genE10ELNS1_11target_archE1201ELNS1_3gpuE5ELNS1_3repE0EEENS1_30default_config_static_selectorELNS0_4arch9wavefront6targetE1EEEvSQ_: ; @_ZN7rocprim17ROCPRIM_400000_NS6detail17trampoline_kernelINS0_14default_configENS1_21merge_config_selectorIjNS0_10empty_typeEEEZNS1_10merge_implIS3_N6thrust23THRUST_200600_302600_NS6detail15normal_iteratorINS9_10device_ptrIKjEEEESF_NS9_16discard_iteratorINS9_11use_defaultEEEPS5_SJ_SJ_NS9_4lessIjEEEE10hipError_tPvRmT0_T1_T2_T3_T4_T5_mmT6_P12ihipStream_tbEUlT_E0_NS1_11comp_targetILNS1_3genE10ELNS1_11target_archE1201ELNS1_3gpuE5ELNS1_3repE0EEENS1_30default_config_static_selectorELNS0_4arch9wavefront6targetE1EEEvSQ_
; %bb.0:
	.section	.rodata,"a",@progbits
	.p2align	6, 0x0
	.amdhsa_kernel _ZN7rocprim17ROCPRIM_400000_NS6detail17trampoline_kernelINS0_14default_configENS1_21merge_config_selectorIjNS0_10empty_typeEEEZNS1_10merge_implIS3_N6thrust23THRUST_200600_302600_NS6detail15normal_iteratorINS9_10device_ptrIKjEEEESF_NS9_16discard_iteratorINS9_11use_defaultEEEPS5_SJ_SJ_NS9_4lessIjEEEE10hipError_tPvRmT0_T1_T2_T3_T4_T5_mmT6_P12ihipStream_tbEUlT_E0_NS1_11comp_targetILNS1_3genE10ELNS1_11target_archE1201ELNS1_3gpuE5ELNS1_3repE0EEENS1_30default_config_static_selectorELNS0_4arch9wavefront6targetE1EEEvSQ_
		.amdhsa_group_segment_fixed_size 0
		.amdhsa_private_segment_fixed_size 0
		.amdhsa_kernarg_size 96
		.amdhsa_user_sgpr_count 6
		.amdhsa_user_sgpr_private_segment_buffer 1
		.amdhsa_user_sgpr_dispatch_ptr 0
		.amdhsa_user_sgpr_queue_ptr 0
		.amdhsa_user_sgpr_kernarg_segment_ptr 1
		.amdhsa_user_sgpr_dispatch_id 0
		.amdhsa_user_sgpr_flat_scratch_init 0
		.amdhsa_user_sgpr_kernarg_preload_length 0
		.amdhsa_user_sgpr_kernarg_preload_offset 0
		.amdhsa_user_sgpr_private_segment_size 0
		.amdhsa_uses_dynamic_stack 0
		.amdhsa_system_sgpr_private_segment_wavefront_offset 0
		.amdhsa_system_sgpr_workgroup_id_x 1
		.amdhsa_system_sgpr_workgroup_id_y 0
		.amdhsa_system_sgpr_workgroup_id_z 0
		.amdhsa_system_sgpr_workgroup_info 0
		.amdhsa_system_vgpr_workitem_id 0
		.amdhsa_next_free_vgpr 1
		.amdhsa_next_free_sgpr 0
		.amdhsa_accum_offset 4
		.amdhsa_reserve_vcc 0
		.amdhsa_reserve_flat_scratch 0
		.amdhsa_float_round_mode_32 0
		.amdhsa_float_round_mode_16_64 0
		.amdhsa_float_denorm_mode_32 3
		.amdhsa_float_denorm_mode_16_64 3
		.amdhsa_dx10_clamp 1
		.amdhsa_ieee_mode 1
		.amdhsa_fp16_overflow 0
		.amdhsa_tg_split 0
		.amdhsa_exception_fp_ieee_invalid_op 0
		.amdhsa_exception_fp_denorm_src 0
		.amdhsa_exception_fp_ieee_div_zero 0
		.amdhsa_exception_fp_ieee_overflow 0
		.amdhsa_exception_fp_ieee_underflow 0
		.amdhsa_exception_fp_ieee_inexact 0
		.amdhsa_exception_int_div_zero 0
	.end_amdhsa_kernel
	.section	.text._ZN7rocprim17ROCPRIM_400000_NS6detail17trampoline_kernelINS0_14default_configENS1_21merge_config_selectorIjNS0_10empty_typeEEEZNS1_10merge_implIS3_N6thrust23THRUST_200600_302600_NS6detail15normal_iteratorINS9_10device_ptrIKjEEEESF_NS9_16discard_iteratorINS9_11use_defaultEEEPS5_SJ_SJ_NS9_4lessIjEEEE10hipError_tPvRmT0_T1_T2_T3_T4_T5_mmT6_P12ihipStream_tbEUlT_E0_NS1_11comp_targetILNS1_3genE10ELNS1_11target_archE1201ELNS1_3gpuE5ELNS1_3repE0EEENS1_30default_config_static_selectorELNS0_4arch9wavefront6targetE1EEEvSQ_,"axG",@progbits,_ZN7rocprim17ROCPRIM_400000_NS6detail17trampoline_kernelINS0_14default_configENS1_21merge_config_selectorIjNS0_10empty_typeEEEZNS1_10merge_implIS3_N6thrust23THRUST_200600_302600_NS6detail15normal_iteratorINS9_10device_ptrIKjEEEESF_NS9_16discard_iteratorINS9_11use_defaultEEEPS5_SJ_SJ_NS9_4lessIjEEEE10hipError_tPvRmT0_T1_T2_T3_T4_T5_mmT6_P12ihipStream_tbEUlT_E0_NS1_11comp_targetILNS1_3genE10ELNS1_11target_archE1201ELNS1_3gpuE5ELNS1_3repE0EEENS1_30default_config_static_selectorELNS0_4arch9wavefront6targetE1EEEvSQ_,comdat
.Lfunc_end385:
	.size	_ZN7rocprim17ROCPRIM_400000_NS6detail17trampoline_kernelINS0_14default_configENS1_21merge_config_selectorIjNS0_10empty_typeEEEZNS1_10merge_implIS3_N6thrust23THRUST_200600_302600_NS6detail15normal_iteratorINS9_10device_ptrIKjEEEESF_NS9_16discard_iteratorINS9_11use_defaultEEEPS5_SJ_SJ_NS9_4lessIjEEEE10hipError_tPvRmT0_T1_T2_T3_T4_T5_mmT6_P12ihipStream_tbEUlT_E0_NS1_11comp_targetILNS1_3genE10ELNS1_11target_archE1201ELNS1_3gpuE5ELNS1_3repE0EEENS1_30default_config_static_selectorELNS0_4arch9wavefront6targetE1EEEvSQ_, .Lfunc_end385-_ZN7rocprim17ROCPRIM_400000_NS6detail17trampoline_kernelINS0_14default_configENS1_21merge_config_selectorIjNS0_10empty_typeEEEZNS1_10merge_implIS3_N6thrust23THRUST_200600_302600_NS6detail15normal_iteratorINS9_10device_ptrIKjEEEESF_NS9_16discard_iteratorINS9_11use_defaultEEEPS5_SJ_SJ_NS9_4lessIjEEEE10hipError_tPvRmT0_T1_T2_T3_T4_T5_mmT6_P12ihipStream_tbEUlT_E0_NS1_11comp_targetILNS1_3genE10ELNS1_11target_archE1201ELNS1_3gpuE5ELNS1_3repE0EEENS1_30default_config_static_selectorELNS0_4arch9wavefront6targetE1EEEvSQ_
                                        ; -- End function
	.section	.AMDGPU.csdata,"",@progbits
; Kernel info:
; codeLenInByte = 0
; NumSgprs: 4
; NumVgprs: 0
; NumAgprs: 0
; TotalNumVgprs: 0
; ScratchSize: 0
; MemoryBound: 0
; FloatMode: 240
; IeeeMode: 1
; LDSByteSize: 0 bytes/workgroup (compile time only)
; SGPRBlocks: 0
; VGPRBlocks: 0
; NumSGPRsForWavesPerEU: 4
; NumVGPRsForWavesPerEU: 1
; AccumOffset: 4
; Occupancy: 8
; WaveLimiterHint : 0
; COMPUTE_PGM_RSRC2:SCRATCH_EN: 0
; COMPUTE_PGM_RSRC2:USER_SGPR: 6
; COMPUTE_PGM_RSRC2:TRAP_HANDLER: 0
; COMPUTE_PGM_RSRC2:TGID_X_EN: 1
; COMPUTE_PGM_RSRC2:TGID_Y_EN: 0
; COMPUTE_PGM_RSRC2:TGID_Z_EN: 0
; COMPUTE_PGM_RSRC2:TIDIG_COMP_CNT: 0
; COMPUTE_PGM_RSRC3_GFX90A:ACCUM_OFFSET: 0
; COMPUTE_PGM_RSRC3_GFX90A:TG_SPLIT: 0
	.section	.text._ZN7rocprim17ROCPRIM_400000_NS6detail17trampoline_kernelINS0_14default_configENS1_21merge_config_selectorIjNS0_10empty_typeEEEZNS1_10merge_implIS3_N6thrust23THRUST_200600_302600_NS6detail15normal_iteratorINS9_10device_ptrIKjEEEESF_NS9_16discard_iteratorINS9_11use_defaultEEEPS5_SJ_SJ_NS9_4lessIjEEEE10hipError_tPvRmT0_T1_T2_T3_T4_T5_mmT6_P12ihipStream_tbEUlT_E0_NS1_11comp_targetILNS1_3genE10ELNS1_11target_archE1200ELNS1_3gpuE4ELNS1_3repE0EEENS1_30default_config_static_selectorELNS0_4arch9wavefront6targetE1EEEvSQ_,"axG",@progbits,_ZN7rocprim17ROCPRIM_400000_NS6detail17trampoline_kernelINS0_14default_configENS1_21merge_config_selectorIjNS0_10empty_typeEEEZNS1_10merge_implIS3_N6thrust23THRUST_200600_302600_NS6detail15normal_iteratorINS9_10device_ptrIKjEEEESF_NS9_16discard_iteratorINS9_11use_defaultEEEPS5_SJ_SJ_NS9_4lessIjEEEE10hipError_tPvRmT0_T1_T2_T3_T4_T5_mmT6_P12ihipStream_tbEUlT_E0_NS1_11comp_targetILNS1_3genE10ELNS1_11target_archE1200ELNS1_3gpuE4ELNS1_3repE0EEENS1_30default_config_static_selectorELNS0_4arch9wavefront6targetE1EEEvSQ_,comdat
	.protected	_ZN7rocprim17ROCPRIM_400000_NS6detail17trampoline_kernelINS0_14default_configENS1_21merge_config_selectorIjNS0_10empty_typeEEEZNS1_10merge_implIS3_N6thrust23THRUST_200600_302600_NS6detail15normal_iteratorINS9_10device_ptrIKjEEEESF_NS9_16discard_iteratorINS9_11use_defaultEEEPS5_SJ_SJ_NS9_4lessIjEEEE10hipError_tPvRmT0_T1_T2_T3_T4_T5_mmT6_P12ihipStream_tbEUlT_E0_NS1_11comp_targetILNS1_3genE10ELNS1_11target_archE1200ELNS1_3gpuE4ELNS1_3repE0EEENS1_30default_config_static_selectorELNS0_4arch9wavefront6targetE1EEEvSQ_ ; -- Begin function _ZN7rocprim17ROCPRIM_400000_NS6detail17trampoline_kernelINS0_14default_configENS1_21merge_config_selectorIjNS0_10empty_typeEEEZNS1_10merge_implIS3_N6thrust23THRUST_200600_302600_NS6detail15normal_iteratorINS9_10device_ptrIKjEEEESF_NS9_16discard_iteratorINS9_11use_defaultEEEPS5_SJ_SJ_NS9_4lessIjEEEE10hipError_tPvRmT0_T1_T2_T3_T4_T5_mmT6_P12ihipStream_tbEUlT_E0_NS1_11comp_targetILNS1_3genE10ELNS1_11target_archE1200ELNS1_3gpuE4ELNS1_3repE0EEENS1_30default_config_static_selectorELNS0_4arch9wavefront6targetE1EEEvSQ_
	.globl	_ZN7rocprim17ROCPRIM_400000_NS6detail17trampoline_kernelINS0_14default_configENS1_21merge_config_selectorIjNS0_10empty_typeEEEZNS1_10merge_implIS3_N6thrust23THRUST_200600_302600_NS6detail15normal_iteratorINS9_10device_ptrIKjEEEESF_NS9_16discard_iteratorINS9_11use_defaultEEEPS5_SJ_SJ_NS9_4lessIjEEEE10hipError_tPvRmT0_T1_T2_T3_T4_T5_mmT6_P12ihipStream_tbEUlT_E0_NS1_11comp_targetILNS1_3genE10ELNS1_11target_archE1200ELNS1_3gpuE4ELNS1_3repE0EEENS1_30default_config_static_selectorELNS0_4arch9wavefront6targetE1EEEvSQ_
	.p2align	8
	.type	_ZN7rocprim17ROCPRIM_400000_NS6detail17trampoline_kernelINS0_14default_configENS1_21merge_config_selectorIjNS0_10empty_typeEEEZNS1_10merge_implIS3_N6thrust23THRUST_200600_302600_NS6detail15normal_iteratorINS9_10device_ptrIKjEEEESF_NS9_16discard_iteratorINS9_11use_defaultEEEPS5_SJ_SJ_NS9_4lessIjEEEE10hipError_tPvRmT0_T1_T2_T3_T4_T5_mmT6_P12ihipStream_tbEUlT_E0_NS1_11comp_targetILNS1_3genE10ELNS1_11target_archE1200ELNS1_3gpuE4ELNS1_3repE0EEENS1_30default_config_static_selectorELNS0_4arch9wavefront6targetE1EEEvSQ_,@function
_ZN7rocprim17ROCPRIM_400000_NS6detail17trampoline_kernelINS0_14default_configENS1_21merge_config_selectorIjNS0_10empty_typeEEEZNS1_10merge_implIS3_N6thrust23THRUST_200600_302600_NS6detail15normal_iteratorINS9_10device_ptrIKjEEEESF_NS9_16discard_iteratorINS9_11use_defaultEEEPS5_SJ_SJ_NS9_4lessIjEEEE10hipError_tPvRmT0_T1_T2_T3_T4_T5_mmT6_P12ihipStream_tbEUlT_E0_NS1_11comp_targetILNS1_3genE10ELNS1_11target_archE1200ELNS1_3gpuE4ELNS1_3repE0EEENS1_30default_config_static_selectorELNS0_4arch9wavefront6targetE1EEEvSQ_: ; @_ZN7rocprim17ROCPRIM_400000_NS6detail17trampoline_kernelINS0_14default_configENS1_21merge_config_selectorIjNS0_10empty_typeEEEZNS1_10merge_implIS3_N6thrust23THRUST_200600_302600_NS6detail15normal_iteratorINS9_10device_ptrIKjEEEESF_NS9_16discard_iteratorINS9_11use_defaultEEEPS5_SJ_SJ_NS9_4lessIjEEEE10hipError_tPvRmT0_T1_T2_T3_T4_T5_mmT6_P12ihipStream_tbEUlT_E0_NS1_11comp_targetILNS1_3genE10ELNS1_11target_archE1200ELNS1_3gpuE4ELNS1_3repE0EEENS1_30default_config_static_selectorELNS0_4arch9wavefront6targetE1EEEvSQ_
; %bb.0:
	.section	.rodata,"a",@progbits
	.p2align	6, 0x0
	.amdhsa_kernel _ZN7rocprim17ROCPRIM_400000_NS6detail17trampoline_kernelINS0_14default_configENS1_21merge_config_selectorIjNS0_10empty_typeEEEZNS1_10merge_implIS3_N6thrust23THRUST_200600_302600_NS6detail15normal_iteratorINS9_10device_ptrIKjEEEESF_NS9_16discard_iteratorINS9_11use_defaultEEEPS5_SJ_SJ_NS9_4lessIjEEEE10hipError_tPvRmT0_T1_T2_T3_T4_T5_mmT6_P12ihipStream_tbEUlT_E0_NS1_11comp_targetILNS1_3genE10ELNS1_11target_archE1200ELNS1_3gpuE4ELNS1_3repE0EEENS1_30default_config_static_selectorELNS0_4arch9wavefront6targetE1EEEvSQ_
		.amdhsa_group_segment_fixed_size 0
		.amdhsa_private_segment_fixed_size 0
		.amdhsa_kernarg_size 96
		.amdhsa_user_sgpr_count 6
		.amdhsa_user_sgpr_private_segment_buffer 1
		.amdhsa_user_sgpr_dispatch_ptr 0
		.amdhsa_user_sgpr_queue_ptr 0
		.amdhsa_user_sgpr_kernarg_segment_ptr 1
		.amdhsa_user_sgpr_dispatch_id 0
		.amdhsa_user_sgpr_flat_scratch_init 0
		.amdhsa_user_sgpr_kernarg_preload_length 0
		.amdhsa_user_sgpr_kernarg_preload_offset 0
		.amdhsa_user_sgpr_private_segment_size 0
		.amdhsa_uses_dynamic_stack 0
		.amdhsa_system_sgpr_private_segment_wavefront_offset 0
		.amdhsa_system_sgpr_workgroup_id_x 1
		.amdhsa_system_sgpr_workgroup_id_y 0
		.amdhsa_system_sgpr_workgroup_id_z 0
		.amdhsa_system_sgpr_workgroup_info 0
		.amdhsa_system_vgpr_workitem_id 0
		.amdhsa_next_free_vgpr 1
		.amdhsa_next_free_sgpr 0
		.amdhsa_accum_offset 4
		.amdhsa_reserve_vcc 0
		.amdhsa_reserve_flat_scratch 0
		.amdhsa_float_round_mode_32 0
		.amdhsa_float_round_mode_16_64 0
		.amdhsa_float_denorm_mode_32 3
		.amdhsa_float_denorm_mode_16_64 3
		.amdhsa_dx10_clamp 1
		.amdhsa_ieee_mode 1
		.amdhsa_fp16_overflow 0
		.amdhsa_tg_split 0
		.amdhsa_exception_fp_ieee_invalid_op 0
		.amdhsa_exception_fp_denorm_src 0
		.amdhsa_exception_fp_ieee_div_zero 0
		.amdhsa_exception_fp_ieee_overflow 0
		.amdhsa_exception_fp_ieee_underflow 0
		.amdhsa_exception_fp_ieee_inexact 0
		.amdhsa_exception_int_div_zero 0
	.end_amdhsa_kernel
	.section	.text._ZN7rocprim17ROCPRIM_400000_NS6detail17trampoline_kernelINS0_14default_configENS1_21merge_config_selectorIjNS0_10empty_typeEEEZNS1_10merge_implIS3_N6thrust23THRUST_200600_302600_NS6detail15normal_iteratorINS9_10device_ptrIKjEEEESF_NS9_16discard_iteratorINS9_11use_defaultEEEPS5_SJ_SJ_NS9_4lessIjEEEE10hipError_tPvRmT0_T1_T2_T3_T4_T5_mmT6_P12ihipStream_tbEUlT_E0_NS1_11comp_targetILNS1_3genE10ELNS1_11target_archE1200ELNS1_3gpuE4ELNS1_3repE0EEENS1_30default_config_static_selectorELNS0_4arch9wavefront6targetE1EEEvSQ_,"axG",@progbits,_ZN7rocprim17ROCPRIM_400000_NS6detail17trampoline_kernelINS0_14default_configENS1_21merge_config_selectorIjNS0_10empty_typeEEEZNS1_10merge_implIS3_N6thrust23THRUST_200600_302600_NS6detail15normal_iteratorINS9_10device_ptrIKjEEEESF_NS9_16discard_iteratorINS9_11use_defaultEEEPS5_SJ_SJ_NS9_4lessIjEEEE10hipError_tPvRmT0_T1_T2_T3_T4_T5_mmT6_P12ihipStream_tbEUlT_E0_NS1_11comp_targetILNS1_3genE10ELNS1_11target_archE1200ELNS1_3gpuE4ELNS1_3repE0EEENS1_30default_config_static_selectorELNS0_4arch9wavefront6targetE1EEEvSQ_,comdat
.Lfunc_end386:
	.size	_ZN7rocprim17ROCPRIM_400000_NS6detail17trampoline_kernelINS0_14default_configENS1_21merge_config_selectorIjNS0_10empty_typeEEEZNS1_10merge_implIS3_N6thrust23THRUST_200600_302600_NS6detail15normal_iteratorINS9_10device_ptrIKjEEEESF_NS9_16discard_iteratorINS9_11use_defaultEEEPS5_SJ_SJ_NS9_4lessIjEEEE10hipError_tPvRmT0_T1_T2_T3_T4_T5_mmT6_P12ihipStream_tbEUlT_E0_NS1_11comp_targetILNS1_3genE10ELNS1_11target_archE1200ELNS1_3gpuE4ELNS1_3repE0EEENS1_30default_config_static_selectorELNS0_4arch9wavefront6targetE1EEEvSQ_, .Lfunc_end386-_ZN7rocprim17ROCPRIM_400000_NS6detail17trampoline_kernelINS0_14default_configENS1_21merge_config_selectorIjNS0_10empty_typeEEEZNS1_10merge_implIS3_N6thrust23THRUST_200600_302600_NS6detail15normal_iteratorINS9_10device_ptrIKjEEEESF_NS9_16discard_iteratorINS9_11use_defaultEEEPS5_SJ_SJ_NS9_4lessIjEEEE10hipError_tPvRmT0_T1_T2_T3_T4_T5_mmT6_P12ihipStream_tbEUlT_E0_NS1_11comp_targetILNS1_3genE10ELNS1_11target_archE1200ELNS1_3gpuE4ELNS1_3repE0EEENS1_30default_config_static_selectorELNS0_4arch9wavefront6targetE1EEEvSQ_
                                        ; -- End function
	.section	.AMDGPU.csdata,"",@progbits
; Kernel info:
; codeLenInByte = 0
; NumSgprs: 4
; NumVgprs: 0
; NumAgprs: 0
; TotalNumVgprs: 0
; ScratchSize: 0
; MemoryBound: 0
; FloatMode: 240
; IeeeMode: 1
; LDSByteSize: 0 bytes/workgroup (compile time only)
; SGPRBlocks: 0
; VGPRBlocks: 0
; NumSGPRsForWavesPerEU: 4
; NumVGPRsForWavesPerEU: 1
; AccumOffset: 4
; Occupancy: 8
; WaveLimiterHint : 0
; COMPUTE_PGM_RSRC2:SCRATCH_EN: 0
; COMPUTE_PGM_RSRC2:USER_SGPR: 6
; COMPUTE_PGM_RSRC2:TRAP_HANDLER: 0
; COMPUTE_PGM_RSRC2:TGID_X_EN: 1
; COMPUTE_PGM_RSRC2:TGID_Y_EN: 0
; COMPUTE_PGM_RSRC2:TGID_Z_EN: 0
; COMPUTE_PGM_RSRC2:TIDIG_COMP_CNT: 0
; COMPUTE_PGM_RSRC3_GFX90A:ACCUM_OFFSET: 0
; COMPUTE_PGM_RSRC3_GFX90A:TG_SPLIT: 0
	.section	.text._ZN7rocprim17ROCPRIM_400000_NS6detail17trampoline_kernelINS0_14default_configENS1_21merge_config_selectorIjNS0_10empty_typeEEEZNS1_10merge_implIS3_N6thrust23THRUST_200600_302600_NS6detail15normal_iteratorINS9_10device_ptrIKjEEEESF_NS9_16discard_iteratorINS9_11use_defaultEEEPS5_SJ_SJ_NS9_4lessIjEEEE10hipError_tPvRmT0_T1_T2_T3_T4_T5_mmT6_P12ihipStream_tbEUlT_E0_NS1_11comp_targetILNS1_3genE9ELNS1_11target_archE1100ELNS1_3gpuE3ELNS1_3repE0EEENS1_30default_config_static_selectorELNS0_4arch9wavefront6targetE1EEEvSQ_,"axG",@progbits,_ZN7rocprim17ROCPRIM_400000_NS6detail17trampoline_kernelINS0_14default_configENS1_21merge_config_selectorIjNS0_10empty_typeEEEZNS1_10merge_implIS3_N6thrust23THRUST_200600_302600_NS6detail15normal_iteratorINS9_10device_ptrIKjEEEESF_NS9_16discard_iteratorINS9_11use_defaultEEEPS5_SJ_SJ_NS9_4lessIjEEEE10hipError_tPvRmT0_T1_T2_T3_T4_T5_mmT6_P12ihipStream_tbEUlT_E0_NS1_11comp_targetILNS1_3genE9ELNS1_11target_archE1100ELNS1_3gpuE3ELNS1_3repE0EEENS1_30default_config_static_selectorELNS0_4arch9wavefront6targetE1EEEvSQ_,comdat
	.protected	_ZN7rocprim17ROCPRIM_400000_NS6detail17trampoline_kernelINS0_14default_configENS1_21merge_config_selectorIjNS0_10empty_typeEEEZNS1_10merge_implIS3_N6thrust23THRUST_200600_302600_NS6detail15normal_iteratorINS9_10device_ptrIKjEEEESF_NS9_16discard_iteratorINS9_11use_defaultEEEPS5_SJ_SJ_NS9_4lessIjEEEE10hipError_tPvRmT0_T1_T2_T3_T4_T5_mmT6_P12ihipStream_tbEUlT_E0_NS1_11comp_targetILNS1_3genE9ELNS1_11target_archE1100ELNS1_3gpuE3ELNS1_3repE0EEENS1_30default_config_static_selectorELNS0_4arch9wavefront6targetE1EEEvSQ_ ; -- Begin function _ZN7rocprim17ROCPRIM_400000_NS6detail17trampoline_kernelINS0_14default_configENS1_21merge_config_selectorIjNS0_10empty_typeEEEZNS1_10merge_implIS3_N6thrust23THRUST_200600_302600_NS6detail15normal_iteratorINS9_10device_ptrIKjEEEESF_NS9_16discard_iteratorINS9_11use_defaultEEEPS5_SJ_SJ_NS9_4lessIjEEEE10hipError_tPvRmT0_T1_T2_T3_T4_T5_mmT6_P12ihipStream_tbEUlT_E0_NS1_11comp_targetILNS1_3genE9ELNS1_11target_archE1100ELNS1_3gpuE3ELNS1_3repE0EEENS1_30default_config_static_selectorELNS0_4arch9wavefront6targetE1EEEvSQ_
	.globl	_ZN7rocprim17ROCPRIM_400000_NS6detail17trampoline_kernelINS0_14default_configENS1_21merge_config_selectorIjNS0_10empty_typeEEEZNS1_10merge_implIS3_N6thrust23THRUST_200600_302600_NS6detail15normal_iteratorINS9_10device_ptrIKjEEEESF_NS9_16discard_iteratorINS9_11use_defaultEEEPS5_SJ_SJ_NS9_4lessIjEEEE10hipError_tPvRmT0_T1_T2_T3_T4_T5_mmT6_P12ihipStream_tbEUlT_E0_NS1_11comp_targetILNS1_3genE9ELNS1_11target_archE1100ELNS1_3gpuE3ELNS1_3repE0EEENS1_30default_config_static_selectorELNS0_4arch9wavefront6targetE1EEEvSQ_
	.p2align	8
	.type	_ZN7rocprim17ROCPRIM_400000_NS6detail17trampoline_kernelINS0_14default_configENS1_21merge_config_selectorIjNS0_10empty_typeEEEZNS1_10merge_implIS3_N6thrust23THRUST_200600_302600_NS6detail15normal_iteratorINS9_10device_ptrIKjEEEESF_NS9_16discard_iteratorINS9_11use_defaultEEEPS5_SJ_SJ_NS9_4lessIjEEEE10hipError_tPvRmT0_T1_T2_T3_T4_T5_mmT6_P12ihipStream_tbEUlT_E0_NS1_11comp_targetILNS1_3genE9ELNS1_11target_archE1100ELNS1_3gpuE3ELNS1_3repE0EEENS1_30default_config_static_selectorELNS0_4arch9wavefront6targetE1EEEvSQ_,@function
_ZN7rocprim17ROCPRIM_400000_NS6detail17trampoline_kernelINS0_14default_configENS1_21merge_config_selectorIjNS0_10empty_typeEEEZNS1_10merge_implIS3_N6thrust23THRUST_200600_302600_NS6detail15normal_iteratorINS9_10device_ptrIKjEEEESF_NS9_16discard_iteratorINS9_11use_defaultEEEPS5_SJ_SJ_NS9_4lessIjEEEE10hipError_tPvRmT0_T1_T2_T3_T4_T5_mmT6_P12ihipStream_tbEUlT_E0_NS1_11comp_targetILNS1_3genE9ELNS1_11target_archE1100ELNS1_3gpuE3ELNS1_3repE0EEENS1_30default_config_static_selectorELNS0_4arch9wavefront6targetE1EEEvSQ_: ; @_ZN7rocprim17ROCPRIM_400000_NS6detail17trampoline_kernelINS0_14default_configENS1_21merge_config_selectorIjNS0_10empty_typeEEEZNS1_10merge_implIS3_N6thrust23THRUST_200600_302600_NS6detail15normal_iteratorINS9_10device_ptrIKjEEEESF_NS9_16discard_iteratorINS9_11use_defaultEEEPS5_SJ_SJ_NS9_4lessIjEEEE10hipError_tPvRmT0_T1_T2_T3_T4_T5_mmT6_P12ihipStream_tbEUlT_E0_NS1_11comp_targetILNS1_3genE9ELNS1_11target_archE1100ELNS1_3gpuE3ELNS1_3repE0EEENS1_30default_config_static_selectorELNS0_4arch9wavefront6targetE1EEEvSQ_
; %bb.0:
	.section	.rodata,"a",@progbits
	.p2align	6, 0x0
	.amdhsa_kernel _ZN7rocprim17ROCPRIM_400000_NS6detail17trampoline_kernelINS0_14default_configENS1_21merge_config_selectorIjNS0_10empty_typeEEEZNS1_10merge_implIS3_N6thrust23THRUST_200600_302600_NS6detail15normal_iteratorINS9_10device_ptrIKjEEEESF_NS9_16discard_iteratorINS9_11use_defaultEEEPS5_SJ_SJ_NS9_4lessIjEEEE10hipError_tPvRmT0_T1_T2_T3_T4_T5_mmT6_P12ihipStream_tbEUlT_E0_NS1_11comp_targetILNS1_3genE9ELNS1_11target_archE1100ELNS1_3gpuE3ELNS1_3repE0EEENS1_30default_config_static_selectorELNS0_4arch9wavefront6targetE1EEEvSQ_
		.amdhsa_group_segment_fixed_size 0
		.amdhsa_private_segment_fixed_size 0
		.amdhsa_kernarg_size 96
		.amdhsa_user_sgpr_count 6
		.amdhsa_user_sgpr_private_segment_buffer 1
		.amdhsa_user_sgpr_dispatch_ptr 0
		.amdhsa_user_sgpr_queue_ptr 0
		.amdhsa_user_sgpr_kernarg_segment_ptr 1
		.amdhsa_user_sgpr_dispatch_id 0
		.amdhsa_user_sgpr_flat_scratch_init 0
		.amdhsa_user_sgpr_kernarg_preload_length 0
		.amdhsa_user_sgpr_kernarg_preload_offset 0
		.amdhsa_user_sgpr_private_segment_size 0
		.amdhsa_uses_dynamic_stack 0
		.amdhsa_system_sgpr_private_segment_wavefront_offset 0
		.amdhsa_system_sgpr_workgroup_id_x 1
		.amdhsa_system_sgpr_workgroup_id_y 0
		.amdhsa_system_sgpr_workgroup_id_z 0
		.amdhsa_system_sgpr_workgroup_info 0
		.amdhsa_system_vgpr_workitem_id 0
		.amdhsa_next_free_vgpr 1
		.amdhsa_next_free_sgpr 0
		.amdhsa_accum_offset 4
		.amdhsa_reserve_vcc 0
		.amdhsa_reserve_flat_scratch 0
		.amdhsa_float_round_mode_32 0
		.amdhsa_float_round_mode_16_64 0
		.amdhsa_float_denorm_mode_32 3
		.amdhsa_float_denorm_mode_16_64 3
		.amdhsa_dx10_clamp 1
		.amdhsa_ieee_mode 1
		.amdhsa_fp16_overflow 0
		.amdhsa_tg_split 0
		.amdhsa_exception_fp_ieee_invalid_op 0
		.amdhsa_exception_fp_denorm_src 0
		.amdhsa_exception_fp_ieee_div_zero 0
		.amdhsa_exception_fp_ieee_overflow 0
		.amdhsa_exception_fp_ieee_underflow 0
		.amdhsa_exception_fp_ieee_inexact 0
		.amdhsa_exception_int_div_zero 0
	.end_amdhsa_kernel
	.section	.text._ZN7rocprim17ROCPRIM_400000_NS6detail17trampoline_kernelINS0_14default_configENS1_21merge_config_selectorIjNS0_10empty_typeEEEZNS1_10merge_implIS3_N6thrust23THRUST_200600_302600_NS6detail15normal_iteratorINS9_10device_ptrIKjEEEESF_NS9_16discard_iteratorINS9_11use_defaultEEEPS5_SJ_SJ_NS9_4lessIjEEEE10hipError_tPvRmT0_T1_T2_T3_T4_T5_mmT6_P12ihipStream_tbEUlT_E0_NS1_11comp_targetILNS1_3genE9ELNS1_11target_archE1100ELNS1_3gpuE3ELNS1_3repE0EEENS1_30default_config_static_selectorELNS0_4arch9wavefront6targetE1EEEvSQ_,"axG",@progbits,_ZN7rocprim17ROCPRIM_400000_NS6detail17trampoline_kernelINS0_14default_configENS1_21merge_config_selectorIjNS0_10empty_typeEEEZNS1_10merge_implIS3_N6thrust23THRUST_200600_302600_NS6detail15normal_iteratorINS9_10device_ptrIKjEEEESF_NS9_16discard_iteratorINS9_11use_defaultEEEPS5_SJ_SJ_NS9_4lessIjEEEE10hipError_tPvRmT0_T1_T2_T3_T4_T5_mmT6_P12ihipStream_tbEUlT_E0_NS1_11comp_targetILNS1_3genE9ELNS1_11target_archE1100ELNS1_3gpuE3ELNS1_3repE0EEENS1_30default_config_static_selectorELNS0_4arch9wavefront6targetE1EEEvSQ_,comdat
.Lfunc_end387:
	.size	_ZN7rocprim17ROCPRIM_400000_NS6detail17trampoline_kernelINS0_14default_configENS1_21merge_config_selectorIjNS0_10empty_typeEEEZNS1_10merge_implIS3_N6thrust23THRUST_200600_302600_NS6detail15normal_iteratorINS9_10device_ptrIKjEEEESF_NS9_16discard_iteratorINS9_11use_defaultEEEPS5_SJ_SJ_NS9_4lessIjEEEE10hipError_tPvRmT0_T1_T2_T3_T4_T5_mmT6_P12ihipStream_tbEUlT_E0_NS1_11comp_targetILNS1_3genE9ELNS1_11target_archE1100ELNS1_3gpuE3ELNS1_3repE0EEENS1_30default_config_static_selectorELNS0_4arch9wavefront6targetE1EEEvSQ_, .Lfunc_end387-_ZN7rocprim17ROCPRIM_400000_NS6detail17trampoline_kernelINS0_14default_configENS1_21merge_config_selectorIjNS0_10empty_typeEEEZNS1_10merge_implIS3_N6thrust23THRUST_200600_302600_NS6detail15normal_iteratorINS9_10device_ptrIKjEEEESF_NS9_16discard_iteratorINS9_11use_defaultEEEPS5_SJ_SJ_NS9_4lessIjEEEE10hipError_tPvRmT0_T1_T2_T3_T4_T5_mmT6_P12ihipStream_tbEUlT_E0_NS1_11comp_targetILNS1_3genE9ELNS1_11target_archE1100ELNS1_3gpuE3ELNS1_3repE0EEENS1_30default_config_static_selectorELNS0_4arch9wavefront6targetE1EEEvSQ_
                                        ; -- End function
	.section	.AMDGPU.csdata,"",@progbits
; Kernel info:
; codeLenInByte = 0
; NumSgprs: 4
; NumVgprs: 0
; NumAgprs: 0
; TotalNumVgprs: 0
; ScratchSize: 0
; MemoryBound: 0
; FloatMode: 240
; IeeeMode: 1
; LDSByteSize: 0 bytes/workgroup (compile time only)
; SGPRBlocks: 0
; VGPRBlocks: 0
; NumSGPRsForWavesPerEU: 4
; NumVGPRsForWavesPerEU: 1
; AccumOffset: 4
; Occupancy: 8
; WaveLimiterHint : 0
; COMPUTE_PGM_RSRC2:SCRATCH_EN: 0
; COMPUTE_PGM_RSRC2:USER_SGPR: 6
; COMPUTE_PGM_RSRC2:TRAP_HANDLER: 0
; COMPUTE_PGM_RSRC2:TGID_X_EN: 1
; COMPUTE_PGM_RSRC2:TGID_Y_EN: 0
; COMPUTE_PGM_RSRC2:TGID_Z_EN: 0
; COMPUTE_PGM_RSRC2:TIDIG_COMP_CNT: 0
; COMPUTE_PGM_RSRC3_GFX90A:ACCUM_OFFSET: 0
; COMPUTE_PGM_RSRC3_GFX90A:TG_SPLIT: 0
	.section	.text._ZN7rocprim17ROCPRIM_400000_NS6detail17trampoline_kernelINS0_14default_configENS1_21merge_config_selectorIjNS0_10empty_typeEEEZNS1_10merge_implIS3_N6thrust23THRUST_200600_302600_NS6detail15normal_iteratorINS9_10device_ptrIKjEEEESF_NS9_16discard_iteratorINS9_11use_defaultEEEPS5_SJ_SJ_NS9_4lessIjEEEE10hipError_tPvRmT0_T1_T2_T3_T4_T5_mmT6_P12ihipStream_tbEUlT_E0_NS1_11comp_targetILNS1_3genE8ELNS1_11target_archE1030ELNS1_3gpuE2ELNS1_3repE0EEENS1_30default_config_static_selectorELNS0_4arch9wavefront6targetE1EEEvSQ_,"axG",@progbits,_ZN7rocprim17ROCPRIM_400000_NS6detail17trampoline_kernelINS0_14default_configENS1_21merge_config_selectorIjNS0_10empty_typeEEEZNS1_10merge_implIS3_N6thrust23THRUST_200600_302600_NS6detail15normal_iteratorINS9_10device_ptrIKjEEEESF_NS9_16discard_iteratorINS9_11use_defaultEEEPS5_SJ_SJ_NS9_4lessIjEEEE10hipError_tPvRmT0_T1_T2_T3_T4_T5_mmT6_P12ihipStream_tbEUlT_E0_NS1_11comp_targetILNS1_3genE8ELNS1_11target_archE1030ELNS1_3gpuE2ELNS1_3repE0EEENS1_30default_config_static_selectorELNS0_4arch9wavefront6targetE1EEEvSQ_,comdat
	.protected	_ZN7rocprim17ROCPRIM_400000_NS6detail17trampoline_kernelINS0_14default_configENS1_21merge_config_selectorIjNS0_10empty_typeEEEZNS1_10merge_implIS3_N6thrust23THRUST_200600_302600_NS6detail15normal_iteratorINS9_10device_ptrIKjEEEESF_NS9_16discard_iteratorINS9_11use_defaultEEEPS5_SJ_SJ_NS9_4lessIjEEEE10hipError_tPvRmT0_T1_T2_T3_T4_T5_mmT6_P12ihipStream_tbEUlT_E0_NS1_11comp_targetILNS1_3genE8ELNS1_11target_archE1030ELNS1_3gpuE2ELNS1_3repE0EEENS1_30default_config_static_selectorELNS0_4arch9wavefront6targetE1EEEvSQ_ ; -- Begin function _ZN7rocprim17ROCPRIM_400000_NS6detail17trampoline_kernelINS0_14default_configENS1_21merge_config_selectorIjNS0_10empty_typeEEEZNS1_10merge_implIS3_N6thrust23THRUST_200600_302600_NS6detail15normal_iteratorINS9_10device_ptrIKjEEEESF_NS9_16discard_iteratorINS9_11use_defaultEEEPS5_SJ_SJ_NS9_4lessIjEEEE10hipError_tPvRmT0_T1_T2_T3_T4_T5_mmT6_P12ihipStream_tbEUlT_E0_NS1_11comp_targetILNS1_3genE8ELNS1_11target_archE1030ELNS1_3gpuE2ELNS1_3repE0EEENS1_30default_config_static_selectorELNS0_4arch9wavefront6targetE1EEEvSQ_
	.globl	_ZN7rocprim17ROCPRIM_400000_NS6detail17trampoline_kernelINS0_14default_configENS1_21merge_config_selectorIjNS0_10empty_typeEEEZNS1_10merge_implIS3_N6thrust23THRUST_200600_302600_NS6detail15normal_iteratorINS9_10device_ptrIKjEEEESF_NS9_16discard_iteratorINS9_11use_defaultEEEPS5_SJ_SJ_NS9_4lessIjEEEE10hipError_tPvRmT0_T1_T2_T3_T4_T5_mmT6_P12ihipStream_tbEUlT_E0_NS1_11comp_targetILNS1_3genE8ELNS1_11target_archE1030ELNS1_3gpuE2ELNS1_3repE0EEENS1_30default_config_static_selectorELNS0_4arch9wavefront6targetE1EEEvSQ_
	.p2align	8
	.type	_ZN7rocprim17ROCPRIM_400000_NS6detail17trampoline_kernelINS0_14default_configENS1_21merge_config_selectorIjNS0_10empty_typeEEEZNS1_10merge_implIS3_N6thrust23THRUST_200600_302600_NS6detail15normal_iteratorINS9_10device_ptrIKjEEEESF_NS9_16discard_iteratorINS9_11use_defaultEEEPS5_SJ_SJ_NS9_4lessIjEEEE10hipError_tPvRmT0_T1_T2_T3_T4_T5_mmT6_P12ihipStream_tbEUlT_E0_NS1_11comp_targetILNS1_3genE8ELNS1_11target_archE1030ELNS1_3gpuE2ELNS1_3repE0EEENS1_30default_config_static_selectorELNS0_4arch9wavefront6targetE1EEEvSQ_,@function
_ZN7rocprim17ROCPRIM_400000_NS6detail17trampoline_kernelINS0_14default_configENS1_21merge_config_selectorIjNS0_10empty_typeEEEZNS1_10merge_implIS3_N6thrust23THRUST_200600_302600_NS6detail15normal_iteratorINS9_10device_ptrIKjEEEESF_NS9_16discard_iteratorINS9_11use_defaultEEEPS5_SJ_SJ_NS9_4lessIjEEEE10hipError_tPvRmT0_T1_T2_T3_T4_T5_mmT6_P12ihipStream_tbEUlT_E0_NS1_11comp_targetILNS1_3genE8ELNS1_11target_archE1030ELNS1_3gpuE2ELNS1_3repE0EEENS1_30default_config_static_selectorELNS0_4arch9wavefront6targetE1EEEvSQ_: ; @_ZN7rocprim17ROCPRIM_400000_NS6detail17trampoline_kernelINS0_14default_configENS1_21merge_config_selectorIjNS0_10empty_typeEEEZNS1_10merge_implIS3_N6thrust23THRUST_200600_302600_NS6detail15normal_iteratorINS9_10device_ptrIKjEEEESF_NS9_16discard_iteratorINS9_11use_defaultEEEPS5_SJ_SJ_NS9_4lessIjEEEE10hipError_tPvRmT0_T1_T2_T3_T4_T5_mmT6_P12ihipStream_tbEUlT_E0_NS1_11comp_targetILNS1_3genE8ELNS1_11target_archE1030ELNS1_3gpuE2ELNS1_3repE0EEENS1_30default_config_static_selectorELNS0_4arch9wavefront6targetE1EEEvSQ_
; %bb.0:
	.section	.rodata,"a",@progbits
	.p2align	6, 0x0
	.amdhsa_kernel _ZN7rocprim17ROCPRIM_400000_NS6detail17trampoline_kernelINS0_14default_configENS1_21merge_config_selectorIjNS0_10empty_typeEEEZNS1_10merge_implIS3_N6thrust23THRUST_200600_302600_NS6detail15normal_iteratorINS9_10device_ptrIKjEEEESF_NS9_16discard_iteratorINS9_11use_defaultEEEPS5_SJ_SJ_NS9_4lessIjEEEE10hipError_tPvRmT0_T1_T2_T3_T4_T5_mmT6_P12ihipStream_tbEUlT_E0_NS1_11comp_targetILNS1_3genE8ELNS1_11target_archE1030ELNS1_3gpuE2ELNS1_3repE0EEENS1_30default_config_static_selectorELNS0_4arch9wavefront6targetE1EEEvSQ_
		.amdhsa_group_segment_fixed_size 0
		.amdhsa_private_segment_fixed_size 0
		.amdhsa_kernarg_size 96
		.amdhsa_user_sgpr_count 6
		.amdhsa_user_sgpr_private_segment_buffer 1
		.amdhsa_user_sgpr_dispatch_ptr 0
		.amdhsa_user_sgpr_queue_ptr 0
		.amdhsa_user_sgpr_kernarg_segment_ptr 1
		.amdhsa_user_sgpr_dispatch_id 0
		.amdhsa_user_sgpr_flat_scratch_init 0
		.amdhsa_user_sgpr_kernarg_preload_length 0
		.amdhsa_user_sgpr_kernarg_preload_offset 0
		.amdhsa_user_sgpr_private_segment_size 0
		.amdhsa_uses_dynamic_stack 0
		.amdhsa_system_sgpr_private_segment_wavefront_offset 0
		.amdhsa_system_sgpr_workgroup_id_x 1
		.amdhsa_system_sgpr_workgroup_id_y 0
		.amdhsa_system_sgpr_workgroup_id_z 0
		.amdhsa_system_sgpr_workgroup_info 0
		.amdhsa_system_vgpr_workitem_id 0
		.amdhsa_next_free_vgpr 1
		.amdhsa_next_free_sgpr 0
		.amdhsa_accum_offset 4
		.amdhsa_reserve_vcc 0
		.amdhsa_reserve_flat_scratch 0
		.amdhsa_float_round_mode_32 0
		.amdhsa_float_round_mode_16_64 0
		.amdhsa_float_denorm_mode_32 3
		.amdhsa_float_denorm_mode_16_64 3
		.amdhsa_dx10_clamp 1
		.amdhsa_ieee_mode 1
		.amdhsa_fp16_overflow 0
		.amdhsa_tg_split 0
		.amdhsa_exception_fp_ieee_invalid_op 0
		.amdhsa_exception_fp_denorm_src 0
		.amdhsa_exception_fp_ieee_div_zero 0
		.amdhsa_exception_fp_ieee_overflow 0
		.amdhsa_exception_fp_ieee_underflow 0
		.amdhsa_exception_fp_ieee_inexact 0
		.amdhsa_exception_int_div_zero 0
	.end_amdhsa_kernel
	.section	.text._ZN7rocprim17ROCPRIM_400000_NS6detail17trampoline_kernelINS0_14default_configENS1_21merge_config_selectorIjNS0_10empty_typeEEEZNS1_10merge_implIS3_N6thrust23THRUST_200600_302600_NS6detail15normal_iteratorINS9_10device_ptrIKjEEEESF_NS9_16discard_iteratorINS9_11use_defaultEEEPS5_SJ_SJ_NS9_4lessIjEEEE10hipError_tPvRmT0_T1_T2_T3_T4_T5_mmT6_P12ihipStream_tbEUlT_E0_NS1_11comp_targetILNS1_3genE8ELNS1_11target_archE1030ELNS1_3gpuE2ELNS1_3repE0EEENS1_30default_config_static_selectorELNS0_4arch9wavefront6targetE1EEEvSQ_,"axG",@progbits,_ZN7rocprim17ROCPRIM_400000_NS6detail17trampoline_kernelINS0_14default_configENS1_21merge_config_selectorIjNS0_10empty_typeEEEZNS1_10merge_implIS3_N6thrust23THRUST_200600_302600_NS6detail15normal_iteratorINS9_10device_ptrIKjEEEESF_NS9_16discard_iteratorINS9_11use_defaultEEEPS5_SJ_SJ_NS9_4lessIjEEEE10hipError_tPvRmT0_T1_T2_T3_T4_T5_mmT6_P12ihipStream_tbEUlT_E0_NS1_11comp_targetILNS1_3genE8ELNS1_11target_archE1030ELNS1_3gpuE2ELNS1_3repE0EEENS1_30default_config_static_selectorELNS0_4arch9wavefront6targetE1EEEvSQ_,comdat
.Lfunc_end388:
	.size	_ZN7rocprim17ROCPRIM_400000_NS6detail17trampoline_kernelINS0_14default_configENS1_21merge_config_selectorIjNS0_10empty_typeEEEZNS1_10merge_implIS3_N6thrust23THRUST_200600_302600_NS6detail15normal_iteratorINS9_10device_ptrIKjEEEESF_NS9_16discard_iteratorINS9_11use_defaultEEEPS5_SJ_SJ_NS9_4lessIjEEEE10hipError_tPvRmT0_T1_T2_T3_T4_T5_mmT6_P12ihipStream_tbEUlT_E0_NS1_11comp_targetILNS1_3genE8ELNS1_11target_archE1030ELNS1_3gpuE2ELNS1_3repE0EEENS1_30default_config_static_selectorELNS0_4arch9wavefront6targetE1EEEvSQ_, .Lfunc_end388-_ZN7rocprim17ROCPRIM_400000_NS6detail17trampoline_kernelINS0_14default_configENS1_21merge_config_selectorIjNS0_10empty_typeEEEZNS1_10merge_implIS3_N6thrust23THRUST_200600_302600_NS6detail15normal_iteratorINS9_10device_ptrIKjEEEESF_NS9_16discard_iteratorINS9_11use_defaultEEEPS5_SJ_SJ_NS9_4lessIjEEEE10hipError_tPvRmT0_T1_T2_T3_T4_T5_mmT6_P12ihipStream_tbEUlT_E0_NS1_11comp_targetILNS1_3genE8ELNS1_11target_archE1030ELNS1_3gpuE2ELNS1_3repE0EEENS1_30default_config_static_selectorELNS0_4arch9wavefront6targetE1EEEvSQ_
                                        ; -- End function
	.section	.AMDGPU.csdata,"",@progbits
; Kernel info:
; codeLenInByte = 0
; NumSgprs: 4
; NumVgprs: 0
; NumAgprs: 0
; TotalNumVgprs: 0
; ScratchSize: 0
; MemoryBound: 0
; FloatMode: 240
; IeeeMode: 1
; LDSByteSize: 0 bytes/workgroup (compile time only)
; SGPRBlocks: 0
; VGPRBlocks: 0
; NumSGPRsForWavesPerEU: 4
; NumVGPRsForWavesPerEU: 1
; AccumOffset: 4
; Occupancy: 8
; WaveLimiterHint : 0
; COMPUTE_PGM_RSRC2:SCRATCH_EN: 0
; COMPUTE_PGM_RSRC2:USER_SGPR: 6
; COMPUTE_PGM_RSRC2:TRAP_HANDLER: 0
; COMPUTE_PGM_RSRC2:TGID_X_EN: 1
; COMPUTE_PGM_RSRC2:TGID_Y_EN: 0
; COMPUTE_PGM_RSRC2:TGID_Z_EN: 0
; COMPUTE_PGM_RSRC2:TIDIG_COMP_CNT: 0
; COMPUTE_PGM_RSRC3_GFX90A:ACCUM_OFFSET: 0
; COMPUTE_PGM_RSRC3_GFX90A:TG_SPLIT: 0
	.section	.text._ZN7rocprim17ROCPRIM_400000_NS6detail17trampoline_kernelINS0_14default_configENS1_21merge_config_selectorItNS0_10empty_typeEEEZNS1_10merge_implIS3_N6thrust23THRUST_200600_302600_NS6detail15normal_iteratorINS9_10device_ptrIKtEEEESF_NS9_16discard_iteratorINS9_11use_defaultEEEPS5_SJ_SJ_NS9_4lessItEEEE10hipError_tPvRmT0_T1_T2_T3_T4_T5_mmT6_P12ihipStream_tbEUlT_E_NS1_11comp_targetILNS1_3genE0ELNS1_11target_archE4294967295ELNS1_3gpuE0ELNS1_3repE0EEENS1_30default_config_static_selectorELNS0_4arch9wavefront6targetE1EEEvSQ_,"axG",@progbits,_ZN7rocprim17ROCPRIM_400000_NS6detail17trampoline_kernelINS0_14default_configENS1_21merge_config_selectorItNS0_10empty_typeEEEZNS1_10merge_implIS3_N6thrust23THRUST_200600_302600_NS6detail15normal_iteratorINS9_10device_ptrIKtEEEESF_NS9_16discard_iteratorINS9_11use_defaultEEEPS5_SJ_SJ_NS9_4lessItEEEE10hipError_tPvRmT0_T1_T2_T3_T4_T5_mmT6_P12ihipStream_tbEUlT_E_NS1_11comp_targetILNS1_3genE0ELNS1_11target_archE4294967295ELNS1_3gpuE0ELNS1_3repE0EEENS1_30default_config_static_selectorELNS0_4arch9wavefront6targetE1EEEvSQ_,comdat
	.protected	_ZN7rocprim17ROCPRIM_400000_NS6detail17trampoline_kernelINS0_14default_configENS1_21merge_config_selectorItNS0_10empty_typeEEEZNS1_10merge_implIS3_N6thrust23THRUST_200600_302600_NS6detail15normal_iteratorINS9_10device_ptrIKtEEEESF_NS9_16discard_iteratorINS9_11use_defaultEEEPS5_SJ_SJ_NS9_4lessItEEEE10hipError_tPvRmT0_T1_T2_T3_T4_T5_mmT6_P12ihipStream_tbEUlT_E_NS1_11comp_targetILNS1_3genE0ELNS1_11target_archE4294967295ELNS1_3gpuE0ELNS1_3repE0EEENS1_30default_config_static_selectorELNS0_4arch9wavefront6targetE1EEEvSQ_ ; -- Begin function _ZN7rocprim17ROCPRIM_400000_NS6detail17trampoline_kernelINS0_14default_configENS1_21merge_config_selectorItNS0_10empty_typeEEEZNS1_10merge_implIS3_N6thrust23THRUST_200600_302600_NS6detail15normal_iteratorINS9_10device_ptrIKtEEEESF_NS9_16discard_iteratorINS9_11use_defaultEEEPS5_SJ_SJ_NS9_4lessItEEEE10hipError_tPvRmT0_T1_T2_T3_T4_T5_mmT6_P12ihipStream_tbEUlT_E_NS1_11comp_targetILNS1_3genE0ELNS1_11target_archE4294967295ELNS1_3gpuE0ELNS1_3repE0EEENS1_30default_config_static_selectorELNS0_4arch9wavefront6targetE1EEEvSQ_
	.globl	_ZN7rocprim17ROCPRIM_400000_NS6detail17trampoline_kernelINS0_14default_configENS1_21merge_config_selectorItNS0_10empty_typeEEEZNS1_10merge_implIS3_N6thrust23THRUST_200600_302600_NS6detail15normal_iteratorINS9_10device_ptrIKtEEEESF_NS9_16discard_iteratorINS9_11use_defaultEEEPS5_SJ_SJ_NS9_4lessItEEEE10hipError_tPvRmT0_T1_T2_T3_T4_T5_mmT6_P12ihipStream_tbEUlT_E_NS1_11comp_targetILNS1_3genE0ELNS1_11target_archE4294967295ELNS1_3gpuE0ELNS1_3repE0EEENS1_30default_config_static_selectorELNS0_4arch9wavefront6targetE1EEEvSQ_
	.p2align	8
	.type	_ZN7rocprim17ROCPRIM_400000_NS6detail17trampoline_kernelINS0_14default_configENS1_21merge_config_selectorItNS0_10empty_typeEEEZNS1_10merge_implIS3_N6thrust23THRUST_200600_302600_NS6detail15normal_iteratorINS9_10device_ptrIKtEEEESF_NS9_16discard_iteratorINS9_11use_defaultEEEPS5_SJ_SJ_NS9_4lessItEEEE10hipError_tPvRmT0_T1_T2_T3_T4_T5_mmT6_P12ihipStream_tbEUlT_E_NS1_11comp_targetILNS1_3genE0ELNS1_11target_archE4294967295ELNS1_3gpuE0ELNS1_3repE0EEENS1_30default_config_static_selectorELNS0_4arch9wavefront6targetE1EEEvSQ_,@function
_ZN7rocprim17ROCPRIM_400000_NS6detail17trampoline_kernelINS0_14default_configENS1_21merge_config_selectorItNS0_10empty_typeEEEZNS1_10merge_implIS3_N6thrust23THRUST_200600_302600_NS6detail15normal_iteratorINS9_10device_ptrIKtEEEESF_NS9_16discard_iteratorINS9_11use_defaultEEEPS5_SJ_SJ_NS9_4lessItEEEE10hipError_tPvRmT0_T1_T2_T3_T4_T5_mmT6_P12ihipStream_tbEUlT_E_NS1_11comp_targetILNS1_3genE0ELNS1_11target_archE4294967295ELNS1_3gpuE0ELNS1_3repE0EEENS1_30default_config_static_selectorELNS0_4arch9wavefront6targetE1EEEvSQ_: ; @_ZN7rocprim17ROCPRIM_400000_NS6detail17trampoline_kernelINS0_14default_configENS1_21merge_config_selectorItNS0_10empty_typeEEEZNS1_10merge_implIS3_N6thrust23THRUST_200600_302600_NS6detail15normal_iteratorINS9_10device_ptrIKtEEEESF_NS9_16discard_iteratorINS9_11use_defaultEEEPS5_SJ_SJ_NS9_4lessItEEEE10hipError_tPvRmT0_T1_T2_T3_T4_T5_mmT6_P12ihipStream_tbEUlT_E_NS1_11comp_targetILNS1_3genE0ELNS1_11target_archE4294967295ELNS1_3gpuE0ELNS1_3repE0EEENS1_30default_config_static_selectorELNS0_4arch9wavefront6targetE1EEEvSQ_
; %bb.0:
	.section	.rodata,"a",@progbits
	.p2align	6, 0x0
	.amdhsa_kernel _ZN7rocprim17ROCPRIM_400000_NS6detail17trampoline_kernelINS0_14default_configENS1_21merge_config_selectorItNS0_10empty_typeEEEZNS1_10merge_implIS3_N6thrust23THRUST_200600_302600_NS6detail15normal_iteratorINS9_10device_ptrIKtEEEESF_NS9_16discard_iteratorINS9_11use_defaultEEEPS5_SJ_SJ_NS9_4lessItEEEE10hipError_tPvRmT0_T1_T2_T3_T4_T5_mmT6_P12ihipStream_tbEUlT_E_NS1_11comp_targetILNS1_3genE0ELNS1_11target_archE4294967295ELNS1_3gpuE0ELNS1_3repE0EEENS1_30default_config_static_selectorELNS0_4arch9wavefront6targetE1EEEvSQ_
		.amdhsa_group_segment_fixed_size 0
		.amdhsa_private_segment_fixed_size 0
		.amdhsa_kernarg_size 48
		.amdhsa_user_sgpr_count 6
		.amdhsa_user_sgpr_private_segment_buffer 1
		.amdhsa_user_sgpr_dispatch_ptr 0
		.amdhsa_user_sgpr_queue_ptr 0
		.amdhsa_user_sgpr_kernarg_segment_ptr 1
		.amdhsa_user_sgpr_dispatch_id 0
		.amdhsa_user_sgpr_flat_scratch_init 0
		.amdhsa_user_sgpr_kernarg_preload_length 0
		.amdhsa_user_sgpr_kernarg_preload_offset 0
		.amdhsa_user_sgpr_private_segment_size 0
		.amdhsa_uses_dynamic_stack 0
		.amdhsa_system_sgpr_private_segment_wavefront_offset 0
		.amdhsa_system_sgpr_workgroup_id_x 1
		.amdhsa_system_sgpr_workgroup_id_y 0
		.amdhsa_system_sgpr_workgroup_id_z 0
		.amdhsa_system_sgpr_workgroup_info 0
		.amdhsa_system_vgpr_workitem_id 0
		.amdhsa_next_free_vgpr 1
		.amdhsa_next_free_sgpr 0
		.amdhsa_accum_offset 4
		.amdhsa_reserve_vcc 0
		.amdhsa_reserve_flat_scratch 0
		.amdhsa_float_round_mode_32 0
		.amdhsa_float_round_mode_16_64 0
		.amdhsa_float_denorm_mode_32 3
		.amdhsa_float_denorm_mode_16_64 3
		.amdhsa_dx10_clamp 1
		.amdhsa_ieee_mode 1
		.amdhsa_fp16_overflow 0
		.amdhsa_tg_split 0
		.amdhsa_exception_fp_ieee_invalid_op 0
		.amdhsa_exception_fp_denorm_src 0
		.amdhsa_exception_fp_ieee_div_zero 0
		.amdhsa_exception_fp_ieee_overflow 0
		.amdhsa_exception_fp_ieee_underflow 0
		.amdhsa_exception_fp_ieee_inexact 0
		.amdhsa_exception_int_div_zero 0
	.end_amdhsa_kernel
	.section	.text._ZN7rocprim17ROCPRIM_400000_NS6detail17trampoline_kernelINS0_14default_configENS1_21merge_config_selectorItNS0_10empty_typeEEEZNS1_10merge_implIS3_N6thrust23THRUST_200600_302600_NS6detail15normal_iteratorINS9_10device_ptrIKtEEEESF_NS9_16discard_iteratorINS9_11use_defaultEEEPS5_SJ_SJ_NS9_4lessItEEEE10hipError_tPvRmT0_T1_T2_T3_T4_T5_mmT6_P12ihipStream_tbEUlT_E_NS1_11comp_targetILNS1_3genE0ELNS1_11target_archE4294967295ELNS1_3gpuE0ELNS1_3repE0EEENS1_30default_config_static_selectorELNS0_4arch9wavefront6targetE1EEEvSQ_,"axG",@progbits,_ZN7rocprim17ROCPRIM_400000_NS6detail17trampoline_kernelINS0_14default_configENS1_21merge_config_selectorItNS0_10empty_typeEEEZNS1_10merge_implIS3_N6thrust23THRUST_200600_302600_NS6detail15normal_iteratorINS9_10device_ptrIKtEEEESF_NS9_16discard_iteratorINS9_11use_defaultEEEPS5_SJ_SJ_NS9_4lessItEEEE10hipError_tPvRmT0_T1_T2_T3_T4_T5_mmT6_P12ihipStream_tbEUlT_E_NS1_11comp_targetILNS1_3genE0ELNS1_11target_archE4294967295ELNS1_3gpuE0ELNS1_3repE0EEENS1_30default_config_static_selectorELNS0_4arch9wavefront6targetE1EEEvSQ_,comdat
.Lfunc_end389:
	.size	_ZN7rocprim17ROCPRIM_400000_NS6detail17trampoline_kernelINS0_14default_configENS1_21merge_config_selectorItNS0_10empty_typeEEEZNS1_10merge_implIS3_N6thrust23THRUST_200600_302600_NS6detail15normal_iteratorINS9_10device_ptrIKtEEEESF_NS9_16discard_iteratorINS9_11use_defaultEEEPS5_SJ_SJ_NS9_4lessItEEEE10hipError_tPvRmT0_T1_T2_T3_T4_T5_mmT6_P12ihipStream_tbEUlT_E_NS1_11comp_targetILNS1_3genE0ELNS1_11target_archE4294967295ELNS1_3gpuE0ELNS1_3repE0EEENS1_30default_config_static_selectorELNS0_4arch9wavefront6targetE1EEEvSQ_, .Lfunc_end389-_ZN7rocprim17ROCPRIM_400000_NS6detail17trampoline_kernelINS0_14default_configENS1_21merge_config_selectorItNS0_10empty_typeEEEZNS1_10merge_implIS3_N6thrust23THRUST_200600_302600_NS6detail15normal_iteratorINS9_10device_ptrIKtEEEESF_NS9_16discard_iteratorINS9_11use_defaultEEEPS5_SJ_SJ_NS9_4lessItEEEE10hipError_tPvRmT0_T1_T2_T3_T4_T5_mmT6_P12ihipStream_tbEUlT_E_NS1_11comp_targetILNS1_3genE0ELNS1_11target_archE4294967295ELNS1_3gpuE0ELNS1_3repE0EEENS1_30default_config_static_selectorELNS0_4arch9wavefront6targetE1EEEvSQ_
                                        ; -- End function
	.section	.AMDGPU.csdata,"",@progbits
; Kernel info:
; codeLenInByte = 0
; NumSgprs: 4
; NumVgprs: 0
; NumAgprs: 0
; TotalNumVgprs: 0
; ScratchSize: 0
; MemoryBound: 0
; FloatMode: 240
; IeeeMode: 1
; LDSByteSize: 0 bytes/workgroup (compile time only)
; SGPRBlocks: 0
; VGPRBlocks: 0
; NumSGPRsForWavesPerEU: 4
; NumVGPRsForWavesPerEU: 1
; AccumOffset: 4
; Occupancy: 8
; WaveLimiterHint : 0
; COMPUTE_PGM_RSRC2:SCRATCH_EN: 0
; COMPUTE_PGM_RSRC2:USER_SGPR: 6
; COMPUTE_PGM_RSRC2:TRAP_HANDLER: 0
; COMPUTE_PGM_RSRC2:TGID_X_EN: 1
; COMPUTE_PGM_RSRC2:TGID_Y_EN: 0
; COMPUTE_PGM_RSRC2:TGID_Z_EN: 0
; COMPUTE_PGM_RSRC2:TIDIG_COMP_CNT: 0
; COMPUTE_PGM_RSRC3_GFX90A:ACCUM_OFFSET: 0
; COMPUTE_PGM_RSRC3_GFX90A:TG_SPLIT: 0
	.section	.text._ZN7rocprim17ROCPRIM_400000_NS6detail17trampoline_kernelINS0_14default_configENS1_21merge_config_selectorItNS0_10empty_typeEEEZNS1_10merge_implIS3_N6thrust23THRUST_200600_302600_NS6detail15normal_iteratorINS9_10device_ptrIKtEEEESF_NS9_16discard_iteratorINS9_11use_defaultEEEPS5_SJ_SJ_NS9_4lessItEEEE10hipError_tPvRmT0_T1_T2_T3_T4_T5_mmT6_P12ihipStream_tbEUlT_E_NS1_11comp_targetILNS1_3genE5ELNS1_11target_archE942ELNS1_3gpuE9ELNS1_3repE0EEENS1_30default_config_static_selectorELNS0_4arch9wavefront6targetE1EEEvSQ_,"axG",@progbits,_ZN7rocprim17ROCPRIM_400000_NS6detail17trampoline_kernelINS0_14default_configENS1_21merge_config_selectorItNS0_10empty_typeEEEZNS1_10merge_implIS3_N6thrust23THRUST_200600_302600_NS6detail15normal_iteratorINS9_10device_ptrIKtEEEESF_NS9_16discard_iteratorINS9_11use_defaultEEEPS5_SJ_SJ_NS9_4lessItEEEE10hipError_tPvRmT0_T1_T2_T3_T4_T5_mmT6_P12ihipStream_tbEUlT_E_NS1_11comp_targetILNS1_3genE5ELNS1_11target_archE942ELNS1_3gpuE9ELNS1_3repE0EEENS1_30default_config_static_selectorELNS0_4arch9wavefront6targetE1EEEvSQ_,comdat
	.protected	_ZN7rocprim17ROCPRIM_400000_NS6detail17trampoline_kernelINS0_14default_configENS1_21merge_config_selectorItNS0_10empty_typeEEEZNS1_10merge_implIS3_N6thrust23THRUST_200600_302600_NS6detail15normal_iteratorINS9_10device_ptrIKtEEEESF_NS9_16discard_iteratorINS9_11use_defaultEEEPS5_SJ_SJ_NS9_4lessItEEEE10hipError_tPvRmT0_T1_T2_T3_T4_T5_mmT6_P12ihipStream_tbEUlT_E_NS1_11comp_targetILNS1_3genE5ELNS1_11target_archE942ELNS1_3gpuE9ELNS1_3repE0EEENS1_30default_config_static_selectorELNS0_4arch9wavefront6targetE1EEEvSQ_ ; -- Begin function _ZN7rocprim17ROCPRIM_400000_NS6detail17trampoline_kernelINS0_14default_configENS1_21merge_config_selectorItNS0_10empty_typeEEEZNS1_10merge_implIS3_N6thrust23THRUST_200600_302600_NS6detail15normal_iteratorINS9_10device_ptrIKtEEEESF_NS9_16discard_iteratorINS9_11use_defaultEEEPS5_SJ_SJ_NS9_4lessItEEEE10hipError_tPvRmT0_T1_T2_T3_T4_T5_mmT6_P12ihipStream_tbEUlT_E_NS1_11comp_targetILNS1_3genE5ELNS1_11target_archE942ELNS1_3gpuE9ELNS1_3repE0EEENS1_30default_config_static_selectorELNS0_4arch9wavefront6targetE1EEEvSQ_
	.globl	_ZN7rocprim17ROCPRIM_400000_NS6detail17trampoline_kernelINS0_14default_configENS1_21merge_config_selectorItNS0_10empty_typeEEEZNS1_10merge_implIS3_N6thrust23THRUST_200600_302600_NS6detail15normal_iteratorINS9_10device_ptrIKtEEEESF_NS9_16discard_iteratorINS9_11use_defaultEEEPS5_SJ_SJ_NS9_4lessItEEEE10hipError_tPvRmT0_T1_T2_T3_T4_T5_mmT6_P12ihipStream_tbEUlT_E_NS1_11comp_targetILNS1_3genE5ELNS1_11target_archE942ELNS1_3gpuE9ELNS1_3repE0EEENS1_30default_config_static_selectorELNS0_4arch9wavefront6targetE1EEEvSQ_
	.p2align	8
	.type	_ZN7rocprim17ROCPRIM_400000_NS6detail17trampoline_kernelINS0_14default_configENS1_21merge_config_selectorItNS0_10empty_typeEEEZNS1_10merge_implIS3_N6thrust23THRUST_200600_302600_NS6detail15normal_iteratorINS9_10device_ptrIKtEEEESF_NS9_16discard_iteratorINS9_11use_defaultEEEPS5_SJ_SJ_NS9_4lessItEEEE10hipError_tPvRmT0_T1_T2_T3_T4_T5_mmT6_P12ihipStream_tbEUlT_E_NS1_11comp_targetILNS1_3genE5ELNS1_11target_archE942ELNS1_3gpuE9ELNS1_3repE0EEENS1_30default_config_static_selectorELNS0_4arch9wavefront6targetE1EEEvSQ_,@function
_ZN7rocprim17ROCPRIM_400000_NS6detail17trampoline_kernelINS0_14default_configENS1_21merge_config_selectorItNS0_10empty_typeEEEZNS1_10merge_implIS3_N6thrust23THRUST_200600_302600_NS6detail15normal_iteratorINS9_10device_ptrIKtEEEESF_NS9_16discard_iteratorINS9_11use_defaultEEEPS5_SJ_SJ_NS9_4lessItEEEE10hipError_tPvRmT0_T1_T2_T3_T4_T5_mmT6_P12ihipStream_tbEUlT_E_NS1_11comp_targetILNS1_3genE5ELNS1_11target_archE942ELNS1_3gpuE9ELNS1_3repE0EEENS1_30default_config_static_selectorELNS0_4arch9wavefront6targetE1EEEvSQ_: ; @_ZN7rocprim17ROCPRIM_400000_NS6detail17trampoline_kernelINS0_14default_configENS1_21merge_config_selectorItNS0_10empty_typeEEEZNS1_10merge_implIS3_N6thrust23THRUST_200600_302600_NS6detail15normal_iteratorINS9_10device_ptrIKtEEEESF_NS9_16discard_iteratorINS9_11use_defaultEEEPS5_SJ_SJ_NS9_4lessItEEEE10hipError_tPvRmT0_T1_T2_T3_T4_T5_mmT6_P12ihipStream_tbEUlT_E_NS1_11comp_targetILNS1_3genE5ELNS1_11target_archE942ELNS1_3gpuE9ELNS1_3repE0EEENS1_30default_config_static_selectorELNS0_4arch9wavefront6targetE1EEEvSQ_
; %bb.0:
	.section	.rodata,"a",@progbits
	.p2align	6, 0x0
	.amdhsa_kernel _ZN7rocprim17ROCPRIM_400000_NS6detail17trampoline_kernelINS0_14default_configENS1_21merge_config_selectorItNS0_10empty_typeEEEZNS1_10merge_implIS3_N6thrust23THRUST_200600_302600_NS6detail15normal_iteratorINS9_10device_ptrIKtEEEESF_NS9_16discard_iteratorINS9_11use_defaultEEEPS5_SJ_SJ_NS9_4lessItEEEE10hipError_tPvRmT0_T1_T2_T3_T4_T5_mmT6_P12ihipStream_tbEUlT_E_NS1_11comp_targetILNS1_3genE5ELNS1_11target_archE942ELNS1_3gpuE9ELNS1_3repE0EEENS1_30default_config_static_selectorELNS0_4arch9wavefront6targetE1EEEvSQ_
		.amdhsa_group_segment_fixed_size 0
		.amdhsa_private_segment_fixed_size 0
		.amdhsa_kernarg_size 48
		.amdhsa_user_sgpr_count 6
		.amdhsa_user_sgpr_private_segment_buffer 1
		.amdhsa_user_sgpr_dispatch_ptr 0
		.amdhsa_user_sgpr_queue_ptr 0
		.amdhsa_user_sgpr_kernarg_segment_ptr 1
		.amdhsa_user_sgpr_dispatch_id 0
		.amdhsa_user_sgpr_flat_scratch_init 0
		.amdhsa_user_sgpr_kernarg_preload_length 0
		.amdhsa_user_sgpr_kernarg_preload_offset 0
		.amdhsa_user_sgpr_private_segment_size 0
		.amdhsa_uses_dynamic_stack 0
		.amdhsa_system_sgpr_private_segment_wavefront_offset 0
		.amdhsa_system_sgpr_workgroup_id_x 1
		.amdhsa_system_sgpr_workgroup_id_y 0
		.amdhsa_system_sgpr_workgroup_id_z 0
		.amdhsa_system_sgpr_workgroup_info 0
		.amdhsa_system_vgpr_workitem_id 0
		.amdhsa_next_free_vgpr 1
		.amdhsa_next_free_sgpr 0
		.amdhsa_accum_offset 4
		.amdhsa_reserve_vcc 0
		.amdhsa_reserve_flat_scratch 0
		.amdhsa_float_round_mode_32 0
		.amdhsa_float_round_mode_16_64 0
		.amdhsa_float_denorm_mode_32 3
		.amdhsa_float_denorm_mode_16_64 3
		.amdhsa_dx10_clamp 1
		.amdhsa_ieee_mode 1
		.amdhsa_fp16_overflow 0
		.amdhsa_tg_split 0
		.amdhsa_exception_fp_ieee_invalid_op 0
		.amdhsa_exception_fp_denorm_src 0
		.amdhsa_exception_fp_ieee_div_zero 0
		.amdhsa_exception_fp_ieee_overflow 0
		.amdhsa_exception_fp_ieee_underflow 0
		.amdhsa_exception_fp_ieee_inexact 0
		.amdhsa_exception_int_div_zero 0
	.end_amdhsa_kernel
	.section	.text._ZN7rocprim17ROCPRIM_400000_NS6detail17trampoline_kernelINS0_14default_configENS1_21merge_config_selectorItNS0_10empty_typeEEEZNS1_10merge_implIS3_N6thrust23THRUST_200600_302600_NS6detail15normal_iteratorINS9_10device_ptrIKtEEEESF_NS9_16discard_iteratorINS9_11use_defaultEEEPS5_SJ_SJ_NS9_4lessItEEEE10hipError_tPvRmT0_T1_T2_T3_T4_T5_mmT6_P12ihipStream_tbEUlT_E_NS1_11comp_targetILNS1_3genE5ELNS1_11target_archE942ELNS1_3gpuE9ELNS1_3repE0EEENS1_30default_config_static_selectorELNS0_4arch9wavefront6targetE1EEEvSQ_,"axG",@progbits,_ZN7rocprim17ROCPRIM_400000_NS6detail17trampoline_kernelINS0_14default_configENS1_21merge_config_selectorItNS0_10empty_typeEEEZNS1_10merge_implIS3_N6thrust23THRUST_200600_302600_NS6detail15normal_iteratorINS9_10device_ptrIKtEEEESF_NS9_16discard_iteratorINS9_11use_defaultEEEPS5_SJ_SJ_NS9_4lessItEEEE10hipError_tPvRmT0_T1_T2_T3_T4_T5_mmT6_P12ihipStream_tbEUlT_E_NS1_11comp_targetILNS1_3genE5ELNS1_11target_archE942ELNS1_3gpuE9ELNS1_3repE0EEENS1_30default_config_static_selectorELNS0_4arch9wavefront6targetE1EEEvSQ_,comdat
.Lfunc_end390:
	.size	_ZN7rocprim17ROCPRIM_400000_NS6detail17trampoline_kernelINS0_14default_configENS1_21merge_config_selectorItNS0_10empty_typeEEEZNS1_10merge_implIS3_N6thrust23THRUST_200600_302600_NS6detail15normal_iteratorINS9_10device_ptrIKtEEEESF_NS9_16discard_iteratorINS9_11use_defaultEEEPS5_SJ_SJ_NS9_4lessItEEEE10hipError_tPvRmT0_T1_T2_T3_T4_T5_mmT6_P12ihipStream_tbEUlT_E_NS1_11comp_targetILNS1_3genE5ELNS1_11target_archE942ELNS1_3gpuE9ELNS1_3repE0EEENS1_30default_config_static_selectorELNS0_4arch9wavefront6targetE1EEEvSQ_, .Lfunc_end390-_ZN7rocprim17ROCPRIM_400000_NS6detail17trampoline_kernelINS0_14default_configENS1_21merge_config_selectorItNS0_10empty_typeEEEZNS1_10merge_implIS3_N6thrust23THRUST_200600_302600_NS6detail15normal_iteratorINS9_10device_ptrIKtEEEESF_NS9_16discard_iteratorINS9_11use_defaultEEEPS5_SJ_SJ_NS9_4lessItEEEE10hipError_tPvRmT0_T1_T2_T3_T4_T5_mmT6_P12ihipStream_tbEUlT_E_NS1_11comp_targetILNS1_3genE5ELNS1_11target_archE942ELNS1_3gpuE9ELNS1_3repE0EEENS1_30default_config_static_selectorELNS0_4arch9wavefront6targetE1EEEvSQ_
                                        ; -- End function
	.section	.AMDGPU.csdata,"",@progbits
; Kernel info:
; codeLenInByte = 0
; NumSgprs: 4
; NumVgprs: 0
; NumAgprs: 0
; TotalNumVgprs: 0
; ScratchSize: 0
; MemoryBound: 0
; FloatMode: 240
; IeeeMode: 1
; LDSByteSize: 0 bytes/workgroup (compile time only)
; SGPRBlocks: 0
; VGPRBlocks: 0
; NumSGPRsForWavesPerEU: 4
; NumVGPRsForWavesPerEU: 1
; AccumOffset: 4
; Occupancy: 8
; WaveLimiterHint : 0
; COMPUTE_PGM_RSRC2:SCRATCH_EN: 0
; COMPUTE_PGM_RSRC2:USER_SGPR: 6
; COMPUTE_PGM_RSRC2:TRAP_HANDLER: 0
; COMPUTE_PGM_RSRC2:TGID_X_EN: 1
; COMPUTE_PGM_RSRC2:TGID_Y_EN: 0
; COMPUTE_PGM_RSRC2:TGID_Z_EN: 0
; COMPUTE_PGM_RSRC2:TIDIG_COMP_CNT: 0
; COMPUTE_PGM_RSRC3_GFX90A:ACCUM_OFFSET: 0
; COMPUTE_PGM_RSRC3_GFX90A:TG_SPLIT: 0
	.section	.text._ZN7rocprim17ROCPRIM_400000_NS6detail17trampoline_kernelINS0_14default_configENS1_21merge_config_selectorItNS0_10empty_typeEEEZNS1_10merge_implIS3_N6thrust23THRUST_200600_302600_NS6detail15normal_iteratorINS9_10device_ptrIKtEEEESF_NS9_16discard_iteratorINS9_11use_defaultEEEPS5_SJ_SJ_NS9_4lessItEEEE10hipError_tPvRmT0_T1_T2_T3_T4_T5_mmT6_P12ihipStream_tbEUlT_E_NS1_11comp_targetILNS1_3genE4ELNS1_11target_archE910ELNS1_3gpuE8ELNS1_3repE0EEENS1_30default_config_static_selectorELNS0_4arch9wavefront6targetE1EEEvSQ_,"axG",@progbits,_ZN7rocprim17ROCPRIM_400000_NS6detail17trampoline_kernelINS0_14default_configENS1_21merge_config_selectorItNS0_10empty_typeEEEZNS1_10merge_implIS3_N6thrust23THRUST_200600_302600_NS6detail15normal_iteratorINS9_10device_ptrIKtEEEESF_NS9_16discard_iteratorINS9_11use_defaultEEEPS5_SJ_SJ_NS9_4lessItEEEE10hipError_tPvRmT0_T1_T2_T3_T4_T5_mmT6_P12ihipStream_tbEUlT_E_NS1_11comp_targetILNS1_3genE4ELNS1_11target_archE910ELNS1_3gpuE8ELNS1_3repE0EEENS1_30default_config_static_selectorELNS0_4arch9wavefront6targetE1EEEvSQ_,comdat
	.protected	_ZN7rocprim17ROCPRIM_400000_NS6detail17trampoline_kernelINS0_14default_configENS1_21merge_config_selectorItNS0_10empty_typeEEEZNS1_10merge_implIS3_N6thrust23THRUST_200600_302600_NS6detail15normal_iteratorINS9_10device_ptrIKtEEEESF_NS9_16discard_iteratorINS9_11use_defaultEEEPS5_SJ_SJ_NS9_4lessItEEEE10hipError_tPvRmT0_T1_T2_T3_T4_T5_mmT6_P12ihipStream_tbEUlT_E_NS1_11comp_targetILNS1_3genE4ELNS1_11target_archE910ELNS1_3gpuE8ELNS1_3repE0EEENS1_30default_config_static_selectorELNS0_4arch9wavefront6targetE1EEEvSQ_ ; -- Begin function _ZN7rocprim17ROCPRIM_400000_NS6detail17trampoline_kernelINS0_14default_configENS1_21merge_config_selectorItNS0_10empty_typeEEEZNS1_10merge_implIS3_N6thrust23THRUST_200600_302600_NS6detail15normal_iteratorINS9_10device_ptrIKtEEEESF_NS9_16discard_iteratorINS9_11use_defaultEEEPS5_SJ_SJ_NS9_4lessItEEEE10hipError_tPvRmT0_T1_T2_T3_T4_T5_mmT6_P12ihipStream_tbEUlT_E_NS1_11comp_targetILNS1_3genE4ELNS1_11target_archE910ELNS1_3gpuE8ELNS1_3repE0EEENS1_30default_config_static_selectorELNS0_4arch9wavefront6targetE1EEEvSQ_
	.globl	_ZN7rocprim17ROCPRIM_400000_NS6detail17trampoline_kernelINS0_14default_configENS1_21merge_config_selectorItNS0_10empty_typeEEEZNS1_10merge_implIS3_N6thrust23THRUST_200600_302600_NS6detail15normal_iteratorINS9_10device_ptrIKtEEEESF_NS9_16discard_iteratorINS9_11use_defaultEEEPS5_SJ_SJ_NS9_4lessItEEEE10hipError_tPvRmT0_T1_T2_T3_T4_T5_mmT6_P12ihipStream_tbEUlT_E_NS1_11comp_targetILNS1_3genE4ELNS1_11target_archE910ELNS1_3gpuE8ELNS1_3repE0EEENS1_30default_config_static_selectorELNS0_4arch9wavefront6targetE1EEEvSQ_
	.p2align	8
	.type	_ZN7rocprim17ROCPRIM_400000_NS6detail17trampoline_kernelINS0_14default_configENS1_21merge_config_selectorItNS0_10empty_typeEEEZNS1_10merge_implIS3_N6thrust23THRUST_200600_302600_NS6detail15normal_iteratorINS9_10device_ptrIKtEEEESF_NS9_16discard_iteratorINS9_11use_defaultEEEPS5_SJ_SJ_NS9_4lessItEEEE10hipError_tPvRmT0_T1_T2_T3_T4_T5_mmT6_P12ihipStream_tbEUlT_E_NS1_11comp_targetILNS1_3genE4ELNS1_11target_archE910ELNS1_3gpuE8ELNS1_3repE0EEENS1_30default_config_static_selectorELNS0_4arch9wavefront6targetE1EEEvSQ_,@function
_ZN7rocprim17ROCPRIM_400000_NS6detail17trampoline_kernelINS0_14default_configENS1_21merge_config_selectorItNS0_10empty_typeEEEZNS1_10merge_implIS3_N6thrust23THRUST_200600_302600_NS6detail15normal_iteratorINS9_10device_ptrIKtEEEESF_NS9_16discard_iteratorINS9_11use_defaultEEEPS5_SJ_SJ_NS9_4lessItEEEE10hipError_tPvRmT0_T1_T2_T3_T4_T5_mmT6_P12ihipStream_tbEUlT_E_NS1_11comp_targetILNS1_3genE4ELNS1_11target_archE910ELNS1_3gpuE8ELNS1_3repE0EEENS1_30default_config_static_selectorELNS0_4arch9wavefront6targetE1EEEvSQ_: ; @_ZN7rocprim17ROCPRIM_400000_NS6detail17trampoline_kernelINS0_14default_configENS1_21merge_config_selectorItNS0_10empty_typeEEEZNS1_10merge_implIS3_N6thrust23THRUST_200600_302600_NS6detail15normal_iteratorINS9_10device_ptrIKtEEEESF_NS9_16discard_iteratorINS9_11use_defaultEEEPS5_SJ_SJ_NS9_4lessItEEEE10hipError_tPvRmT0_T1_T2_T3_T4_T5_mmT6_P12ihipStream_tbEUlT_E_NS1_11comp_targetILNS1_3genE4ELNS1_11target_archE910ELNS1_3gpuE8ELNS1_3repE0EEENS1_30default_config_static_selectorELNS0_4arch9wavefront6targetE1EEEvSQ_
; %bb.0:
	s_load_dword s7, s[4:5], 0x28
	s_load_dword s0, s[4:5], 0x3c
	s_load_dwordx4 s[8:11], s[4:5], 0x18
	s_waitcnt lgkmcnt(0)
	v_cvt_f32_u32_e32 v1, s7
	s_and_b32 s0, s0, 0xffff
	s_add_u32 s12, s10, s8
	s_addc_u32 s13, s11, s9
	v_rcp_iflag_f32_e32 v1, v1
	s_sub_i32 s1, 0, s7
	s_mul_i32 s6, s6, s0
	s_add_i32 s0, s7, s12
	v_mul_f32_e32 v1, 0x4f7ffffe, v1
	v_cvt_u32_f32_e32 v1, v1
	s_add_i32 s0, s0, -1
	v_add_u32_e32 v0, s6, v0
	v_readfirstlane_b32 s2, v1
	s_mul_i32 s1, s1, s2
	s_mul_hi_u32 s1, s2, s1
	s_add_i32 s2, s2, s1
	s_mul_hi_u32 s1, s0, s2
	s_mul_i32 s2, s1, s7
	s_sub_i32 s0, s0, s2
	s_add_i32 s3, s1, 1
	s_sub_i32 s2, s0, s7
	s_cmp_ge_u32 s0, s7
	s_cselect_b32 s1, s3, s1
	s_cselect_b32 s0, s2, s0
	s_add_i32 s2, s1, 1
	s_cmp_ge_u32 s0, s7
	s_cselect_b32 s0, s2, s1
	v_cmp_ge_u32_e32 vcc, s0, v0
	s_and_saveexec_b64 s[0:1], vcc
	s_cbranch_execz .LBB391_6
; %bb.1:
	v_mul_lo_u32 v2, v0, s7
	v_mov_b32_e32 v3, 0
	v_mov_b32_e32 v1, s13
	v_cmp_gt_u64_e32 vcc, s[12:13], v[2:3]
	v_cndmask_b32_e64 v7, v1, 0, vcc
	v_mov_b32_e32 v1, s12
	v_cndmask_b32_e32 v6, v1, v2, vcc
	v_mov_b32_e32 v1, s11
	v_subrev_co_u32_e32 v2, vcc, s10, v6
	v_subb_co_u32_e32 v3, vcc, v7, v1, vcc
	s_load_dwordx4 s[0:3], s[4:5], 0x0
	v_cmp_gt_u64_e32 vcc, v[2:3], v[6:7]
	v_cndmask_b32_e64 v3, v3, 0, vcc
	v_cndmask_b32_e64 v2, v2, 0, vcc
	v_mov_b32_e32 v1, s9
	v_cmp_gt_u64_e32 vcc, s[8:9], v[6:7]
	v_cndmask_b32_e32 v5, v1, v7, vcc
	v_mov_b32_e32 v1, s8
	v_cndmask_b32_e32 v4, v1, v6, vcc
	v_cmp_lt_u64_e32 vcc, v[2:3], v[4:5]
	s_and_saveexec_b64 s[6:7], vcc
	s_cbranch_execz .LBB391_5
; %bb.2:
	s_load_dwordx2 s[4:5], s[4:5], 0x10
	v_lshlrev_b64 v[6:7], 1, v[6:7]
	s_waitcnt lgkmcnt(0)
	v_mov_b32_e32 v8, s5
	v_add_co_u32_e32 v1, vcc, s4, v6
	v_addc_co_u32_e32 v6, vcc, v8, v7, vcc
	s_mov_b64 s[4:5], 0
	v_mov_b32_e32 v7, s3
.LBB391_3:                              ; =>This Inner Loop Header: Depth=1
	v_add_co_u32_e32 v8, vcc, v4, v2
	v_addc_co_u32_e32 v9, vcc, v5, v3, vcc
	v_lshrrev_b64 v[10:11], 1, v[8:9]
	v_and_b32_e32 v8, -2, v8
	v_add_co_u32_e32 v8, vcc, s2, v8
	v_not_b32_e32 v13, v11
	v_not_b32_e32 v12, v10
	v_addc_co_u32_e32 v9, vcc, v7, v9, vcc
	global_load_ushort v14, v[8:9], off
	v_lshlrev_b64 v[8:9], 1, v[12:13]
	v_add_co_u32_e32 v8, vcc, v1, v8
	v_addc_co_u32_e32 v9, vcc, v6, v9, vcc
	global_load_ushort v8, v[8:9], off
	v_add_co_u32_e32 v9, vcc, 1, v10
	v_addc_co_u32_e32 v12, vcc, 0, v11, vcc
	s_waitcnt vmcnt(0)
	v_cmp_lt_u16_e32 vcc, v8, v14
	v_cndmask_b32_e32 v5, v5, v11, vcc
	v_cndmask_b32_e32 v4, v4, v10, vcc
	v_cndmask_b32_e32 v3, v12, v3, vcc
	v_cndmask_b32_e32 v2, v9, v2, vcc
	v_cmp_ge_u64_e32 vcc, v[2:3], v[4:5]
	s_or_b64 s[4:5], vcc, s[4:5]
	s_andn2_b64 exec, exec, s[4:5]
	s_cbranch_execnz .LBB391_3
; %bb.4:
	s_or_b64 exec, exec, s[4:5]
.LBB391_5:
	s_or_b64 exec, exec, s[6:7]
	v_mov_b32_e32 v1, 0
	v_lshlrev_b64 v[0:1], 2, v[0:1]
	s_waitcnt lgkmcnt(0)
	v_mov_b32_e32 v3, s1
	v_add_co_u32_e32 v0, vcc, s0, v0
	v_addc_co_u32_e32 v1, vcc, v3, v1, vcc
	global_store_dword v[0:1], v2, off
.LBB391_6:
	s_endpgm
	.section	.rodata,"a",@progbits
	.p2align	6, 0x0
	.amdhsa_kernel _ZN7rocprim17ROCPRIM_400000_NS6detail17trampoline_kernelINS0_14default_configENS1_21merge_config_selectorItNS0_10empty_typeEEEZNS1_10merge_implIS3_N6thrust23THRUST_200600_302600_NS6detail15normal_iteratorINS9_10device_ptrIKtEEEESF_NS9_16discard_iteratorINS9_11use_defaultEEEPS5_SJ_SJ_NS9_4lessItEEEE10hipError_tPvRmT0_T1_T2_T3_T4_T5_mmT6_P12ihipStream_tbEUlT_E_NS1_11comp_targetILNS1_3genE4ELNS1_11target_archE910ELNS1_3gpuE8ELNS1_3repE0EEENS1_30default_config_static_selectorELNS0_4arch9wavefront6targetE1EEEvSQ_
		.amdhsa_group_segment_fixed_size 0
		.amdhsa_private_segment_fixed_size 0
		.amdhsa_kernarg_size 304
		.amdhsa_user_sgpr_count 6
		.amdhsa_user_sgpr_private_segment_buffer 1
		.amdhsa_user_sgpr_dispatch_ptr 0
		.amdhsa_user_sgpr_queue_ptr 0
		.amdhsa_user_sgpr_kernarg_segment_ptr 1
		.amdhsa_user_sgpr_dispatch_id 0
		.amdhsa_user_sgpr_flat_scratch_init 0
		.amdhsa_user_sgpr_kernarg_preload_length 0
		.amdhsa_user_sgpr_kernarg_preload_offset 0
		.amdhsa_user_sgpr_private_segment_size 0
		.amdhsa_uses_dynamic_stack 0
		.amdhsa_system_sgpr_private_segment_wavefront_offset 0
		.amdhsa_system_sgpr_workgroup_id_x 1
		.amdhsa_system_sgpr_workgroup_id_y 0
		.amdhsa_system_sgpr_workgroup_id_z 0
		.amdhsa_system_sgpr_workgroup_info 0
		.amdhsa_system_vgpr_workitem_id 0
		.amdhsa_next_free_vgpr 15
		.amdhsa_next_free_sgpr 14
		.amdhsa_accum_offset 16
		.amdhsa_reserve_vcc 1
		.amdhsa_reserve_flat_scratch 0
		.amdhsa_float_round_mode_32 0
		.amdhsa_float_round_mode_16_64 0
		.amdhsa_float_denorm_mode_32 3
		.amdhsa_float_denorm_mode_16_64 3
		.amdhsa_dx10_clamp 1
		.amdhsa_ieee_mode 1
		.amdhsa_fp16_overflow 0
		.amdhsa_tg_split 0
		.amdhsa_exception_fp_ieee_invalid_op 0
		.amdhsa_exception_fp_denorm_src 0
		.amdhsa_exception_fp_ieee_div_zero 0
		.amdhsa_exception_fp_ieee_overflow 0
		.amdhsa_exception_fp_ieee_underflow 0
		.amdhsa_exception_fp_ieee_inexact 0
		.amdhsa_exception_int_div_zero 0
	.end_amdhsa_kernel
	.section	.text._ZN7rocprim17ROCPRIM_400000_NS6detail17trampoline_kernelINS0_14default_configENS1_21merge_config_selectorItNS0_10empty_typeEEEZNS1_10merge_implIS3_N6thrust23THRUST_200600_302600_NS6detail15normal_iteratorINS9_10device_ptrIKtEEEESF_NS9_16discard_iteratorINS9_11use_defaultEEEPS5_SJ_SJ_NS9_4lessItEEEE10hipError_tPvRmT0_T1_T2_T3_T4_T5_mmT6_P12ihipStream_tbEUlT_E_NS1_11comp_targetILNS1_3genE4ELNS1_11target_archE910ELNS1_3gpuE8ELNS1_3repE0EEENS1_30default_config_static_selectorELNS0_4arch9wavefront6targetE1EEEvSQ_,"axG",@progbits,_ZN7rocprim17ROCPRIM_400000_NS6detail17trampoline_kernelINS0_14default_configENS1_21merge_config_selectorItNS0_10empty_typeEEEZNS1_10merge_implIS3_N6thrust23THRUST_200600_302600_NS6detail15normal_iteratorINS9_10device_ptrIKtEEEESF_NS9_16discard_iteratorINS9_11use_defaultEEEPS5_SJ_SJ_NS9_4lessItEEEE10hipError_tPvRmT0_T1_T2_T3_T4_T5_mmT6_P12ihipStream_tbEUlT_E_NS1_11comp_targetILNS1_3genE4ELNS1_11target_archE910ELNS1_3gpuE8ELNS1_3repE0EEENS1_30default_config_static_selectorELNS0_4arch9wavefront6targetE1EEEvSQ_,comdat
.Lfunc_end391:
	.size	_ZN7rocprim17ROCPRIM_400000_NS6detail17trampoline_kernelINS0_14default_configENS1_21merge_config_selectorItNS0_10empty_typeEEEZNS1_10merge_implIS3_N6thrust23THRUST_200600_302600_NS6detail15normal_iteratorINS9_10device_ptrIKtEEEESF_NS9_16discard_iteratorINS9_11use_defaultEEEPS5_SJ_SJ_NS9_4lessItEEEE10hipError_tPvRmT0_T1_T2_T3_T4_T5_mmT6_P12ihipStream_tbEUlT_E_NS1_11comp_targetILNS1_3genE4ELNS1_11target_archE910ELNS1_3gpuE8ELNS1_3repE0EEENS1_30default_config_static_selectorELNS0_4arch9wavefront6targetE1EEEvSQ_, .Lfunc_end391-_ZN7rocprim17ROCPRIM_400000_NS6detail17trampoline_kernelINS0_14default_configENS1_21merge_config_selectorItNS0_10empty_typeEEEZNS1_10merge_implIS3_N6thrust23THRUST_200600_302600_NS6detail15normal_iteratorINS9_10device_ptrIKtEEEESF_NS9_16discard_iteratorINS9_11use_defaultEEEPS5_SJ_SJ_NS9_4lessItEEEE10hipError_tPvRmT0_T1_T2_T3_T4_T5_mmT6_P12ihipStream_tbEUlT_E_NS1_11comp_targetILNS1_3genE4ELNS1_11target_archE910ELNS1_3gpuE8ELNS1_3repE0EEENS1_30default_config_static_selectorELNS0_4arch9wavefront6targetE1EEEvSQ_
                                        ; -- End function
	.section	.AMDGPU.csdata,"",@progbits
; Kernel info:
; codeLenInByte = 468
; NumSgprs: 18
; NumVgprs: 15
; NumAgprs: 0
; TotalNumVgprs: 15
; ScratchSize: 0
; MemoryBound: 0
; FloatMode: 240
; IeeeMode: 1
; LDSByteSize: 0 bytes/workgroup (compile time only)
; SGPRBlocks: 2
; VGPRBlocks: 1
; NumSGPRsForWavesPerEU: 18
; NumVGPRsForWavesPerEU: 15
; AccumOffset: 16
; Occupancy: 8
; WaveLimiterHint : 0
; COMPUTE_PGM_RSRC2:SCRATCH_EN: 0
; COMPUTE_PGM_RSRC2:USER_SGPR: 6
; COMPUTE_PGM_RSRC2:TRAP_HANDLER: 0
; COMPUTE_PGM_RSRC2:TGID_X_EN: 1
; COMPUTE_PGM_RSRC2:TGID_Y_EN: 0
; COMPUTE_PGM_RSRC2:TGID_Z_EN: 0
; COMPUTE_PGM_RSRC2:TIDIG_COMP_CNT: 0
; COMPUTE_PGM_RSRC3_GFX90A:ACCUM_OFFSET: 3
; COMPUTE_PGM_RSRC3_GFX90A:TG_SPLIT: 0
	.section	.text._ZN7rocprim17ROCPRIM_400000_NS6detail17trampoline_kernelINS0_14default_configENS1_21merge_config_selectorItNS0_10empty_typeEEEZNS1_10merge_implIS3_N6thrust23THRUST_200600_302600_NS6detail15normal_iteratorINS9_10device_ptrIKtEEEESF_NS9_16discard_iteratorINS9_11use_defaultEEEPS5_SJ_SJ_NS9_4lessItEEEE10hipError_tPvRmT0_T1_T2_T3_T4_T5_mmT6_P12ihipStream_tbEUlT_E_NS1_11comp_targetILNS1_3genE3ELNS1_11target_archE908ELNS1_3gpuE7ELNS1_3repE0EEENS1_30default_config_static_selectorELNS0_4arch9wavefront6targetE1EEEvSQ_,"axG",@progbits,_ZN7rocprim17ROCPRIM_400000_NS6detail17trampoline_kernelINS0_14default_configENS1_21merge_config_selectorItNS0_10empty_typeEEEZNS1_10merge_implIS3_N6thrust23THRUST_200600_302600_NS6detail15normal_iteratorINS9_10device_ptrIKtEEEESF_NS9_16discard_iteratorINS9_11use_defaultEEEPS5_SJ_SJ_NS9_4lessItEEEE10hipError_tPvRmT0_T1_T2_T3_T4_T5_mmT6_P12ihipStream_tbEUlT_E_NS1_11comp_targetILNS1_3genE3ELNS1_11target_archE908ELNS1_3gpuE7ELNS1_3repE0EEENS1_30default_config_static_selectorELNS0_4arch9wavefront6targetE1EEEvSQ_,comdat
	.protected	_ZN7rocprim17ROCPRIM_400000_NS6detail17trampoline_kernelINS0_14default_configENS1_21merge_config_selectorItNS0_10empty_typeEEEZNS1_10merge_implIS3_N6thrust23THRUST_200600_302600_NS6detail15normal_iteratorINS9_10device_ptrIKtEEEESF_NS9_16discard_iteratorINS9_11use_defaultEEEPS5_SJ_SJ_NS9_4lessItEEEE10hipError_tPvRmT0_T1_T2_T3_T4_T5_mmT6_P12ihipStream_tbEUlT_E_NS1_11comp_targetILNS1_3genE3ELNS1_11target_archE908ELNS1_3gpuE7ELNS1_3repE0EEENS1_30default_config_static_selectorELNS0_4arch9wavefront6targetE1EEEvSQ_ ; -- Begin function _ZN7rocprim17ROCPRIM_400000_NS6detail17trampoline_kernelINS0_14default_configENS1_21merge_config_selectorItNS0_10empty_typeEEEZNS1_10merge_implIS3_N6thrust23THRUST_200600_302600_NS6detail15normal_iteratorINS9_10device_ptrIKtEEEESF_NS9_16discard_iteratorINS9_11use_defaultEEEPS5_SJ_SJ_NS9_4lessItEEEE10hipError_tPvRmT0_T1_T2_T3_T4_T5_mmT6_P12ihipStream_tbEUlT_E_NS1_11comp_targetILNS1_3genE3ELNS1_11target_archE908ELNS1_3gpuE7ELNS1_3repE0EEENS1_30default_config_static_selectorELNS0_4arch9wavefront6targetE1EEEvSQ_
	.globl	_ZN7rocprim17ROCPRIM_400000_NS6detail17trampoline_kernelINS0_14default_configENS1_21merge_config_selectorItNS0_10empty_typeEEEZNS1_10merge_implIS3_N6thrust23THRUST_200600_302600_NS6detail15normal_iteratorINS9_10device_ptrIKtEEEESF_NS9_16discard_iteratorINS9_11use_defaultEEEPS5_SJ_SJ_NS9_4lessItEEEE10hipError_tPvRmT0_T1_T2_T3_T4_T5_mmT6_P12ihipStream_tbEUlT_E_NS1_11comp_targetILNS1_3genE3ELNS1_11target_archE908ELNS1_3gpuE7ELNS1_3repE0EEENS1_30default_config_static_selectorELNS0_4arch9wavefront6targetE1EEEvSQ_
	.p2align	8
	.type	_ZN7rocprim17ROCPRIM_400000_NS6detail17trampoline_kernelINS0_14default_configENS1_21merge_config_selectorItNS0_10empty_typeEEEZNS1_10merge_implIS3_N6thrust23THRUST_200600_302600_NS6detail15normal_iteratorINS9_10device_ptrIKtEEEESF_NS9_16discard_iteratorINS9_11use_defaultEEEPS5_SJ_SJ_NS9_4lessItEEEE10hipError_tPvRmT0_T1_T2_T3_T4_T5_mmT6_P12ihipStream_tbEUlT_E_NS1_11comp_targetILNS1_3genE3ELNS1_11target_archE908ELNS1_3gpuE7ELNS1_3repE0EEENS1_30default_config_static_selectorELNS0_4arch9wavefront6targetE1EEEvSQ_,@function
_ZN7rocprim17ROCPRIM_400000_NS6detail17trampoline_kernelINS0_14default_configENS1_21merge_config_selectorItNS0_10empty_typeEEEZNS1_10merge_implIS3_N6thrust23THRUST_200600_302600_NS6detail15normal_iteratorINS9_10device_ptrIKtEEEESF_NS9_16discard_iteratorINS9_11use_defaultEEEPS5_SJ_SJ_NS9_4lessItEEEE10hipError_tPvRmT0_T1_T2_T3_T4_T5_mmT6_P12ihipStream_tbEUlT_E_NS1_11comp_targetILNS1_3genE3ELNS1_11target_archE908ELNS1_3gpuE7ELNS1_3repE0EEENS1_30default_config_static_selectorELNS0_4arch9wavefront6targetE1EEEvSQ_: ; @_ZN7rocprim17ROCPRIM_400000_NS6detail17trampoline_kernelINS0_14default_configENS1_21merge_config_selectorItNS0_10empty_typeEEEZNS1_10merge_implIS3_N6thrust23THRUST_200600_302600_NS6detail15normal_iteratorINS9_10device_ptrIKtEEEESF_NS9_16discard_iteratorINS9_11use_defaultEEEPS5_SJ_SJ_NS9_4lessItEEEE10hipError_tPvRmT0_T1_T2_T3_T4_T5_mmT6_P12ihipStream_tbEUlT_E_NS1_11comp_targetILNS1_3genE3ELNS1_11target_archE908ELNS1_3gpuE7ELNS1_3repE0EEENS1_30default_config_static_selectorELNS0_4arch9wavefront6targetE1EEEvSQ_
; %bb.0:
	.section	.rodata,"a",@progbits
	.p2align	6, 0x0
	.amdhsa_kernel _ZN7rocprim17ROCPRIM_400000_NS6detail17trampoline_kernelINS0_14default_configENS1_21merge_config_selectorItNS0_10empty_typeEEEZNS1_10merge_implIS3_N6thrust23THRUST_200600_302600_NS6detail15normal_iteratorINS9_10device_ptrIKtEEEESF_NS9_16discard_iteratorINS9_11use_defaultEEEPS5_SJ_SJ_NS9_4lessItEEEE10hipError_tPvRmT0_T1_T2_T3_T4_T5_mmT6_P12ihipStream_tbEUlT_E_NS1_11comp_targetILNS1_3genE3ELNS1_11target_archE908ELNS1_3gpuE7ELNS1_3repE0EEENS1_30default_config_static_selectorELNS0_4arch9wavefront6targetE1EEEvSQ_
		.amdhsa_group_segment_fixed_size 0
		.amdhsa_private_segment_fixed_size 0
		.amdhsa_kernarg_size 48
		.amdhsa_user_sgpr_count 6
		.amdhsa_user_sgpr_private_segment_buffer 1
		.amdhsa_user_sgpr_dispatch_ptr 0
		.amdhsa_user_sgpr_queue_ptr 0
		.amdhsa_user_sgpr_kernarg_segment_ptr 1
		.amdhsa_user_sgpr_dispatch_id 0
		.amdhsa_user_sgpr_flat_scratch_init 0
		.amdhsa_user_sgpr_kernarg_preload_length 0
		.amdhsa_user_sgpr_kernarg_preload_offset 0
		.amdhsa_user_sgpr_private_segment_size 0
		.amdhsa_uses_dynamic_stack 0
		.amdhsa_system_sgpr_private_segment_wavefront_offset 0
		.amdhsa_system_sgpr_workgroup_id_x 1
		.amdhsa_system_sgpr_workgroup_id_y 0
		.amdhsa_system_sgpr_workgroup_id_z 0
		.amdhsa_system_sgpr_workgroup_info 0
		.amdhsa_system_vgpr_workitem_id 0
		.amdhsa_next_free_vgpr 1
		.amdhsa_next_free_sgpr 0
		.amdhsa_accum_offset 4
		.amdhsa_reserve_vcc 0
		.amdhsa_reserve_flat_scratch 0
		.amdhsa_float_round_mode_32 0
		.amdhsa_float_round_mode_16_64 0
		.amdhsa_float_denorm_mode_32 3
		.amdhsa_float_denorm_mode_16_64 3
		.amdhsa_dx10_clamp 1
		.amdhsa_ieee_mode 1
		.amdhsa_fp16_overflow 0
		.amdhsa_tg_split 0
		.amdhsa_exception_fp_ieee_invalid_op 0
		.amdhsa_exception_fp_denorm_src 0
		.amdhsa_exception_fp_ieee_div_zero 0
		.amdhsa_exception_fp_ieee_overflow 0
		.amdhsa_exception_fp_ieee_underflow 0
		.amdhsa_exception_fp_ieee_inexact 0
		.amdhsa_exception_int_div_zero 0
	.end_amdhsa_kernel
	.section	.text._ZN7rocprim17ROCPRIM_400000_NS6detail17trampoline_kernelINS0_14default_configENS1_21merge_config_selectorItNS0_10empty_typeEEEZNS1_10merge_implIS3_N6thrust23THRUST_200600_302600_NS6detail15normal_iteratorINS9_10device_ptrIKtEEEESF_NS9_16discard_iteratorINS9_11use_defaultEEEPS5_SJ_SJ_NS9_4lessItEEEE10hipError_tPvRmT0_T1_T2_T3_T4_T5_mmT6_P12ihipStream_tbEUlT_E_NS1_11comp_targetILNS1_3genE3ELNS1_11target_archE908ELNS1_3gpuE7ELNS1_3repE0EEENS1_30default_config_static_selectorELNS0_4arch9wavefront6targetE1EEEvSQ_,"axG",@progbits,_ZN7rocprim17ROCPRIM_400000_NS6detail17trampoline_kernelINS0_14default_configENS1_21merge_config_selectorItNS0_10empty_typeEEEZNS1_10merge_implIS3_N6thrust23THRUST_200600_302600_NS6detail15normal_iteratorINS9_10device_ptrIKtEEEESF_NS9_16discard_iteratorINS9_11use_defaultEEEPS5_SJ_SJ_NS9_4lessItEEEE10hipError_tPvRmT0_T1_T2_T3_T4_T5_mmT6_P12ihipStream_tbEUlT_E_NS1_11comp_targetILNS1_3genE3ELNS1_11target_archE908ELNS1_3gpuE7ELNS1_3repE0EEENS1_30default_config_static_selectorELNS0_4arch9wavefront6targetE1EEEvSQ_,comdat
.Lfunc_end392:
	.size	_ZN7rocprim17ROCPRIM_400000_NS6detail17trampoline_kernelINS0_14default_configENS1_21merge_config_selectorItNS0_10empty_typeEEEZNS1_10merge_implIS3_N6thrust23THRUST_200600_302600_NS6detail15normal_iteratorINS9_10device_ptrIKtEEEESF_NS9_16discard_iteratorINS9_11use_defaultEEEPS5_SJ_SJ_NS9_4lessItEEEE10hipError_tPvRmT0_T1_T2_T3_T4_T5_mmT6_P12ihipStream_tbEUlT_E_NS1_11comp_targetILNS1_3genE3ELNS1_11target_archE908ELNS1_3gpuE7ELNS1_3repE0EEENS1_30default_config_static_selectorELNS0_4arch9wavefront6targetE1EEEvSQ_, .Lfunc_end392-_ZN7rocprim17ROCPRIM_400000_NS6detail17trampoline_kernelINS0_14default_configENS1_21merge_config_selectorItNS0_10empty_typeEEEZNS1_10merge_implIS3_N6thrust23THRUST_200600_302600_NS6detail15normal_iteratorINS9_10device_ptrIKtEEEESF_NS9_16discard_iteratorINS9_11use_defaultEEEPS5_SJ_SJ_NS9_4lessItEEEE10hipError_tPvRmT0_T1_T2_T3_T4_T5_mmT6_P12ihipStream_tbEUlT_E_NS1_11comp_targetILNS1_3genE3ELNS1_11target_archE908ELNS1_3gpuE7ELNS1_3repE0EEENS1_30default_config_static_selectorELNS0_4arch9wavefront6targetE1EEEvSQ_
                                        ; -- End function
	.section	.AMDGPU.csdata,"",@progbits
; Kernel info:
; codeLenInByte = 0
; NumSgprs: 4
; NumVgprs: 0
; NumAgprs: 0
; TotalNumVgprs: 0
; ScratchSize: 0
; MemoryBound: 0
; FloatMode: 240
; IeeeMode: 1
; LDSByteSize: 0 bytes/workgroup (compile time only)
; SGPRBlocks: 0
; VGPRBlocks: 0
; NumSGPRsForWavesPerEU: 4
; NumVGPRsForWavesPerEU: 1
; AccumOffset: 4
; Occupancy: 8
; WaveLimiterHint : 0
; COMPUTE_PGM_RSRC2:SCRATCH_EN: 0
; COMPUTE_PGM_RSRC2:USER_SGPR: 6
; COMPUTE_PGM_RSRC2:TRAP_HANDLER: 0
; COMPUTE_PGM_RSRC2:TGID_X_EN: 1
; COMPUTE_PGM_RSRC2:TGID_Y_EN: 0
; COMPUTE_PGM_RSRC2:TGID_Z_EN: 0
; COMPUTE_PGM_RSRC2:TIDIG_COMP_CNT: 0
; COMPUTE_PGM_RSRC3_GFX90A:ACCUM_OFFSET: 0
; COMPUTE_PGM_RSRC3_GFX90A:TG_SPLIT: 0
	.section	.text._ZN7rocprim17ROCPRIM_400000_NS6detail17trampoline_kernelINS0_14default_configENS1_21merge_config_selectorItNS0_10empty_typeEEEZNS1_10merge_implIS3_N6thrust23THRUST_200600_302600_NS6detail15normal_iteratorINS9_10device_ptrIKtEEEESF_NS9_16discard_iteratorINS9_11use_defaultEEEPS5_SJ_SJ_NS9_4lessItEEEE10hipError_tPvRmT0_T1_T2_T3_T4_T5_mmT6_P12ihipStream_tbEUlT_E_NS1_11comp_targetILNS1_3genE2ELNS1_11target_archE906ELNS1_3gpuE6ELNS1_3repE0EEENS1_30default_config_static_selectorELNS0_4arch9wavefront6targetE1EEEvSQ_,"axG",@progbits,_ZN7rocprim17ROCPRIM_400000_NS6detail17trampoline_kernelINS0_14default_configENS1_21merge_config_selectorItNS0_10empty_typeEEEZNS1_10merge_implIS3_N6thrust23THRUST_200600_302600_NS6detail15normal_iteratorINS9_10device_ptrIKtEEEESF_NS9_16discard_iteratorINS9_11use_defaultEEEPS5_SJ_SJ_NS9_4lessItEEEE10hipError_tPvRmT0_T1_T2_T3_T4_T5_mmT6_P12ihipStream_tbEUlT_E_NS1_11comp_targetILNS1_3genE2ELNS1_11target_archE906ELNS1_3gpuE6ELNS1_3repE0EEENS1_30default_config_static_selectorELNS0_4arch9wavefront6targetE1EEEvSQ_,comdat
	.protected	_ZN7rocprim17ROCPRIM_400000_NS6detail17trampoline_kernelINS0_14default_configENS1_21merge_config_selectorItNS0_10empty_typeEEEZNS1_10merge_implIS3_N6thrust23THRUST_200600_302600_NS6detail15normal_iteratorINS9_10device_ptrIKtEEEESF_NS9_16discard_iteratorINS9_11use_defaultEEEPS5_SJ_SJ_NS9_4lessItEEEE10hipError_tPvRmT0_T1_T2_T3_T4_T5_mmT6_P12ihipStream_tbEUlT_E_NS1_11comp_targetILNS1_3genE2ELNS1_11target_archE906ELNS1_3gpuE6ELNS1_3repE0EEENS1_30default_config_static_selectorELNS0_4arch9wavefront6targetE1EEEvSQ_ ; -- Begin function _ZN7rocprim17ROCPRIM_400000_NS6detail17trampoline_kernelINS0_14default_configENS1_21merge_config_selectorItNS0_10empty_typeEEEZNS1_10merge_implIS3_N6thrust23THRUST_200600_302600_NS6detail15normal_iteratorINS9_10device_ptrIKtEEEESF_NS9_16discard_iteratorINS9_11use_defaultEEEPS5_SJ_SJ_NS9_4lessItEEEE10hipError_tPvRmT0_T1_T2_T3_T4_T5_mmT6_P12ihipStream_tbEUlT_E_NS1_11comp_targetILNS1_3genE2ELNS1_11target_archE906ELNS1_3gpuE6ELNS1_3repE0EEENS1_30default_config_static_selectorELNS0_4arch9wavefront6targetE1EEEvSQ_
	.globl	_ZN7rocprim17ROCPRIM_400000_NS6detail17trampoline_kernelINS0_14default_configENS1_21merge_config_selectorItNS0_10empty_typeEEEZNS1_10merge_implIS3_N6thrust23THRUST_200600_302600_NS6detail15normal_iteratorINS9_10device_ptrIKtEEEESF_NS9_16discard_iteratorINS9_11use_defaultEEEPS5_SJ_SJ_NS9_4lessItEEEE10hipError_tPvRmT0_T1_T2_T3_T4_T5_mmT6_P12ihipStream_tbEUlT_E_NS1_11comp_targetILNS1_3genE2ELNS1_11target_archE906ELNS1_3gpuE6ELNS1_3repE0EEENS1_30default_config_static_selectorELNS0_4arch9wavefront6targetE1EEEvSQ_
	.p2align	8
	.type	_ZN7rocprim17ROCPRIM_400000_NS6detail17trampoline_kernelINS0_14default_configENS1_21merge_config_selectorItNS0_10empty_typeEEEZNS1_10merge_implIS3_N6thrust23THRUST_200600_302600_NS6detail15normal_iteratorINS9_10device_ptrIKtEEEESF_NS9_16discard_iteratorINS9_11use_defaultEEEPS5_SJ_SJ_NS9_4lessItEEEE10hipError_tPvRmT0_T1_T2_T3_T4_T5_mmT6_P12ihipStream_tbEUlT_E_NS1_11comp_targetILNS1_3genE2ELNS1_11target_archE906ELNS1_3gpuE6ELNS1_3repE0EEENS1_30default_config_static_selectorELNS0_4arch9wavefront6targetE1EEEvSQ_,@function
_ZN7rocprim17ROCPRIM_400000_NS6detail17trampoline_kernelINS0_14default_configENS1_21merge_config_selectorItNS0_10empty_typeEEEZNS1_10merge_implIS3_N6thrust23THRUST_200600_302600_NS6detail15normal_iteratorINS9_10device_ptrIKtEEEESF_NS9_16discard_iteratorINS9_11use_defaultEEEPS5_SJ_SJ_NS9_4lessItEEEE10hipError_tPvRmT0_T1_T2_T3_T4_T5_mmT6_P12ihipStream_tbEUlT_E_NS1_11comp_targetILNS1_3genE2ELNS1_11target_archE906ELNS1_3gpuE6ELNS1_3repE0EEENS1_30default_config_static_selectorELNS0_4arch9wavefront6targetE1EEEvSQ_: ; @_ZN7rocprim17ROCPRIM_400000_NS6detail17trampoline_kernelINS0_14default_configENS1_21merge_config_selectorItNS0_10empty_typeEEEZNS1_10merge_implIS3_N6thrust23THRUST_200600_302600_NS6detail15normal_iteratorINS9_10device_ptrIKtEEEESF_NS9_16discard_iteratorINS9_11use_defaultEEEPS5_SJ_SJ_NS9_4lessItEEEE10hipError_tPvRmT0_T1_T2_T3_T4_T5_mmT6_P12ihipStream_tbEUlT_E_NS1_11comp_targetILNS1_3genE2ELNS1_11target_archE906ELNS1_3gpuE6ELNS1_3repE0EEENS1_30default_config_static_selectorELNS0_4arch9wavefront6targetE1EEEvSQ_
; %bb.0:
	.section	.rodata,"a",@progbits
	.p2align	6, 0x0
	.amdhsa_kernel _ZN7rocprim17ROCPRIM_400000_NS6detail17trampoline_kernelINS0_14default_configENS1_21merge_config_selectorItNS0_10empty_typeEEEZNS1_10merge_implIS3_N6thrust23THRUST_200600_302600_NS6detail15normal_iteratorINS9_10device_ptrIKtEEEESF_NS9_16discard_iteratorINS9_11use_defaultEEEPS5_SJ_SJ_NS9_4lessItEEEE10hipError_tPvRmT0_T1_T2_T3_T4_T5_mmT6_P12ihipStream_tbEUlT_E_NS1_11comp_targetILNS1_3genE2ELNS1_11target_archE906ELNS1_3gpuE6ELNS1_3repE0EEENS1_30default_config_static_selectorELNS0_4arch9wavefront6targetE1EEEvSQ_
		.amdhsa_group_segment_fixed_size 0
		.amdhsa_private_segment_fixed_size 0
		.amdhsa_kernarg_size 48
		.amdhsa_user_sgpr_count 6
		.amdhsa_user_sgpr_private_segment_buffer 1
		.amdhsa_user_sgpr_dispatch_ptr 0
		.amdhsa_user_sgpr_queue_ptr 0
		.amdhsa_user_sgpr_kernarg_segment_ptr 1
		.amdhsa_user_sgpr_dispatch_id 0
		.amdhsa_user_sgpr_flat_scratch_init 0
		.amdhsa_user_sgpr_kernarg_preload_length 0
		.amdhsa_user_sgpr_kernarg_preload_offset 0
		.amdhsa_user_sgpr_private_segment_size 0
		.amdhsa_uses_dynamic_stack 0
		.amdhsa_system_sgpr_private_segment_wavefront_offset 0
		.amdhsa_system_sgpr_workgroup_id_x 1
		.amdhsa_system_sgpr_workgroup_id_y 0
		.amdhsa_system_sgpr_workgroup_id_z 0
		.amdhsa_system_sgpr_workgroup_info 0
		.amdhsa_system_vgpr_workitem_id 0
		.amdhsa_next_free_vgpr 1
		.amdhsa_next_free_sgpr 0
		.amdhsa_accum_offset 4
		.amdhsa_reserve_vcc 0
		.amdhsa_reserve_flat_scratch 0
		.amdhsa_float_round_mode_32 0
		.amdhsa_float_round_mode_16_64 0
		.amdhsa_float_denorm_mode_32 3
		.amdhsa_float_denorm_mode_16_64 3
		.amdhsa_dx10_clamp 1
		.amdhsa_ieee_mode 1
		.amdhsa_fp16_overflow 0
		.amdhsa_tg_split 0
		.amdhsa_exception_fp_ieee_invalid_op 0
		.amdhsa_exception_fp_denorm_src 0
		.amdhsa_exception_fp_ieee_div_zero 0
		.amdhsa_exception_fp_ieee_overflow 0
		.amdhsa_exception_fp_ieee_underflow 0
		.amdhsa_exception_fp_ieee_inexact 0
		.amdhsa_exception_int_div_zero 0
	.end_amdhsa_kernel
	.section	.text._ZN7rocprim17ROCPRIM_400000_NS6detail17trampoline_kernelINS0_14default_configENS1_21merge_config_selectorItNS0_10empty_typeEEEZNS1_10merge_implIS3_N6thrust23THRUST_200600_302600_NS6detail15normal_iteratorINS9_10device_ptrIKtEEEESF_NS9_16discard_iteratorINS9_11use_defaultEEEPS5_SJ_SJ_NS9_4lessItEEEE10hipError_tPvRmT0_T1_T2_T3_T4_T5_mmT6_P12ihipStream_tbEUlT_E_NS1_11comp_targetILNS1_3genE2ELNS1_11target_archE906ELNS1_3gpuE6ELNS1_3repE0EEENS1_30default_config_static_selectorELNS0_4arch9wavefront6targetE1EEEvSQ_,"axG",@progbits,_ZN7rocprim17ROCPRIM_400000_NS6detail17trampoline_kernelINS0_14default_configENS1_21merge_config_selectorItNS0_10empty_typeEEEZNS1_10merge_implIS3_N6thrust23THRUST_200600_302600_NS6detail15normal_iteratorINS9_10device_ptrIKtEEEESF_NS9_16discard_iteratorINS9_11use_defaultEEEPS5_SJ_SJ_NS9_4lessItEEEE10hipError_tPvRmT0_T1_T2_T3_T4_T5_mmT6_P12ihipStream_tbEUlT_E_NS1_11comp_targetILNS1_3genE2ELNS1_11target_archE906ELNS1_3gpuE6ELNS1_3repE0EEENS1_30default_config_static_selectorELNS0_4arch9wavefront6targetE1EEEvSQ_,comdat
.Lfunc_end393:
	.size	_ZN7rocprim17ROCPRIM_400000_NS6detail17trampoline_kernelINS0_14default_configENS1_21merge_config_selectorItNS0_10empty_typeEEEZNS1_10merge_implIS3_N6thrust23THRUST_200600_302600_NS6detail15normal_iteratorINS9_10device_ptrIKtEEEESF_NS9_16discard_iteratorINS9_11use_defaultEEEPS5_SJ_SJ_NS9_4lessItEEEE10hipError_tPvRmT0_T1_T2_T3_T4_T5_mmT6_P12ihipStream_tbEUlT_E_NS1_11comp_targetILNS1_3genE2ELNS1_11target_archE906ELNS1_3gpuE6ELNS1_3repE0EEENS1_30default_config_static_selectorELNS0_4arch9wavefront6targetE1EEEvSQ_, .Lfunc_end393-_ZN7rocprim17ROCPRIM_400000_NS6detail17trampoline_kernelINS0_14default_configENS1_21merge_config_selectorItNS0_10empty_typeEEEZNS1_10merge_implIS3_N6thrust23THRUST_200600_302600_NS6detail15normal_iteratorINS9_10device_ptrIKtEEEESF_NS9_16discard_iteratorINS9_11use_defaultEEEPS5_SJ_SJ_NS9_4lessItEEEE10hipError_tPvRmT0_T1_T2_T3_T4_T5_mmT6_P12ihipStream_tbEUlT_E_NS1_11comp_targetILNS1_3genE2ELNS1_11target_archE906ELNS1_3gpuE6ELNS1_3repE0EEENS1_30default_config_static_selectorELNS0_4arch9wavefront6targetE1EEEvSQ_
                                        ; -- End function
	.section	.AMDGPU.csdata,"",@progbits
; Kernel info:
; codeLenInByte = 0
; NumSgprs: 4
; NumVgprs: 0
; NumAgprs: 0
; TotalNumVgprs: 0
; ScratchSize: 0
; MemoryBound: 0
; FloatMode: 240
; IeeeMode: 1
; LDSByteSize: 0 bytes/workgroup (compile time only)
; SGPRBlocks: 0
; VGPRBlocks: 0
; NumSGPRsForWavesPerEU: 4
; NumVGPRsForWavesPerEU: 1
; AccumOffset: 4
; Occupancy: 8
; WaveLimiterHint : 0
; COMPUTE_PGM_RSRC2:SCRATCH_EN: 0
; COMPUTE_PGM_RSRC2:USER_SGPR: 6
; COMPUTE_PGM_RSRC2:TRAP_HANDLER: 0
; COMPUTE_PGM_RSRC2:TGID_X_EN: 1
; COMPUTE_PGM_RSRC2:TGID_Y_EN: 0
; COMPUTE_PGM_RSRC2:TGID_Z_EN: 0
; COMPUTE_PGM_RSRC2:TIDIG_COMP_CNT: 0
; COMPUTE_PGM_RSRC3_GFX90A:ACCUM_OFFSET: 0
; COMPUTE_PGM_RSRC3_GFX90A:TG_SPLIT: 0
	.section	.text._ZN7rocprim17ROCPRIM_400000_NS6detail17trampoline_kernelINS0_14default_configENS1_21merge_config_selectorItNS0_10empty_typeEEEZNS1_10merge_implIS3_N6thrust23THRUST_200600_302600_NS6detail15normal_iteratorINS9_10device_ptrIKtEEEESF_NS9_16discard_iteratorINS9_11use_defaultEEEPS5_SJ_SJ_NS9_4lessItEEEE10hipError_tPvRmT0_T1_T2_T3_T4_T5_mmT6_P12ihipStream_tbEUlT_E_NS1_11comp_targetILNS1_3genE10ELNS1_11target_archE1201ELNS1_3gpuE5ELNS1_3repE0EEENS1_30default_config_static_selectorELNS0_4arch9wavefront6targetE1EEEvSQ_,"axG",@progbits,_ZN7rocprim17ROCPRIM_400000_NS6detail17trampoline_kernelINS0_14default_configENS1_21merge_config_selectorItNS0_10empty_typeEEEZNS1_10merge_implIS3_N6thrust23THRUST_200600_302600_NS6detail15normal_iteratorINS9_10device_ptrIKtEEEESF_NS9_16discard_iteratorINS9_11use_defaultEEEPS5_SJ_SJ_NS9_4lessItEEEE10hipError_tPvRmT0_T1_T2_T3_T4_T5_mmT6_P12ihipStream_tbEUlT_E_NS1_11comp_targetILNS1_3genE10ELNS1_11target_archE1201ELNS1_3gpuE5ELNS1_3repE0EEENS1_30default_config_static_selectorELNS0_4arch9wavefront6targetE1EEEvSQ_,comdat
	.protected	_ZN7rocprim17ROCPRIM_400000_NS6detail17trampoline_kernelINS0_14default_configENS1_21merge_config_selectorItNS0_10empty_typeEEEZNS1_10merge_implIS3_N6thrust23THRUST_200600_302600_NS6detail15normal_iteratorINS9_10device_ptrIKtEEEESF_NS9_16discard_iteratorINS9_11use_defaultEEEPS5_SJ_SJ_NS9_4lessItEEEE10hipError_tPvRmT0_T1_T2_T3_T4_T5_mmT6_P12ihipStream_tbEUlT_E_NS1_11comp_targetILNS1_3genE10ELNS1_11target_archE1201ELNS1_3gpuE5ELNS1_3repE0EEENS1_30default_config_static_selectorELNS0_4arch9wavefront6targetE1EEEvSQ_ ; -- Begin function _ZN7rocprim17ROCPRIM_400000_NS6detail17trampoline_kernelINS0_14default_configENS1_21merge_config_selectorItNS0_10empty_typeEEEZNS1_10merge_implIS3_N6thrust23THRUST_200600_302600_NS6detail15normal_iteratorINS9_10device_ptrIKtEEEESF_NS9_16discard_iteratorINS9_11use_defaultEEEPS5_SJ_SJ_NS9_4lessItEEEE10hipError_tPvRmT0_T1_T2_T3_T4_T5_mmT6_P12ihipStream_tbEUlT_E_NS1_11comp_targetILNS1_3genE10ELNS1_11target_archE1201ELNS1_3gpuE5ELNS1_3repE0EEENS1_30default_config_static_selectorELNS0_4arch9wavefront6targetE1EEEvSQ_
	.globl	_ZN7rocprim17ROCPRIM_400000_NS6detail17trampoline_kernelINS0_14default_configENS1_21merge_config_selectorItNS0_10empty_typeEEEZNS1_10merge_implIS3_N6thrust23THRUST_200600_302600_NS6detail15normal_iteratorINS9_10device_ptrIKtEEEESF_NS9_16discard_iteratorINS9_11use_defaultEEEPS5_SJ_SJ_NS9_4lessItEEEE10hipError_tPvRmT0_T1_T2_T3_T4_T5_mmT6_P12ihipStream_tbEUlT_E_NS1_11comp_targetILNS1_3genE10ELNS1_11target_archE1201ELNS1_3gpuE5ELNS1_3repE0EEENS1_30default_config_static_selectorELNS0_4arch9wavefront6targetE1EEEvSQ_
	.p2align	8
	.type	_ZN7rocprim17ROCPRIM_400000_NS6detail17trampoline_kernelINS0_14default_configENS1_21merge_config_selectorItNS0_10empty_typeEEEZNS1_10merge_implIS3_N6thrust23THRUST_200600_302600_NS6detail15normal_iteratorINS9_10device_ptrIKtEEEESF_NS9_16discard_iteratorINS9_11use_defaultEEEPS5_SJ_SJ_NS9_4lessItEEEE10hipError_tPvRmT0_T1_T2_T3_T4_T5_mmT6_P12ihipStream_tbEUlT_E_NS1_11comp_targetILNS1_3genE10ELNS1_11target_archE1201ELNS1_3gpuE5ELNS1_3repE0EEENS1_30default_config_static_selectorELNS0_4arch9wavefront6targetE1EEEvSQ_,@function
_ZN7rocprim17ROCPRIM_400000_NS6detail17trampoline_kernelINS0_14default_configENS1_21merge_config_selectorItNS0_10empty_typeEEEZNS1_10merge_implIS3_N6thrust23THRUST_200600_302600_NS6detail15normal_iteratorINS9_10device_ptrIKtEEEESF_NS9_16discard_iteratorINS9_11use_defaultEEEPS5_SJ_SJ_NS9_4lessItEEEE10hipError_tPvRmT0_T1_T2_T3_T4_T5_mmT6_P12ihipStream_tbEUlT_E_NS1_11comp_targetILNS1_3genE10ELNS1_11target_archE1201ELNS1_3gpuE5ELNS1_3repE0EEENS1_30default_config_static_selectorELNS0_4arch9wavefront6targetE1EEEvSQ_: ; @_ZN7rocprim17ROCPRIM_400000_NS6detail17trampoline_kernelINS0_14default_configENS1_21merge_config_selectorItNS0_10empty_typeEEEZNS1_10merge_implIS3_N6thrust23THRUST_200600_302600_NS6detail15normal_iteratorINS9_10device_ptrIKtEEEESF_NS9_16discard_iteratorINS9_11use_defaultEEEPS5_SJ_SJ_NS9_4lessItEEEE10hipError_tPvRmT0_T1_T2_T3_T4_T5_mmT6_P12ihipStream_tbEUlT_E_NS1_11comp_targetILNS1_3genE10ELNS1_11target_archE1201ELNS1_3gpuE5ELNS1_3repE0EEENS1_30default_config_static_selectorELNS0_4arch9wavefront6targetE1EEEvSQ_
; %bb.0:
	.section	.rodata,"a",@progbits
	.p2align	6, 0x0
	.amdhsa_kernel _ZN7rocprim17ROCPRIM_400000_NS6detail17trampoline_kernelINS0_14default_configENS1_21merge_config_selectorItNS0_10empty_typeEEEZNS1_10merge_implIS3_N6thrust23THRUST_200600_302600_NS6detail15normal_iteratorINS9_10device_ptrIKtEEEESF_NS9_16discard_iteratorINS9_11use_defaultEEEPS5_SJ_SJ_NS9_4lessItEEEE10hipError_tPvRmT0_T1_T2_T3_T4_T5_mmT6_P12ihipStream_tbEUlT_E_NS1_11comp_targetILNS1_3genE10ELNS1_11target_archE1201ELNS1_3gpuE5ELNS1_3repE0EEENS1_30default_config_static_selectorELNS0_4arch9wavefront6targetE1EEEvSQ_
		.amdhsa_group_segment_fixed_size 0
		.amdhsa_private_segment_fixed_size 0
		.amdhsa_kernarg_size 48
		.amdhsa_user_sgpr_count 6
		.amdhsa_user_sgpr_private_segment_buffer 1
		.amdhsa_user_sgpr_dispatch_ptr 0
		.amdhsa_user_sgpr_queue_ptr 0
		.amdhsa_user_sgpr_kernarg_segment_ptr 1
		.amdhsa_user_sgpr_dispatch_id 0
		.amdhsa_user_sgpr_flat_scratch_init 0
		.amdhsa_user_sgpr_kernarg_preload_length 0
		.amdhsa_user_sgpr_kernarg_preload_offset 0
		.amdhsa_user_sgpr_private_segment_size 0
		.amdhsa_uses_dynamic_stack 0
		.amdhsa_system_sgpr_private_segment_wavefront_offset 0
		.amdhsa_system_sgpr_workgroup_id_x 1
		.amdhsa_system_sgpr_workgroup_id_y 0
		.amdhsa_system_sgpr_workgroup_id_z 0
		.amdhsa_system_sgpr_workgroup_info 0
		.amdhsa_system_vgpr_workitem_id 0
		.amdhsa_next_free_vgpr 1
		.amdhsa_next_free_sgpr 0
		.amdhsa_accum_offset 4
		.amdhsa_reserve_vcc 0
		.amdhsa_reserve_flat_scratch 0
		.amdhsa_float_round_mode_32 0
		.amdhsa_float_round_mode_16_64 0
		.amdhsa_float_denorm_mode_32 3
		.amdhsa_float_denorm_mode_16_64 3
		.amdhsa_dx10_clamp 1
		.amdhsa_ieee_mode 1
		.amdhsa_fp16_overflow 0
		.amdhsa_tg_split 0
		.amdhsa_exception_fp_ieee_invalid_op 0
		.amdhsa_exception_fp_denorm_src 0
		.amdhsa_exception_fp_ieee_div_zero 0
		.amdhsa_exception_fp_ieee_overflow 0
		.amdhsa_exception_fp_ieee_underflow 0
		.amdhsa_exception_fp_ieee_inexact 0
		.amdhsa_exception_int_div_zero 0
	.end_amdhsa_kernel
	.section	.text._ZN7rocprim17ROCPRIM_400000_NS6detail17trampoline_kernelINS0_14default_configENS1_21merge_config_selectorItNS0_10empty_typeEEEZNS1_10merge_implIS3_N6thrust23THRUST_200600_302600_NS6detail15normal_iteratorINS9_10device_ptrIKtEEEESF_NS9_16discard_iteratorINS9_11use_defaultEEEPS5_SJ_SJ_NS9_4lessItEEEE10hipError_tPvRmT0_T1_T2_T3_T4_T5_mmT6_P12ihipStream_tbEUlT_E_NS1_11comp_targetILNS1_3genE10ELNS1_11target_archE1201ELNS1_3gpuE5ELNS1_3repE0EEENS1_30default_config_static_selectorELNS0_4arch9wavefront6targetE1EEEvSQ_,"axG",@progbits,_ZN7rocprim17ROCPRIM_400000_NS6detail17trampoline_kernelINS0_14default_configENS1_21merge_config_selectorItNS0_10empty_typeEEEZNS1_10merge_implIS3_N6thrust23THRUST_200600_302600_NS6detail15normal_iteratorINS9_10device_ptrIKtEEEESF_NS9_16discard_iteratorINS9_11use_defaultEEEPS5_SJ_SJ_NS9_4lessItEEEE10hipError_tPvRmT0_T1_T2_T3_T4_T5_mmT6_P12ihipStream_tbEUlT_E_NS1_11comp_targetILNS1_3genE10ELNS1_11target_archE1201ELNS1_3gpuE5ELNS1_3repE0EEENS1_30default_config_static_selectorELNS0_4arch9wavefront6targetE1EEEvSQ_,comdat
.Lfunc_end394:
	.size	_ZN7rocprim17ROCPRIM_400000_NS6detail17trampoline_kernelINS0_14default_configENS1_21merge_config_selectorItNS0_10empty_typeEEEZNS1_10merge_implIS3_N6thrust23THRUST_200600_302600_NS6detail15normal_iteratorINS9_10device_ptrIKtEEEESF_NS9_16discard_iteratorINS9_11use_defaultEEEPS5_SJ_SJ_NS9_4lessItEEEE10hipError_tPvRmT0_T1_T2_T3_T4_T5_mmT6_P12ihipStream_tbEUlT_E_NS1_11comp_targetILNS1_3genE10ELNS1_11target_archE1201ELNS1_3gpuE5ELNS1_3repE0EEENS1_30default_config_static_selectorELNS0_4arch9wavefront6targetE1EEEvSQ_, .Lfunc_end394-_ZN7rocprim17ROCPRIM_400000_NS6detail17trampoline_kernelINS0_14default_configENS1_21merge_config_selectorItNS0_10empty_typeEEEZNS1_10merge_implIS3_N6thrust23THRUST_200600_302600_NS6detail15normal_iteratorINS9_10device_ptrIKtEEEESF_NS9_16discard_iteratorINS9_11use_defaultEEEPS5_SJ_SJ_NS9_4lessItEEEE10hipError_tPvRmT0_T1_T2_T3_T4_T5_mmT6_P12ihipStream_tbEUlT_E_NS1_11comp_targetILNS1_3genE10ELNS1_11target_archE1201ELNS1_3gpuE5ELNS1_3repE0EEENS1_30default_config_static_selectorELNS0_4arch9wavefront6targetE1EEEvSQ_
                                        ; -- End function
	.section	.AMDGPU.csdata,"",@progbits
; Kernel info:
; codeLenInByte = 0
; NumSgprs: 4
; NumVgprs: 0
; NumAgprs: 0
; TotalNumVgprs: 0
; ScratchSize: 0
; MemoryBound: 0
; FloatMode: 240
; IeeeMode: 1
; LDSByteSize: 0 bytes/workgroup (compile time only)
; SGPRBlocks: 0
; VGPRBlocks: 0
; NumSGPRsForWavesPerEU: 4
; NumVGPRsForWavesPerEU: 1
; AccumOffset: 4
; Occupancy: 8
; WaveLimiterHint : 0
; COMPUTE_PGM_RSRC2:SCRATCH_EN: 0
; COMPUTE_PGM_RSRC2:USER_SGPR: 6
; COMPUTE_PGM_RSRC2:TRAP_HANDLER: 0
; COMPUTE_PGM_RSRC2:TGID_X_EN: 1
; COMPUTE_PGM_RSRC2:TGID_Y_EN: 0
; COMPUTE_PGM_RSRC2:TGID_Z_EN: 0
; COMPUTE_PGM_RSRC2:TIDIG_COMP_CNT: 0
; COMPUTE_PGM_RSRC3_GFX90A:ACCUM_OFFSET: 0
; COMPUTE_PGM_RSRC3_GFX90A:TG_SPLIT: 0
	.section	.text._ZN7rocprim17ROCPRIM_400000_NS6detail17trampoline_kernelINS0_14default_configENS1_21merge_config_selectorItNS0_10empty_typeEEEZNS1_10merge_implIS3_N6thrust23THRUST_200600_302600_NS6detail15normal_iteratorINS9_10device_ptrIKtEEEESF_NS9_16discard_iteratorINS9_11use_defaultEEEPS5_SJ_SJ_NS9_4lessItEEEE10hipError_tPvRmT0_T1_T2_T3_T4_T5_mmT6_P12ihipStream_tbEUlT_E_NS1_11comp_targetILNS1_3genE10ELNS1_11target_archE1200ELNS1_3gpuE4ELNS1_3repE0EEENS1_30default_config_static_selectorELNS0_4arch9wavefront6targetE1EEEvSQ_,"axG",@progbits,_ZN7rocprim17ROCPRIM_400000_NS6detail17trampoline_kernelINS0_14default_configENS1_21merge_config_selectorItNS0_10empty_typeEEEZNS1_10merge_implIS3_N6thrust23THRUST_200600_302600_NS6detail15normal_iteratorINS9_10device_ptrIKtEEEESF_NS9_16discard_iteratorINS9_11use_defaultEEEPS5_SJ_SJ_NS9_4lessItEEEE10hipError_tPvRmT0_T1_T2_T3_T4_T5_mmT6_P12ihipStream_tbEUlT_E_NS1_11comp_targetILNS1_3genE10ELNS1_11target_archE1200ELNS1_3gpuE4ELNS1_3repE0EEENS1_30default_config_static_selectorELNS0_4arch9wavefront6targetE1EEEvSQ_,comdat
	.protected	_ZN7rocprim17ROCPRIM_400000_NS6detail17trampoline_kernelINS0_14default_configENS1_21merge_config_selectorItNS0_10empty_typeEEEZNS1_10merge_implIS3_N6thrust23THRUST_200600_302600_NS6detail15normal_iteratorINS9_10device_ptrIKtEEEESF_NS9_16discard_iteratorINS9_11use_defaultEEEPS5_SJ_SJ_NS9_4lessItEEEE10hipError_tPvRmT0_T1_T2_T3_T4_T5_mmT6_P12ihipStream_tbEUlT_E_NS1_11comp_targetILNS1_3genE10ELNS1_11target_archE1200ELNS1_3gpuE4ELNS1_3repE0EEENS1_30default_config_static_selectorELNS0_4arch9wavefront6targetE1EEEvSQ_ ; -- Begin function _ZN7rocprim17ROCPRIM_400000_NS6detail17trampoline_kernelINS0_14default_configENS1_21merge_config_selectorItNS0_10empty_typeEEEZNS1_10merge_implIS3_N6thrust23THRUST_200600_302600_NS6detail15normal_iteratorINS9_10device_ptrIKtEEEESF_NS9_16discard_iteratorINS9_11use_defaultEEEPS5_SJ_SJ_NS9_4lessItEEEE10hipError_tPvRmT0_T1_T2_T3_T4_T5_mmT6_P12ihipStream_tbEUlT_E_NS1_11comp_targetILNS1_3genE10ELNS1_11target_archE1200ELNS1_3gpuE4ELNS1_3repE0EEENS1_30default_config_static_selectorELNS0_4arch9wavefront6targetE1EEEvSQ_
	.globl	_ZN7rocprim17ROCPRIM_400000_NS6detail17trampoline_kernelINS0_14default_configENS1_21merge_config_selectorItNS0_10empty_typeEEEZNS1_10merge_implIS3_N6thrust23THRUST_200600_302600_NS6detail15normal_iteratorINS9_10device_ptrIKtEEEESF_NS9_16discard_iteratorINS9_11use_defaultEEEPS5_SJ_SJ_NS9_4lessItEEEE10hipError_tPvRmT0_T1_T2_T3_T4_T5_mmT6_P12ihipStream_tbEUlT_E_NS1_11comp_targetILNS1_3genE10ELNS1_11target_archE1200ELNS1_3gpuE4ELNS1_3repE0EEENS1_30default_config_static_selectorELNS0_4arch9wavefront6targetE1EEEvSQ_
	.p2align	8
	.type	_ZN7rocprim17ROCPRIM_400000_NS6detail17trampoline_kernelINS0_14default_configENS1_21merge_config_selectorItNS0_10empty_typeEEEZNS1_10merge_implIS3_N6thrust23THRUST_200600_302600_NS6detail15normal_iteratorINS9_10device_ptrIKtEEEESF_NS9_16discard_iteratorINS9_11use_defaultEEEPS5_SJ_SJ_NS9_4lessItEEEE10hipError_tPvRmT0_T1_T2_T3_T4_T5_mmT6_P12ihipStream_tbEUlT_E_NS1_11comp_targetILNS1_3genE10ELNS1_11target_archE1200ELNS1_3gpuE4ELNS1_3repE0EEENS1_30default_config_static_selectorELNS0_4arch9wavefront6targetE1EEEvSQ_,@function
_ZN7rocprim17ROCPRIM_400000_NS6detail17trampoline_kernelINS0_14default_configENS1_21merge_config_selectorItNS0_10empty_typeEEEZNS1_10merge_implIS3_N6thrust23THRUST_200600_302600_NS6detail15normal_iteratorINS9_10device_ptrIKtEEEESF_NS9_16discard_iteratorINS9_11use_defaultEEEPS5_SJ_SJ_NS9_4lessItEEEE10hipError_tPvRmT0_T1_T2_T3_T4_T5_mmT6_P12ihipStream_tbEUlT_E_NS1_11comp_targetILNS1_3genE10ELNS1_11target_archE1200ELNS1_3gpuE4ELNS1_3repE0EEENS1_30default_config_static_selectorELNS0_4arch9wavefront6targetE1EEEvSQ_: ; @_ZN7rocprim17ROCPRIM_400000_NS6detail17trampoline_kernelINS0_14default_configENS1_21merge_config_selectorItNS0_10empty_typeEEEZNS1_10merge_implIS3_N6thrust23THRUST_200600_302600_NS6detail15normal_iteratorINS9_10device_ptrIKtEEEESF_NS9_16discard_iteratorINS9_11use_defaultEEEPS5_SJ_SJ_NS9_4lessItEEEE10hipError_tPvRmT0_T1_T2_T3_T4_T5_mmT6_P12ihipStream_tbEUlT_E_NS1_11comp_targetILNS1_3genE10ELNS1_11target_archE1200ELNS1_3gpuE4ELNS1_3repE0EEENS1_30default_config_static_selectorELNS0_4arch9wavefront6targetE1EEEvSQ_
; %bb.0:
	.section	.rodata,"a",@progbits
	.p2align	6, 0x0
	.amdhsa_kernel _ZN7rocprim17ROCPRIM_400000_NS6detail17trampoline_kernelINS0_14default_configENS1_21merge_config_selectorItNS0_10empty_typeEEEZNS1_10merge_implIS3_N6thrust23THRUST_200600_302600_NS6detail15normal_iteratorINS9_10device_ptrIKtEEEESF_NS9_16discard_iteratorINS9_11use_defaultEEEPS5_SJ_SJ_NS9_4lessItEEEE10hipError_tPvRmT0_T1_T2_T3_T4_T5_mmT6_P12ihipStream_tbEUlT_E_NS1_11comp_targetILNS1_3genE10ELNS1_11target_archE1200ELNS1_3gpuE4ELNS1_3repE0EEENS1_30default_config_static_selectorELNS0_4arch9wavefront6targetE1EEEvSQ_
		.amdhsa_group_segment_fixed_size 0
		.amdhsa_private_segment_fixed_size 0
		.amdhsa_kernarg_size 48
		.amdhsa_user_sgpr_count 6
		.amdhsa_user_sgpr_private_segment_buffer 1
		.amdhsa_user_sgpr_dispatch_ptr 0
		.amdhsa_user_sgpr_queue_ptr 0
		.amdhsa_user_sgpr_kernarg_segment_ptr 1
		.amdhsa_user_sgpr_dispatch_id 0
		.amdhsa_user_sgpr_flat_scratch_init 0
		.amdhsa_user_sgpr_kernarg_preload_length 0
		.amdhsa_user_sgpr_kernarg_preload_offset 0
		.amdhsa_user_sgpr_private_segment_size 0
		.amdhsa_uses_dynamic_stack 0
		.amdhsa_system_sgpr_private_segment_wavefront_offset 0
		.amdhsa_system_sgpr_workgroup_id_x 1
		.amdhsa_system_sgpr_workgroup_id_y 0
		.amdhsa_system_sgpr_workgroup_id_z 0
		.amdhsa_system_sgpr_workgroup_info 0
		.amdhsa_system_vgpr_workitem_id 0
		.amdhsa_next_free_vgpr 1
		.amdhsa_next_free_sgpr 0
		.amdhsa_accum_offset 4
		.amdhsa_reserve_vcc 0
		.amdhsa_reserve_flat_scratch 0
		.amdhsa_float_round_mode_32 0
		.amdhsa_float_round_mode_16_64 0
		.amdhsa_float_denorm_mode_32 3
		.amdhsa_float_denorm_mode_16_64 3
		.amdhsa_dx10_clamp 1
		.amdhsa_ieee_mode 1
		.amdhsa_fp16_overflow 0
		.amdhsa_tg_split 0
		.amdhsa_exception_fp_ieee_invalid_op 0
		.amdhsa_exception_fp_denorm_src 0
		.amdhsa_exception_fp_ieee_div_zero 0
		.amdhsa_exception_fp_ieee_overflow 0
		.amdhsa_exception_fp_ieee_underflow 0
		.amdhsa_exception_fp_ieee_inexact 0
		.amdhsa_exception_int_div_zero 0
	.end_amdhsa_kernel
	.section	.text._ZN7rocprim17ROCPRIM_400000_NS6detail17trampoline_kernelINS0_14default_configENS1_21merge_config_selectorItNS0_10empty_typeEEEZNS1_10merge_implIS3_N6thrust23THRUST_200600_302600_NS6detail15normal_iteratorINS9_10device_ptrIKtEEEESF_NS9_16discard_iteratorINS9_11use_defaultEEEPS5_SJ_SJ_NS9_4lessItEEEE10hipError_tPvRmT0_T1_T2_T3_T4_T5_mmT6_P12ihipStream_tbEUlT_E_NS1_11comp_targetILNS1_3genE10ELNS1_11target_archE1200ELNS1_3gpuE4ELNS1_3repE0EEENS1_30default_config_static_selectorELNS0_4arch9wavefront6targetE1EEEvSQ_,"axG",@progbits,_ZN7rocprim17ROCPRIM_400000_NS6detail17trampoline_kernelINS0_14default_configENS1_21merge_config_selectorItNS0_10empty_typeEEEZNS1_10merge_implIS3_N6thrust23THRUST_200600_302600_NS6detail15normal_iteratorINS9_10device_ptrIKtEEEESF_NS9_16discard_iteratorINS9_11use_defaultEEEPS5_SJ_SJ_NS9_4lessItEEEE10hipError_tPvRmT0_T1_T2_T3_T4_T5_mmT6_P12ihipStream_tbEUlT_E_NS1_11comp_targetILNS1_3genE10ELNS1_11target_archE1200ELNS1_3gpuE4ELNS1_3repE0EEENS1_30default_config_static_selectorELNS0_4arch9wavefront6targetE1EEEvSQ_,comdat
.Lfunc_end395:
	.size	_ZN7rocprim17ROCPRIM_400000_NS6detail17trampoline_kernelINS0_14default_configENS1_21merge_config_selectorItNS0_10empty_typeEEEZNS1_10merge_implIS3_N6thrust23THRUST_200600_302600_NS6detail15normal_iteratorINS9_10device_ptrIKtEEEESF_NS9_16discard_iteratorINS9_11use_defaultEEEPS5_SJ_SJ_NS9_4lessItEEEE10hipError_tPvRmT0_T1_T2_T3_T4_T5_mmT6_P12ihipStream_tbEUlT_E_NS1_11comp_targetILNS1_3genE10ELNS1_11target_archE1200ELNS1_3gpuE4ELNS1_3repE0EEENS1_30default_config_static_selectorELNS0_4arch9wavefront6targetE1EEEvSQ_, .Lfunc_end395-_ZN7rocprim17ROCPRIM_400000_NS6detail17trampoline_kernelINS0_14default_configENS1_21merge_config_selectorItNS0_10empty_typeEEEZNS1_10merge_implIS3_N6thrust23THRUST_200600_302600_NS6detail15normal_iteratorINS9_10device_ptrIKtEEEESF_NS9_16discard_iteratorINS9_11use_defaultEEEPS5_SJ_SJ_NS9_4lessItEEEE10hipError_tPvRmT0_T1_T2_T3_T4_T5_mmT6_P12ihipStream_tbEUlT_E_NS1_11comp_targetILNS1_3genE10ELNS1_11target_archE1200ELNS1_3gpuE4ELNS1_3repE0EEENS1_30default_config_static_selectorELNS0_4arch9wavefront6targetE1EEEvSQ_
                                        ; -- End function
	.section	.AMDGPU.csdata,"",@progbits
; Kernel info:
; codeLenInByte = 0
; NumSgprs: 4
; NumVgprs: 0
; NumAgprs: 0
; TotalNumVgprs: 0
; ScratchSize: 0
; MemoryBound: 0
; FloatMode: 240
; IeeeMode: 1
; LDSByteSize: 0 bytes/workgroup (compile time only)
; SGPRBlocks: 0
; VGPRBlocks: 0
; NumSGPRsForWavesPerEU: 4
; NumVGPRsForWavesPerEU: 1
; AccumOffset: 4
; Occupancy: 8
; WaveLimiterHint : 0
; COMPUTE_PGM_RSRC2:SCRATCH_EN: 0
; COMPUTE_PGM_RSRC2:USER_SGPR: 6
; COMPUTE_PGM_RSRC2:TRAP_HANDLER: 0
; COMPUTE_PGM_RSRC2:TGID_X_EN: 1
; COMPUTE_PGM_RSRC2:TGID_Y_EN: 0
; COMPUTE_PGM_RSRC2:TGID_Z_EN: 0
; COMPUTE_PGM_RSRC2:TIDIG_COMP_CNT: 0
; COMPUTE_PGM_RSRC3_GFX90A:ACCUM_OFFSET: 0
; COMPUTE_PGM_RSRC3_GFX90A:TG_SPLIT: 0
	.section	.text._ZN7rocprim17ROCPRIM_400000_NS6detail17trampoline_kernelINS0_14default_configENS1_21merge_config_selectorItNS0_10empty_typeEEEZNS1_10merge_implIS3_N6thrust23THRUST_200600_302600_NS6detail15normal_iteratorINS9_10device_ptrIKtEEEESF_NS9_16discard_iteratorINS9_11use_defaultEEEPS5_SJ_SJ_NS9_4lessItEEEE10hipError_tPvRmT0_T1_T2_T3_T4_T5_mmT6_P12ihipStream_tbEUlT_E_NS1_11comp_targetILNS1_3genE9ELNS1_11target_archE1100ELNS1_3gpuE3ELNS1_3repE0EEENS1_30default_config_static_selectorELNS0_4arch9wavefront6targetE1EEEvSQ_,"axG",@progbits,_ZN7rocprim17ROCPRIM_400000_NS6detail17trampoline_kernelINS0_14default_configENS1_21merge_config_selectorItNS0_10empty_typeEEEZNS1_10merge_implIS3_N6thrust23THRUST_200600_302600_NS6detail15normal_iteratorINS9_10device_ptrIKtEEEESF_NS9_16discard_iteratorINS9_11use_defaultEEEPS5_SJ_SJ_NS9_4lessItEEEE10hipError_tPvRmT0_T1_T2_T3_T4_T5_mmT6_P12ihipStream_tbEUlT_E_NS1_11comp_targetILNS1_3genE9ELNS1_11target_archE1100ELNS1_3gpuE3ELNS1_3repE0EEENS1_30default_config_static_selectorELNS0_4arch9wavefront6targetE1EEEvSQ_,comdat
	.protected	_ZN7rocprim17ROCPRIM_400000_NS6detail17trampoline_kernelINS0_14default_configENS1_21merge_config_selectorItNS0_10empty_typeEEEZNS1_10merge_implIS3_N6thrust23THRUST_200600_302600_NS6detail15normal_iteratorINS9_10device_ptrIKtEEEESF_NS9_16discard_iteratorINS9_11use_defaultEEEPS5_SJ_SJ_NS9_4lessItEEEE10hipError_tPvRmT0_T1_T2_T3_T4_T5_mmT6_P12ihipStream_tbEUlT_E_NS1_11comp_targetILNS1_3genE9ELNS1_11target_archE1100ELNS1_3gpuE3ELNS1_3repE0EEENS1_30default_config_static_selectorELNS0_4arch9wavefront6targetE1EEEvSQ_ ; -- Begin function _ZN7rocprim17ROCPRIM_400000_NS6detail17trampoline_kernelINS0_14default_configENS1_21merge_config_selectorItNS0_10empty_typeEEEZNS1_10merge_implIS3_N6thrust23THRUST_200600_302600_NS6detail15normal_iteratorINS9_10device_ptrIKtEEEESF_NS9_16discard_iteratorINS9_11use_defaultEEEPS5_SJ_SJ_NS9_4lessItEEEE10hipError_tPvRmT0_T1_T2_T3_T4_T5_mmT6_P12ihipStream_tbEUlT_E_NS1_11comp_targetILNS1_3genE9ELNS1_11target_archE1100ELNS1_3gpuE3ELNS1_3repE0EEENS1_30default_config_static_selectorELNS0_4arch9wavefront6targetE1EEEvSQ_
	.globl	_ZN7rocprim17ROCPRIM_400000_NS6detail17trampoline_kernelINS0_14default_configENS1_21merge_config_selectorItNS0_10empty_typeEEEZNS1_10merge_implIS3_N6thrust23THRUST_200600_302600_NS6detail15normal_iteratorINS9_10device_ptrIKtEEEESF_NS9_16discard_iteratorINS9_11use_defaultEEEPS5_SJ_SJ_NS9_4lessItEEEE10hipError_tPvRmT0_T1_T2_T3_T4_T5_mmT6_P12ihipStream_tbEUlT_E_NS1_11comp_targetILNS1_3genE9ELNS1_11target_archE1100ELNS1_3gpuE3ELNS1_3repE0EEENS1_30default_config_static_selectorELNS0_4arch9wavefront6targetE1EEEvSQ_
	.p2align	8
	.type	_ZN7rocprim17ROCPRIM_400000_NS6detail17trampoline_kernelINS0_14default_configENS1_21merge_config_selectorItNS0_10empty_typeEEEZNS1_10merge_implIS3_N6thrust23THRUST_200600_302600_NS6detail15normal_iteratorINS9_10device_ptrIKtEEEESF_NS9_16discard_iteratorINS9_11use_defaultEEEPS5_SJ_SJ_NS9_4lessItEEEE10hipError_tPvRmT0_T1_T2_T3_T4_T5_mmT6_P12ihipStream_tbEUlT_E_NS1_11comp_targetILNS1_3genE9ELNS1_11target_archE1100ELNS1_3gpuE3ELNS1_3repE0EEENS1_30default_config_static_selectorELNS0_4arch9wavefront6targetE1EEEvSQ_,@function
_ZN7rocprim17ROCPRIM_400000_NS6detail17trampoline_kernelINS0_14default_configENS1_21merge_config_selectorItNS0_10empty_typeEEEZNS1_10merge_implIS3_N6thrust23THRUST_200600_302600_NS6detail15normal_iteratorINS9_10device_ptrIKtEEEESF_NS9_16discard_iteratorINS9_11use_defaultEEEPS5_SJ_SJ_NS9_4lessItEEEE10hipError_tPvRmT0_T1_T2_T3_T4_T5_mmT6_P12ihipStream_tbEUlT_E_NS1_11comp_targetILNS1_3genE9ELNS1_11target_archE1100ELNS1_3gpuE3ELNS1_3repE0EEENS1_30default_config_static_selectorELNS0_4arch9wavefront6targetE1EEEvSQ_: ; @_ZN7rocprim17ROCPRIM_400000_NS6detail17trampoline_kernelINS0_14default_configENS1_21merge_config_selectorItNS0_10empty_typeEEEZNS1_10merge_implIS3_N6thrust23THRUST_200600_302600_NS6detail15normal_iteratorINS9_10device_ptrIKtEEEESF_NS9_16discard_iteratorINS9_11use_defaultEEEPS5_SJ_SJ_NS9_4lessItEEEE10hipError_tPvRmT0_T1_T2_T3_T4_T5_mmT6_P12ihipStream_tbEUlT_E_NS1_11comp_targetILNS1_3genE9ELNS1_11target_archE1100ELNS1_3gpuE3ELNS1_3repE0EEENS1_30default_config_static_selectorELNS0_4arch9wavefront6targetE1EEEvSQ_
; %bb.0:
	.section	.rodata,"a",@progbits
	.p2align	6, 0x0
	.amdhsa_kernel _ZN7rocprim17ROCPRIM_400000_NS6detail17trampoline_kernelINS0_14default_configENS1_21merge_config_selectorItNS0_10empty_typeEEEZNS1_10merge_implIS3_N6thrust23THRUST_200600_302600_NS6detail15normal_iteratorINS9_10device_ptrIKtEEEESF_NS9_16discard_iteratorINS9_11use_defaultEEEPS5_SJ_SJ_NS9_4lessItEEEE10hipError_tPvRmT0_T1_T2_T3_T4_T5_mmT6_P12ihipStream_tbEUlT_E_NS1_11comp_targetILNS1_3genE9ELNS1_11target_archE1100ELNS1_3gpuE3ELNS1_3repE0EEENS1_30default_config_static_selectorELNS0_4arch9wavefront6targetE1EEEvSQ_
		.amdhsa_group_segment_fixed_size 0
		.amdhsa_private_segment_fixed_size 0
		.amdhsa_kernarg_size 48
		.amdhsa_user_sgpr_count 6
		.amdhsa_user_sgpr_private_segment_buffer 1
		.amdhsa_user_sgpr_dispatch_ptr 0
		.amdhsa_user_sgpr_queue_ptr 0
		.amdhsa_user_sgpr_kernarg_segment_ptr 1
		.amdhsa_user_sgpr_dispatch_id 0
		.amdhsa_user_sgpr_flat_scratch_init 0
		.amdhsa_user_sgpr_kernarg_preload_length 0
		.amdhsa_user_sgpr_kernarg_preload_offset 0
		.amdhsa_user_sgpr_private_segment_size 0
		.amdhsa_uses_dynamic_stack 0
		.amdhsa_system_sgpr_private_segment_wavefront_offset 0
		.amdhsa_system_sgpr_workgroup_id_x 1
		.amdhsa_system_sgpr_workgroup_id_y 0
		.amdhsa_system_sgpr_workgroup_id_z 0
		.amdhsa_system_sgpr_workgroup_info 0
		.amdhsa_system_vgpr_workitem_id 0
		.amdhsa_next_free_vgpr 1
		.amdhsa_next_free_sgpr 0
		.amdhsa_accum_offset 4
		.amdhsa_reserve_vcc 0
		.amdhsa_reserve_flat_scratch 0
		.amdhsa_float_round_mode_32 0
		.amdhsa_float_round_mode_16_64 0
		.amdhsa_float_denorm_mode_32 3
		.amdhsa_float_denorm_mode_16_64 3
		.amdhsa_dx10_clamp 1
		.amdhsa_ieee_mode 1
		.amdhsa_fp16_overflow 0
		.amdhsa_tg_split 0
		.amdhsa_exception_fp_ieee_invalid_op 0
		.amdhsa_exception_fp_denorm_src 0
		.amdhsa_exception_fp_ieee_div_zero 0
		.amdhsa_exception_fp_ieee_overflow 0
		.amdhsa_exception_fp_ieee_underflow 0
		.amdhsa_exception_fp_ieee_inexact 0
		.amdhsa_exception_int_div_zero 0
	.end_amdhsa_kernel
	.section	.text._ZN7rocprim17ROCPRIM_400000_NS6detail17trampoline_kernelINS0_14default_configENS1_21merge_config_selectorItNS0_10empty_typeEEEZNS1_10merge_implIS3_N6thrust23THRUST_200600_302600_NS6detail15normal_iteratorINS9_10device_ptrIKtEEEESF_NS9_16discard_iteratorINS9_11use_defaultEEEPS5_SJ_SJ_NS9_4lessItEEEE10hipError_tPvRmT0_T1_T2_T3_T4_T5_mmT6_P12ihipStream_tbEUlT_E_NS1_11comp_targetILNS1_3genE9ELNS1_11target_archE1100ELNS1_3gpuE3ELNS1_3repE0EEENS1_30default_config_static_selectorELNS0_4arch9wavefront6targetE1EEEvSQ_,"axG",@progbits,_ZN7rocprim17ROCPRIM_400000_NS6detail17trampoline_kernelINS0_14default_configENS1_21merge_config_selectorItNS0_10empty_typeEEEZNS1_10merge_implIS3_N6thrust23THRUST_200600_302600_NS6detail15normal_iteratorINS9_10device_ptrIKtEEEESF_NS9_16discard_iteratorINS9_11use_defaultEEEPS5_SJ_SJ_NS9_4lessItEEEE10hipError_tPvRmT0_T1_T2_T3_T4_T5_mmT6_P12ihipStream_tbEUlT_E_NS1_11comp_targetILNS1_3genE9ELNS1_11target_archE1100ELNS1_3gpuE3ELNS1_3repE0EEENS1_30default_config_static_selectorELNS0_4arch9wavefront6targetE1EEEvSQ_,comdat
.Lfunc_end396:
	.size	_ZN7rocprim17ROCPRIM_400000_NS6detail17trampoline_kernelINS0_14default_configENS1_21merge_config_selectorItNS0_10empty_typeEEEZNS1_10merge_implIS3_N6thrust23THRUST_200600_302600_NS6detail15normal_iteratorINS9_10device_ptrIKtEEEESF_NS9_16discard_iteratorINS9_11use_defaultEEEPS5_SJ_SJ_NS9_4lessItEEEE10hipError_tPvRmT0_T1_T2_T3_T4_T5_mmT6_P12ihipStream_tbEUlT_E_NS1_11comp_targetILNS1_3genE9ELNS1_11target_archE1100ELNS1_3gpuE3ELNS1_3repE0EEENS1_30default_config_static_selectorELNS0_4arch9wavefront6targetE1EEEvSQ_, .Lfunc_end396-_ZN7rocprim17ROCPRIM_400000_NS6detail17trampoline_kernelINS0_14default_configENS1_21merge_config_selectorItNS0_10empty_typeEEEZNS1_10merge_implIS3_N6thrust23THRUST_200600_302600_NS6detail15normal_iteratorINS9_10device_ptrIKtEEEESF_NS9_16discard_iteratorINS9_11use_defaultEEEPS5_SJ_SJ_NS9_4lessItEEEE10hipError_tPvRmT0_T1_T2_T3_T4_T5_mmT6_P12ihipStream_tbEUlT_E_NS1_11comp_targetILNS1_3genE9ELNS1_11target_archE1100ELNS1_3gpuE3ELNS1_3repE0EEENS1_30default_config_static_selectorELNS0_4arch9wavefront6targetE1EEEvSQ_
                                        ; -- End function
	.section	.AMDGPU.csdata,"",@progbits
; Kernel info:
; codeLenInByte = 0
; NumSgprs: 4
; NumVgprs: 0
; NumAgprs: 0
; TotalNumVgprs: 0
; ScratchSize: 0
; MemoryBound: 0
; FloatMode: 240
; IeeeMode: 1
; LDSByteSize: 0 bytes/workgroup (compile time only)
; SGPRBlocks: 0
; VGPRBlocks: 0
; NumSGPRsForWavesPerEU: 4
; NumVGPRsForWavesPerEU: 1
; AccumOffset: 4
; Occupancy: 8
; WaveLimiterHint : 0
; COMPUTE_PGM_RSRC2:SCRATCH_EN: 0
; COMPUTE_PGM_RSRC2:USER_SGPR: 6
; COMPUTE_PGM_RSRC2:TRAP_HANDLER: 0
; COMPUTE_PGM_RSRC2:TGID_X_EN: 1
; COMPUTE_PGM_RSRC2:TGID_Y_EN: 0
; COMPUTE_PGM_RSRC2:TGID_Z_EN: 0
; COMPUTE_PGM_RSRC2:TIDIG_COMP_CNT: 0
; COMPUTE_PGM_RSRC3_GFX90A:ACCUM_OFFSET: 0
; COMPUTE_PGM_RSRC3_GFX90A:TG_SPLIT: 0
	.section	.text._ZN7rocprim17ROCPRIM_400000_NS6detail17trampoline_kernelINS0_14default_configENS1_21merge_config_selectorItNS0_10empty_typeEEEZNS1_10merge_implIS3_N6thrust23THRUST_200600_302600_NS6detail15normal_iteratorINS9_10device_ptrIKtEEEESF_NS9_16discard_iteratorINS9_11use_defaultEEEPS5_SJ_SJ_NS9_4lessItEEEE10hipError_tPvRmT0_T1_T2_T3_T4_T5_mmT6_P12ihipStream_tbEUlT_E_NS1_11comp_targetILNS1_3genE8ELNS1_11target_archE1030ELNS1_3gpuE2ELNS1_3repE0EEENS1_30default_config_static_selectorELNS0_4arch9wavefront6targetE1EEEvSQ_,"axG",@progbits,_ZN7rocprim17ROCPRIM_400000_NS6detail17trampoline_kernelINS0_14default_configENS1_21merge_config_selectorItNS0_10empty_typeEEEZNS1_10merge_implIS3_N6thrust23THRUST_200600_302600_NS6detail15normal_iteratorINS9_10device_ptrIKtEEEESF_NS9_16discard_iteratorINS9_11use_defaultEEEPS5_SJ_SJ_NS9_4lessItEEEE10hipError_tPvRmT0_T1_T2_T3_T4_T5_mmT6_P12ihipStream_tbEUlT_E_NS1_11comp_targetILNS1_3genE8ELNS1_11target_archE1030ELNS1_3gpuE2ELNS1_3repE0EEENS1_30default_config_static_selectorELNS0_4arch9wavefront6targetE1EEEvSQ_,comdat
	.protected	_ZN7rocprim17ROCPRIM_400000_NS6detail17trampoline_kernelINS0_14default_configENS1_21merge_config_selectorItNS0_10empty_typeEEEZNS1_10merge_implIS3_N6thrust23THRUST_200600_302600_NS6detail15normal_iteratorINS9_10device_ptrIKtEEEESF_NS9_16discard_iteratorINS9_11use_defaultEEEPS5_SJ_SJ_NS9_4lessItEEEE10hipError_tPvRmT0_T1_T2_T3_T4_T5_mmT6_P12ihipStream_tbEUlT_E_NS1_11comp_targetILNS1_3genE8ELNS1_11target_archE1030ELNS1_3gpuE2ELNS1_3repE0EEENS1_30default_config_static_selectorELNS0_4arch9wavefront6targetE1EEEvSQ_ ; -- Begin function _ZN7rocprim17ROCPRIM_400000_NS6detail17trampoline_kernelINS0_14default_configENS1_21merge_config_selectorItNS0_10empty_typeEEEZNS1_10merge_implIS3_N6thrust23THRUST_200600_302600_NS6detail15normal_iteratorINS9_10device_ptrIKtEEEESF_NS9_16discard_iteratorINS9_11use_defaultEEEPS5_SJ_SJ_NS9_4lessItEEEE10hipError_tPvRmT0_T1_T2_T3_T4_T5_mmT6_P12ihipStream_tbEUlT_E_NS1_11comp_targetILNS1_3genE8ELNS1_11target_archE1030ELNS1_3gpuE2ELNS1_3repE0EEENS1_30default_config_static_selectorELNS0_4arch9wavefront6targetE1EEEvSQ_
	.globl	_ZN7rocprim17ROCPRIM_400000_NS6detail17trampoline_kernelINS0_14default_configENS1_21merge_config_selectorItNS0_10empty_typeEEEZNS1_10merge_implIS3_N6thrust23THRUST_200600_302600_NS6detail15normal_iteratorINS9_10device_ptrIKtEEEESF_NS9_16discard_iteratorINS9_11use_defaultEEEPS5_SJ_SJ_NS9_4lessItEEEE10hipError_tPvRmT0_T1_T2_T3_T4_T5_mmT6_P12ihipStream_tbEUlT_E_NS1_11comp_targetILNS1_3genE8ELNS1_11target_archE1030ELNS1_3gpuE2ELNS1_3repE0EEENS1_30default_config_static_selectorELNS0_4arch9wavefront6targetE1EEEvSQ_
	.p2align	8
	.type	_ZN7rocprim17ROCPRIM_400000_NS6detail17trampoline_kernelINS0_14default_configENS1_21merge_config_selectorItNS0_10empty_typeEEEZNS1_10merge_implIS3_N6thrust23THRUST_200600_302600_NS6detail15normal_iteratorINS9_10device_ptrIKtEEEESF_NS9_16discard_iteratorINS9_11use_defaultEEEPS5_SJ_SJ_NS9_4lessItEEEE10hipError_tPvRmT0_T1_T2_T3_T4_T5_mmT6_P12ihipStream_tbEUlT_E_NS1_11comp_targetILNS1_3genE8ELNS1_11target_archE1030ELNS1_3gpuE2ELNS1_3repE0EEENS1_30default_config_static_selectorELNS0_4arch9wavefront6targetE1EEEvSQ_,@function
_ZN7rocprim17ROCPRIM_400000_NS6detail17trampoline_kernelINS0_14default_configENS1_21merge_config_selectorItNS0_10empty_typeEEEZNS1_10merge_implIS3_N6thrust23THRUST_200600_302600_NS6detail15normal_iteratorINS9_10device_ptrIKtEEEESF_NS9_16discard_iteratorINS9_11use_defaultEEEPS5_SJ_SJ_NS9_4lessItEEEE10hipError_tPvRmT0_T1_T2_T3_T4_T5_mmT6_P12ihipStream_tbEUlT_E_NS1_11comp_targetILNS1_3genE8ELNS1_11target_archE1030ELNS1_3gpuE2ELNS1_3repE0EEENS1_30default_config_static_selectorELNS0_4arch9wavefront6targetE1EEEvSQ_: ; @_ZN7rocprim17ROCPRIM_400000_NS6detail17trampoline_kernelINS0_14default_configENS1_21merge_config_selectorItNS0_10empty_typeEEEZNS1_10merge_implIS3_N6thrust23THRUST_200600_302600_NS6detail15normal_iteratorINS9_10device_ptrIKtEEEESF_NS9_16discard_iteratorINS9_11use_defaultEEEPS5_SJ_SJ_NS9_4lessItEEEE10hipError_tPvRmT0_T1_T2_T3_T4_T5_mmT6_P12ihipStream_tbEUlT_E_NS1_11comp_targetILNS1_3genE8ELNS1_11target_archE1030ELNS1_3gpuE2ELNS1_3repE0EEENS1_30default_config_static_selectorELNS0_4arch9wavefront6targetE1EEEvSQ_
; %bb.0:
	.section	.rodata,"a",@progbits
	.p2align	6, 0x0
	.amdhsa_kernel _ZN7rocprim17ROCPRIM_400000_NS6detail17trampoline_kernelINS0_14default_configENS1_21merge_config_selectorItNS0_10empty_typeEEEZNS1_10merge_implIS3_N6thrust23THRUST_200600_302600_NS6detail15normal_iteratorINS9_10device_ptrIKtEEEESF_NS9_16discard_iteratorINS9_11use_defaultEEEPS5_SJ_SJ_NS9_4lessItEEEE10hipError_tPvRmT0_T1_T2_T3_T4_T5_mmT6_P12ihipStream_tbEUlT_E_NS1_11comp_targetILNS1_3genE8ELNS1_11target_archE1030ELNS1_3gpuE2ELNS1_3repE0EEENS1_30default_config_static_selectorELNS0_4arch9wavefront6targetE1EEEvSQ_
		.amdhsa_group_segment_fixed_size 0
		.amdhsa_private_segment_fixed_size 0
		.amdhsa_kernarg_size 48
		.amdhsa_user_sgpr_count 6
		.amdhsa_user_sgpr_private_segment_buffer 1
		.amdhsa_user_sgpr_dispatch_ptr 0
		.amdhsa_user_sgpr_queue_ptr 0
		.amdhsa_user_sgpr_kernarg_segment_ptr 1
		.amdhsa_user_sgpr_dispatch_id 0
		.amdhsa_user_sgpr_flat_scratch_init 0
		.amdhsa_user_sgpr_kernarg_preload_length 0
		.amdhsa_user_sgpr_kernarg_preload_offset 0
		.amdhsa_user_sgpr_private_segment_size 0
		.amdhsa_uses_dynamic_stack 0
		.amdhsa_system_sgpr_private_segment_wavefront_offset 0
		.amdhsa_system_sgpr_workgroup_id_x 1
		.amdhsa_system_sgpr_workgroup_id_y 0
		.amdhsa_system_sgpr_workgroup_id_z 0
		.amdhsa_system_sgpr_workgroup_info 0
		.amdhsa_system_vgpr_workitem_id 0
		.amdhsa_next_free_vgpr 1
		.amdhsa_next_free_sgpr 0
		.amdhsa_accum_offset 4
		.amdhsa_reserve_vcc 0
		.amdhsa_reserve_flat_scratch 0
		.amdhsa_float_round_mode_32 0
		.amdhsa_float_round_mode_16_64 0
		.amdhsa_float_denorm_mode_32 3
		.amdhsa_float_denorm_mode_16_64 3
		.amdhsa_dx10_clamp 1
		.amdhsa_ieee_mode 1
		.amdhsa_fp16_overflow 0
		.amdhsa_tg_split 0
		.amdhsa_exception_fp_ieee_invalid_op 0
		.amdhsa_exception_fp_denorm_src 0
		.amdhsa_exception_fp_ieee_div_zero 0
		.amdhsa_exception_fp_ieee_overflow 0
		.amdhsa_exception_fp_ieee_underflow 0
		.amdhsa_exception_fp_ieee_inexact 0
		.amdhsa_exception_int_div_zero 0
	.end_amdhsa_kernel
	.section	.text._ZN7rocprim17ROCPRIM_400000_NS6detail17trampoline_kernelINS0_14default_configENS1_21merge_config_selectorItNS0_10empty_typeEEEZNS1_10merge_implIS3_N6thrust23THRUST_200600_302600_NS6detail15normal_iteratorINS9_10device_ptrIKtEEEESF_NS9_16discard_iteratorINS9_11use_defaultEEEPS5_SJ_SJ_NS9_4lessItEEEE10hipError_tPvRmT0_T1_T2_T3_T4_T5_mmT6_P12ihipStream_tbEUlT_E_NS1_11comp_targetILNS1_3genE8ELNS1_11target_archE1030ELNS1_3gpuE2ELNS1_3repE0EEENS1_30default_config_static_selectorELNS0_4arch9wavefront6targetE1EEEvSQ_,"axG",@progbits,_ZN7rocprim17ROCPRIM_400000_NS6detail17trampoline_kernelINS0_14default_configENS1_21merge_config_selectorItNS0_10empty_typeEEEZNS1_10merge_implIS3_N6thrust23THRUST_200600_302600_NS6detail15normal_iteratorINS9_10device_ptrIKtEEEESF_NS9_16discard_iteratorINS9_11use_defaultEEEPS5_SJ_SJ_NS9_4lessItEEEE10hipError_tPvRmT0_T1_T2_T3_T4_T5_mmT6_P12ihipStream_tbEUlT_E_NS1_11comp_targetILNS1_3genE8ELNS1_11target_archE1030ELNS1_3gpuE2ELNS1_3repE0EEENS1_30default_config_static_selectorELNS0_4arch9wavefront6targetE1EEEvSQ_,comdat
.Lfunc_end397:
	.size	_ZN7rocprim17ROCPRIM_400000_NS6detail17trampoline_kernelINS0_14default_configENS1_21merge_config_selectorItNS0_10empty_typeEEEZNS1_10merge_implIS3_N6thrust23THRUST_200600_302600_NS6detail15normal_iteratorINS9_10device_ptrIKtEEEESF_NS9_16discard_iteratorINS9_11use_defaultEEEPS5_SJ_SJ_NS9_4lessItEEEE10hipError_tPvRmT0_T1_T2_T3_T4_T5_mmT6_P12ihipStream_tbEUlT_E_NS1_11comp_targetILNS1_3genE8ELNS1_11target_archE1030ELNS1_3gpuE2ELNS1_3repE0EEENS1_30default_config_static_selectorELNS0_4arch9wavefront6targetE1EEEvSQ_, .Lfunc_end397-_ZN7rocprim17ROCPRIM_400000_NS6detail17trampoline_kernelINS0_14default_configENS1_21merge_config_selectorItNS0_10empty_typeEEEZNS1_10merge_implIS3_N6thrust23THRUST_200600_302600_NS6detail15normal_iteratorINS9_10device_ptrIKtEEEESF_NS9_16discard_iteratorINS9_11use_defaultEEEPS5_SJ_SJ_NS9_4lessItEEEE10hipError_tPvRmT0_T1_T2_T3_T4_T5_mmT6_P12ihipStream_tbEUlT_E_NS1_11comp_targetILNS1_3genE8ELNS1_11target_archE1030ELNS1_3gpuE2ELNS1_3repE0EEENS1_30default_config_static_selectorELNS0_4arch9wavefront6targetE1EEEvSQ_
                                        ; -- End function
	.section	.AMDGPU.csdata,"",@progbits
; Kernel info:
; codeLenInByte = 0
; NumSgprs: 4
; NumVgprs: 0
; NumAgprs: 0
; TotalNumVgprs: 0
; ScratchSize: 0
; MemoryBound: 0
; FloatMode: 240
; IeeeMode: 1
; LDSByteSize: 0 bytes/workgroup (compile time only)
; SGPRBlocks: 0
; VGPRBlocks: 0
; NumSGPRsForWavesPerEU: 4
; NumVGPRsForWavesPerEU: 1
; AccumOffset: 4
; Occupancy: 8
; WaveLimiterHint : 0
; COMPUTE_PGM_RSRC2:SCRATCH_EN: 0
; COMPUTE_PGM_RSRC2:USER_SGPR: 6
; COMPUTE_PGM_RSRC2:TRAP_HANDLER: 0
; COMPUTE_PGM_RSRC2:TGID_X_EN: 1
; COMPUTE_PGM_RSRC2:TGID_Y_EN: 0
; COMPUTE_PGM_RSRC2:TGID_Z_EN: 0
; COMPUTE_PGM_RSRC2:TIDIG_COMP_CNT: 0
; COMPUTE_PGM_RSRC3_GFX90A:ACCUM_OFFSET: 0
; COMPUTE_PGM_RSRC3_GFX90A:TG_SPLIT: 0
	.section	.text._ZN7rocprim17ROCPRIM_400000_NS6detail17trampoline_kernelINS0_14default_configENS1_21merge_config_selectorItNS0_10empty_typeEEEZNS1_10merge_implIS3_N6thrust23THRUST_200600_302600_NS6detail15normal_iteratorINS9_10device_ptrIKtEEEESF_NS9_16discard_iteratorINS9_11use_defaultEEEPS5_SJ_SJ_NS9_4lessItEEEE10hipError_tPvRmT0_T1_T2_T3_T4_T5_mmT6_P12ihipStream_tbEUlT_E0_NS1_11comp_targetILNS1_3genE0ELNS1_11target_archE4294967295ELNS1_3gpuE0ELNS1_3repE0EEENS1_30default_config_static_selectorELNS0_4arch9wavefront6targetE1EEEvSQ_,"axG",@progbits,_ZN7rocprim17ROCPRIM_400000_NS6detail17trampoline_kernelINS0_14default_configENS1_21merge_config_selectorItNS0_10empty_typeEEEZNS1_10merge_implIS3_N6thrust23THRUST_200600_302600_NS6detail15normal_iteratorINS9_10device_ptrIKtEEEESF_NS9_16discard_iteratorINS9_11use_defaultEEEPS5_SJ_SJ_NS9_4lessItEEEE10hipError_tPvRmT0_T1_T2_T3_T4_T5_mmT6_P12ihipStream_tbEUlT_E0_NS1_11comp_targetILNS1_3genE0ELNS1_11target_archE4294967295ELNS1_3gpuE0ELNS1_3repE0EEENS1_30default_config_static_selectorELNS0_4arch9wavefront6targetE1EEEvSQ_,comdat
	.protected	_ZN7rocprim17ROCPRIM_400000_NS6detail17trampoline_kernelINS0_14default_configENS1_21merge_config_selectorItNS0_10empty_typeEEEZNS1_10merge_implIS3_N6thrust23THRUST_200600_302600_NS6detail15normal_iteratorINS9_10device_ptrIKtEEEESF_NS9_16discard_iteratorINS9_11use_defaultEEEPS5_SJ_SJ_NS9_4lessItEEEE10hipError_tPvRmT0_T1_T2_T3_T4_T5_mmT6_P12ihipStream_tbEUlT_E0_NS1_11comp_targetILNS1_3genE0ELNS1_11target_archE4294967295ELNS1_3gpuE0ELNS1_3repE0EEENS1_30default_config_static_selectorELNS0_4arch9wavefront6targetE1EEEvSQ_ ; -- Begin function _ZN7rocprim17ROCPRIM_400000_NS6detail17trampoline_kernelINS0_14default_configENS1_21merge_config_selectorItNS0_10empty_typeEEEZNS1_10merge_implIS3_N6thrust23THRUST_200600_302600_NS6detail15normal_iteratorINS9_10device_ptrIKtEEEESF_NS9_16discard_iteratorINS9_11use_defaultEEEPS5_SJ_SJ_NS9_4lessItEEEE10hipError_tPvRmT0_T1_T2_T3_T4_T5_mmT6_P12ihipStream_tbEUlT_E0_NS1_11comp_targetILNS1_3genE0ELNS1_11target_archE4294967295ELNS1_3gpuE0ELNS1_3repE0EEENS1_30default_config_static_selectorELNS0_4arch9wavefront6targetE1EEEvSQ_
	.globl	_ZN7rocprim17ROCPRIM_400000_NS6detail17trampoline_kernelINS0_14default_configENS1_21merge_config_selectorItNS0_10empty_typeEEEZNS1_10merge_implIS3_N6thrust23THRUST_200600_302600_NS6detail15normal_iteratorINS9_10device_ptrIKtEEEESF_NS9_16discard_iteratorINS9_11use_defaultEEEPS5_SJ_SJ_NS9_4lessItEEEE10hipError_tPvRmT0_T1_T2_T3_T4_T5_mmT6_P12ihipStream_tbEUlT_E0_NS1_11comp_targetILNS1_3genE0ELNS1_11target_archE4294967295ELNS1_3gpuE0ELNS1_3repE0EEENS1_30default_config_static_selectorELNS0_4arch9wavefront6targetE1EEEvSQ_
	.p2align	8
	.type	_ZN7rocprim17ROCPRIM_400000_NS6detail17trampoline_kernelINS0_14default_configENS1_21merge_config_selectorItNS0_10empty_typeEEEZNS1_10merge_implIS3_N6thrust23THRUST_200600_302600_NS6detail15normal_iteratorINS9_10device_ptrIKtEEEESF_NS9_16discard_iteratorINS9_11use_defaultEEEPS5_SJ_SJ_NS9_4lessItEEEE10hipError_tPvRmT0_T1_T2_T3_T4_T5_mmT6_P12ihipStream_tbEUlT_E0_NS1_11comp_targetILNS1_3genE0ELNS1_11target_archE4294967295ELNS1_3gpuE0ELNS1_3repE0EEENS1_30default_config_static_selectorELNS0_4arch9wavefront6targetE1EEEvSQ_,@function
_ZN7rocprim17ROCPRIM_400000_NS6detail17trampoline_kernelINS0_14default_configENS1_21merge_config_selectorItNS0_10empty_typeEEEZNS1_10merge_implIS3_N6thrust23THRUST_200600_302600_NS6detail15normal_iteratorINS9_10device_ptrIKtEEEESF_NS9_16discard_iteratorINS9_11use_defaultEEEPS5_SJ_SJ_NS9_4lessItEEEE10hipError_tPvRmT0_T1_T2_T3_T4_T5_mmT6_P12ihipStream_tbEUlT_E0_NS1_11comp_targetILNS1_3genE0ELNS1_11target_archE4294967295ELNS1_3gpuE0ELNS1_3repE0EEENS1_30default_config_static_selectorELNS0_4arch9wavefront6targetE1EEEvSQ_: ; @_ZN7rocprim17ROCPRIM_400000_NS6detail17trampoline_kernelINS0_14default_configENS1_21merge_config_selectorItNS0_10empty_typeEEEZNS1_10merge_implIS3_N6thrust23THRUST_200600_302600_NS6detail15normal_iteratorINS9_10device_ptrIKtEEEESF_NS9_16discard_iteratorINS9_11use_defaultEEEPS5_SJ_SJ_NS9_4lessItEEEE10hipError_tPvRmT0_T1_T2_T3_T4_T5_mmT6_P12ihipStream_tbEUlT_E0_NS1_11comp_targetILNS1_3genE0ELNS1_11target_archE4294967295ELNS1_3gpuE0ELNS1_3repE0EEENS1_30default_config_static_selectorELNS0_4arch9wavefront6targetE1EEEvSQ_
; %bb.0:
	.section	.rodata,"a",@progbits
	.p2align	6, 0x0
	.amdhsa_kernel _ZN7rocprim17ROCPRIM_400000_NS6detail17trampoline_kernelINS0_14default_configENS1_21merge_config_selectorItNS0_10empty_typeEEEZNS1_10merge_implIS3_N6thrust23THRUST_200600_302600_NS6detail15normal_iteratorINS9_10device_ptrIKtEEEESF_NS9_16discard_iteratorINS9_11use_defaultEEEPS5_SJ_SJ_NS9_4lessItEEEE10hipError_tPvRmT0_T1_T2_T3_T4_T5_mmT6_P12ihipStream_tbEUlT_E0_NS1_11comp_targetILNS1_3genE0ELNS1_11target_archE4294967295ELNS1_3gpuE0ELNS1_3repE0EEENS1_30default_config_static_selectorELNS0_4arch9wavefront6targetE1EEEvSQ_
		.amdhsa_group_segment_fixed_size 0
		.amdhsa_private_segment_fixed_size 0
		.amdhsa_kernarg_size 96
		.amdhsa_user_sgpr_count 6
		.amdhsa_user_sgpr_private_segment_buffer 1
		.amdhsa_user_sgpr_dispatch_ptr 0
		.amdhsa_user_sgpr_queue_ptr 0
		.amdhsa_user_sgpr_kernarg_segment_ptr 1
		.amdhsa_user_sgpr_dispatch_id 0
		.amdhsa_user_sgpr_flat_scratch_init 0
		.amdhsa_user_sgpr_kernarg_preload_length 0
		.amdhsa_user_sgpr_kernarg_preload_offset 0
		.amdhsa_user_sgpr_private_segment_size 0
		.amdhsa_uses_dynamic_stack 0
		.amdhsa_system_sgpr_private_segment_wavefront_offset 0
		.amdhsa_system_sgpr_workgroup_id_x 1
		.amdhsa_system_sgpr_workgroup_id_y 0
		.amdhsa_system_sgpr_workgroup_id_z 0
		.amdhsa_system_sgpr_workgroup_info 0
		.amdhsa_system_vgpr_workitem_id 0
		.amdhsa_next_free_vgpr 1
		.amdhsa_next_free_sgpr 0
		.amdhsa_accum_offset 4
		.amdhsa_reserve_vcc 0
		.amdhsa_reserve_flat_scratch 0
		.amdhsa_float_round_mode_32 0
		.amdhsa_float_round_mode_16_64 0
		.amdhsa_float_denorm_mode_32 3
		.amdhsa_float_denorm_mode_16_64 3
		.amdhsa_dx10_clamp 1
		.amdhsa_ieee_mode 1
		.amdhsa_fp16_overflow 0
		.amdhsa_tg_split 0
		.amdhsa_exception_fp_ieee_invalid_op 0
		.amdhsa_exception_fp_denorm_src 0
		.amdhsa_exception_fp_ieee_div_zero 0
		.amdhsa_exception_fp_ieee_overflow 0
		.amdhsa_exception_fp_ieee_underflow 0
		.amdhsa_exception_fp_ieee_inexact 0
		.amdhsa_exception_int_div_zero 0
	.end_amdhsa_kernel
	.section	.text._ZN7rocprim17ROCPRIM_400000_NS6detail17trampoline_kernelINS0_14default_configENS1_21merge_config_selectorItNS0_10empty_typeEEEZNS1_10merge_implIS3_N6thrust23THRUST_200600_302600_NS6detail15normal_iteratorINS9_10device_ptrIKtEEEESF_NS9_16discard_iteratorINS9_11use_defaultEEEPS5_SJ_SJ_NS9_4lessItEEEE10hipError_tPvRmT0_T1_T2_T3_T4_T5_mmT6_P12ihipStream_tbEUlT_E0_NS1_11comp_targetILNS1_3genE0ELNS1_11target_archE4294967295ELNS1_3gpuE0ELNS1_3repE0EEENS1_30default_config_static_selectorELNS0_4arch9wavefront6targetE1EEEvSQ_,"axG",@progbits,_ZN7rocprim17ROCPRIM_400000_NS6detail17trampoline_kernelINS0_14default_configENS1_21merge_config_selectorItNS0_10empty_typeEEEZNS1_10merge_implIS3_N6thrust23THRUST_200600_302600_NS6detail15normal_iteratorINS9_10device_ptrIKtEEEESF_NS9_16discard_iteratorINS9_11use_defaultEEEPS5_SJ_SJ_NS9_4lessItEEEE10hipError_tPvRmT0_T1_T2_T3_T4_T5_mmT6_P12ihipStream_tbEUlT_E0_NS1_11comp_targetILNS1_3genE0ELNS1_11target_archE4294967295ELNS1_3gpuE0ELNS1_3repE0EEENS1_30default_config_static_selectorELNS0_4arch9wavefront6targetE1EEEvSQ_,comdat
.Lfunc_end398:
	.size	_ZN7rocprim17ROCPRIM_400000_NS6detail17trampoline_kernelINS0_14default_configENS1_21merge_config_selectorItNS0_10empty_typeEEEZNS1_10merge_implIS3_N6thrust23THRUST_200600_302600_NS6detail15normal_iteratorINS9_10device_ptrIKtEEEESF_NS9_16discard_iteratorINS9_11use_defaultEEEPS5_SJ_SJ_NS9_4lessItEEEE10hipError_tPvRmT0_T1_T2_T3_T4_T5_mmT6_P12ihipStream_tbEUlT_E0_NS1_11comp_targetILNS1_3genE0ELNS1_11target_archE4294967295ELNS1_3gpuE0ELNS1_3repE0EEENS1_30default_config_static_selectorELNS0_4arch9wavefront6targetE1EEEvSQ_, .Lfunc_end398-_ZN7rocprim17ROCPRIM_400000_NS6detail17trampoline_kernelINS0_14default_configENS1_21merge_config_selectorItNS0_10empty_typeEEEZNS1_10merge_implIS3_N6thrust23THRUST_200600_302600_NS6detail15normal_iteratorINS9_10device_ptrIKtEEEESF_NS9_16discard_iteratorINS9_11use_defaultEEEPS5_SJ_SJ_NS9_4lessItEEEE10hipError_tPvRmT0_T1_T2_T3_T4_T5_mmT6_P12ihipStream_tbEUlT_E0_NS1_11comp_targetILNS1_3genE0ELNS1_11target_archE4294967295ELNS1_3gpuE0ELNS1_3repE0EEENS1_30default_config_static_selectorELNS0_4arch9wavefront6targetE1EEEvSQ_
                                        ; -- End function
	.section	.AMDGPU.csdata,"",@progbits
; Kernel info:
; codeLenInByte = 0
; NumSgprs: 4
; NumVgprs: 0
; NumAgprs: 0
; TotalNumVgprs: 0
; ScratchSize: 0
; MemoryBound: 0
; FloatMode: 240
; IeeeMode: 1
; LDSByteSize: 0 bytes/workgroup (compile time only)
; SGPRBlocks: 0
; VGPRBlocks: 0
; NumSGPRsForWavesPerEU: 4
; NumVGPRsForWavesPerEU: 1
; AccumOffset: 4
; Occupancy: 8
; WaveLimiterHint : 0
; COMPUTE_PGM_RSRC2:SCRATCH_EN: 0
; COMPUTE_PGM_RSRC2:USER_SGPR: 6
; COMPUTE_PGM_RSRC2:TRAP_HANDLER: 0
; COMPUTE_PGM_RSRC2:TGID_X_EN: 1
; COMPUTE_PGM_RSRC2:TGID_Y_EN: 0
; COMPUTE_PGM_RSRC2:TGID_Z_EN: 0
; COMPUTE_PGM_RSRC2:TIDIG_COMP_CNT: 0
; COMPUTE_PGM_RSRC3_GFX90A:ACCUM_OFFSET: 0
; COMPUTE_PGM_RSRC3_GFX90A:TG_SPLIT: 0
	.section	.text._ZN7rocprim17ROCPRIM_400000_NS6detail17trampoline_kernelINS0_14default_configENS1_21merge_config_selectorItNS0_10empty_typeEEEZNS1_10merge_implIS3_N6thrust23THRUST_200600_302600_NS6detail15normal_iteratorINS9_10device_ptrIKtEEEESF_NS9_16discard_iteratorINS9_11use_defaultEEEPS5_SJ_SJ_NS9_4lessItEEEE10hipError_tPvRmT0_T1_T2_T3_T4_T5_mmT6_P12ihipStream_tbEUlT_E0_NS1_11comp_targetILNS1_3genE5ELNS1_11target_archE942ELNS1_3gpuE9ELNS1_3repE0EEENS1_30default_config_static_selectorELNS0_4arch9wavefront6targetE1EEEvSQ_,"axG",@progbits,_ZN7rocprim17ROCPRIM_400000_NS6detail17trampoline_kernelINS0_14default_configENS1_21merge_config_selectorItNS0_10empty_typeEEEZNS1_10merge_implIS3_N6thrust23THRUST_200600_302600_NS6detail15normal_iteratorINS9_10device_ptrIKtEEEESF_NS9_16discard_iteratorINS9_11use_defaultEEEPS5_SJ_SJ_NS9_4lessItEEEE10hipError_tPvRmT0_T1_T2_T3_T4_T5_mmT6_P12ihipStream_tbEUlT_E0_NS1_11comp_targetILNS1_3genE5ELNS1_11target_archE942ELNS1_3gpuE9ELNS1_3repE0EEENS1_30default_config_static_selectorELNS0_4arch9wavefront6targetE1EEEvSQ_,comdat
	.protected	_ZN7rocprim17ROCPRIM_400000_NS6detail17trampoline_kernelINS0_14default_configENS1_21merge_config_selectorItNS0_10empty_typeEEEZNS1_10merge_implIS3_N6thrust23THRUST_200600_302600_NS6detail15normal_iteratorINS9_10device_ptrIKtEEEESF_NS9_16discard_iteratorINS9_11use_defaultEEEPS5_SJ_SJ_NS9_4lessItEEEE10hipError_tPvRmT0_T1_T2_T3_T4_T5_mmT6_P12ihipStream_tbEUlT_E0_NS1_11comp_targetILNS1_3genE5ELNS1_11target_archE942ELNS1_3gpuE9ELNS1_3repE0EEENS1_30default_config_static_selectorELNS0_4arch9wavefront6targetE1EEEvSQ_ ; -- Begin function _ZN7rocprim17ROCPRIM_400000_NS6detail17trampoline_kernelINS0_14default_configENS1_21merge_config_selectorItNS0_10empty_typeEEEZNS1_10merge_implIS3_N6thrust23THRUST_200600_302600_NS6detail15normal_iteratorINS9_10device_ptrIKtEEEESF_NS9_16discard_iteratorINS9_11use_defaultEEEPS5_SJ_SJ_NS9_4lessItEEEE10hipError_tPvRmT0_T1_T2_T3_T4_T5_mmT6_P12ihipStream_tbEUlT_E0_NS1_11comp_targetILNS1_3genE5ELNS1_11target_archE942ELNS1_3gpuE9ELNS1_3repE0EEENS1_30default_config_static_selectorELNS0_4arch9wavefront6targetE1EEEvSQ_
	.globl	_ZN7rocprim17ROCPRIM_400000_NS6detail17trampoline_kernelINS0_14default_configENS1_21merge_config_selectorItNS0_10empty_typeEEEZNS1_10merge_implIS3_N6thrust23THRUST_200600_302600_NS6detail15normal_iteratorINS9_10device_ptrIKtEEEESF_NS9_16discard_iteratorINS9_11use_defaultEEEPS5_SJ_SJ_NS9_4lessItEEEE10hipError_tPvRmT0_T1_T2_T3_T4_T5_mmT6_P12ihipStream_tbEUlT_E0_NS1_11comp_targetILNS1_3genE5ELNS1_11target_archE942ELNS1_3gpuE9ELNS1_3repE0EEENS1_30default_config_static_selectorELNS0_4arch9wavefront6targetE1EEEvSQ_
	.p2align	8
	.type	_ZN7rocprim17ROCPRIM_400000_NS6detail17trampoline_kernelINS0_14default_configENS1_21merge_config_selectorItNS0_10empty_typeEEEZNS1_10merge_implIS3_N6thrust23THRUST_200600_302600_NS6detail15normal_iteratorINS9_10device_ptrIKtEEEESF_NS9_16discard_iteratorINS9_11use_defaultEEEPS5_SJ_SJ_NS9_4lessItEEEE10hipError_tPvRmT0_T1_T2_T3_T4_T5_mmT6_P12ihipStream_tbEUlT_E0_NS1_11comp_targetILNS1_3genE5ELNS1_11target_archE942ELNS1_3gpuE9ELNS1_3repE0EEENS1_30default_config_static_selectorELNS0_4arch9wavefront6targetE1EEEvSQ_,@function
_ZN7rocprim17ROCPRIM_400000_NS6detail17trampoline_kernelINS0_14default_configENS1_21merge_config_selectorItNS0_10empty_typeEEEZNS1_10merge_implIS3_N6thrust23THRUST_200600_302600_NS6detail15normal_iteratorINS9_10device_ptrIKtEEEESF_NS9_16discard_iteratorINS9_11use_defaultEEEPS5_SJ_SJ_NS9_4lessItEEEE10hipError_tPvRmT0_T1_T2_T3_T4_T5_mmT6_P12ihipStream_tbEUlT_E0_NS1_11comp_targetILNS1_3genE5ELNS1_11target_archE942ELNS1_3gpuE9ELNS1_3repE0EEENS1_30default_config_static_selectorELNS0_4arch9wavefront6targetE1EEEvSQ_: ; @_ZN7rocprim17ROCPRIM_400000_NS6detail17trampoline_kernelINS0_14default_configENS1_21merge_config_selectorItNS0_10empty_typeEEEZNS1_10merge_implIS3_N6thrust23THRUST_200600_302600_NS6detail15normal_iteratorINS9_10device_ptrIKtEEEESF_NS9_16discard_iteratorINS9_11use_defaultEEEPS5_SJ_SJ_NS9_4lessItEEEE10hipError_tPvRmT0_T1_T2_T3_T4_T5_mmT6_P12ihipStream_tbEUlT_E0_NS1_11comp_targetILNS1_3genE5ELNS1_11target_archE942ELNS1_3gpuE9ELNS1_3repE0EEENS1_30default_config_static_selectorELNS0_4arch9wavefront6targetE1EEEvSQ_
; %bb.0:
	.section	.rodata,"a",@progbits
	.p2align	6, 0x0
	.amdhsa_kernel _ZN7rocprim17ROCPRIM_400000_NS6detail17trampoline_kernelINS0_14default_configENS1_21merge_config_selectorItNS0_10empty_typeEEEZNS1_10merge_implIS3_N6thrust23THRUST_200600_302600_NS6detail15normal_iteratorINS9_10device_ptrIKtEEEESF_NS9_16discard_iteratorINS9_11use_defaultEEEPS5_SJ_SJ_NS9_4lessItEEEE10hipError_tPvRmT0_T1_T2_T3_T4_T5_mmT6_P12ihipStream_tbEUlT_E0_NS1_11comp_targetILNS1_3genE5ELNS1_11target_archE942ELNS1_3gpuE9ELNS1_3repE0EEENS1_30default_config_static_selectorELNS0_4arch9wavefront6targetE1EEEvSQ_
		.amdhsa_group_segment_fixed_size 0
		.amdhsa_private_segment_fixed_size 0
		.amdhsa_kernarg_size 96
		.amdhsa_user_sgpr_count 6
		.amdhsa_user_sgpr_private_segment_buffer 1
		.amdhsa_user_sgpr_dispatch_ptr 0
		.amdhsa_user_sgpr_queue_ptr 0
		.amdhsa_user_sgpr_kernarg_segment_ptr 1
		.amdhsa_user_sgpr_dispatch_id 0
		.amdhsa_user_sgpr_flat_scratch_init 0
		.amdhsa_user_sgpr_kernarg_preload_length 0
		.amdhsa_user_sgpr_kernarg_preload_offset 0
		.amdhsa_user_sgpr_private_segment_size 0
		.amdhsa_uses_dynamic_stack 0
		.amdhsa_system_sgpr_private_segment_wavefront_offset 0
		.amdhsa_system_sgpr_workgroup_id_x 1
		.amdhsa_system_sgpr_workgroup_id_y 0
		.amdhsa_system_sgpr_workgroup_id_z 0
		.amdhsa_system_sgpr_workgroup_info 0
		.amdhsa_system_vgpr_workitem_id 0
		.amdhsa_next_free_vgpr 1
		.amdhsa_next_free_sgpr 0
		.amdhsa_accum_offset 4
		.amdhsa_reserve_vcc 0
		.amdhsa_reserve_flat_scratch 0
		.amdhsa_float_round_mode_32 0
		.amdhsa_float_round_mode_16_64 0
		.amdhsa_float_denorm_mode_32 3
		.amdhsa_float_denorm_mode_16_64 3
		.amdhsa_dx10_clamp 1
		.amdhsa_ieee_mode 1
		.amdhsa_fp16_overflow 0
		.amdhsa_tg_split 0
		.amdhsa_exception_fp_ieee_invalid_op 0
		.amdhsa_exception_fp_denorm_src 0
		.amdhsa_exception_fp_ieee_div_zero 0
		.amdhsa_exception_fp_ieee_overflow 0
		.amdhsa_exception_fp_ieee_underflow 0
		.amdhsa_exception_fp_ieee_inexact 0
		.amdhsa_exception_int_div_zero 0
	.end_amdhsa_kernel
	.section	.text._ZN7rocprim17ROCPRIM_400000_NS6detail17trampoline_kernelINS0_14default_configENS1_21merge_config_selectorItNS0_10empty_typeEEEZNS1_10merge_implIS3_N6thrust23THRUST_200600_302600_NS6detail15normal_iteratorINS9_10device_ptrIKtEEEESF_NS9_16discard_iteratorINS9_11use_defaultEEEPS5_SJ_SJ_NS9_4lessItEEEE10hipError_tPvRmT0_T1_T2_T3_T4_T5_mmT6_P12ihipStream_tbEUlT_E0_NS1_11comp_targetILNS1_3genE5ELNS1_11target_archE942ELNS1_3gpuE9ELNS1_3repE0EEENS1_30default_config_static_selectorELNS0_4arch9wavefront6targetE1EEEvSQ_,"axG",@progbits,_ZN7rocprim17ROCPRIM_400000_NS6detail17trampoline_kernelINS0_14default_configENS1_21merge_config_selectorItNS0_10empty_typeEEEZNS1_10merge_implIS3_N6thrust23THRUST_200600_302600_NS6detail15normal_iteratorINS9_10device_ptrIKtEEEESF_NS9_16discard_iteratorINS9_11use_defaultEEEPS5_SJ_SJ_NS9_4lessItEEEE10hipError_tPvRmT0_T1_T2_T3_T4_T5_mmT6_P12ihipStream_tbEUlT_E0_NS1_11comp_targetILNS1_3genE5ELNS1_11target_archE942ELNS1_3gpuE9ELNS1_3repE0EEENS1_30default_config_static_selectorELNS0_4arch9wavefront6targetE1EEEvSQ_,comdat
.Lfunc_end399:
	.size	_ZN7rocprim17ROCPRIM_400000_NS6detail17trampoline_kernelINS0_14default_configENS1_21merge_config_selectorItNS0_10empty_typeEEEZNS1_10merge_implIS3_N6thrust23THRUST_200600_302600_NS6detail15normal_iteratorINS9_10device_ptrIKtEEEESF_NS9_16discard_iteratorINS9_11use_defaultEEEPS5_SJ_SJ_NS9_4lessItEEEE10hipError_tPvRmT0_T1_T2_T3_T4_T5_mmT6_P12ihipStream_tbEUlT_E0_NS1_11comp_targetILNS1_3genE5ELNS1_11target_archE942ELNS1_3gpuE9ELNS1_3repE0EEENS1_30default_config_static_selectorELNS0_4arch9wavefront6targetE1EEEvSQ_, .Lfunc_end399-_ZN7rocprim17ROCPRIM_400000_NS6detail17trampoline_kernelINS0_14default_configENS1_21merge_config_selectorItNS0_10empty_typeEEEZNS1_10merge_implIS3_N6thrust23THRUST_200600_302600_NS6detail15normal_iteratorINS9_10device_ptrIKtEEEESF_NS9_16discard_iteratorINS9_11use_defaultEEEPS5_SJ_SJ_NS9_4lessItEEEE10hipError_tPvRmT0_T1_T2_T3_T4_T5_mmT6_P12ihipStream_tbEUlT_E0_NS1_11comp_targetILNS1_3genE5ELNS1_11target_archE942ELNS1_3gpuE9ELNS1_3repE0EEENS1_30default_config_static_selectorELNS0_4arch9wavefront6targetE1EEEvSQ_
                                        ; -- End function
	.section	.AMDGPU.csdata,"",@progbits
; Kernel info:
; codeLenInByte = 0
; NumSgprs: 4
; NumVgprs: 0
; NumAgprs: 0
; TotalNumVgprs: 0
; ScratchSize: 0
; MemoryBound: 0
; FloatMode: 240
; IeeeMode: 1
; LDSByteSize: 0 bytes/workgroup (compile time only)
; SGPRBlocks: 0
; VGPRBlocks: 0
; NumSGPRsForWavesPerEU: 4
; NumVGPRsForWavesPerEU: 1
; AccumOffset: 4
; Occupancy: 8
; WaveLimiterHint : 0
; COMPUTE_PGM_RSRC2:SCRATCH_EN: 0
; COMPUTE_PGM_RSRC2:USER_SGPR: 6
; COMPUTE_PGM_RSRC2:TRAP_HANDLER: 0
; COMPUTE_PGM_RSRC2:TGID_X_EN: 1
; COMPUTE_PGM_RSRC2:TGID_Y_EN: 0
; COMPUTE_PGM_RSRC2:TGID_Z_EN: 0
; COMPUTE_PGM_RSRC2:TIDIG_COMP_CNT: 0
; COMPUTE_PGM_RSRC3_GFX90A:ACCUM_OFFSET: 0
; COMPUTE_PGM_RSRC3_GFX90A:TG_SPLIT: 0
	.section	.text._ZN7rocprim17ROCPRIM_400000_NS6detail17trampoline_kernelINS0_14default_configENS1_21merge_config_selectorItNS0_10empty_typeEEEZNS1_10merge_implIS3_N6thrust23THRUST_200600_302600_NS6detail15normal_iteratorINS9_10device_ptrIKtEEEESF_NS9_16discard_iteratorINS9_11use_defaultEEEPS5_SJ_SJ_NS9_4lessItEEEE10hipError_tPvRmT0_T1_T2_T3_T4_T5_mmT6_P12ihipStream_tbEUlT_E0_NS1_11comp_targetILNS1_3genE4ELNS1_11target_archE910ELNS1_3gpuE8ELNS1_3repE0EEENS1_30default_config_static_selectorELNS0_4arch9wavefront6targetE1EEEvSQ_,"axG",@progbits,_ZN7rocprim17ROCPRIM_400000_NS6detail17trampoline_kernelINS0_14default_configENS1_21merge_config_selectorItNS0_10empty_typeEEEZNS1_10merge_implIS3_N6thrust23THRUST_200600_302600_NS6detail15normal_iteratorINS9_10device_ptrIKtEEEESF_NS9_16discard_iteratorINS9_11use_defaultEEEPS5_SJ_SJ_NS9_4lessItEEEE10hipError_tPvRmT0_T1_T2_T3_T4_T5_mmT6_P12ihipStream_tbEUlT_E0_NS1_11comp_targetILNS1_3genE4ELNS1_11target_archE910ELNS1_3gpuE8ELNS1_3repE0EEENS1_30default_config_static_selectorELNS0_4arch9wavefront6targetE1EEEvSQ_,comdat
	.protected	_ZN7rocprim17ROCPRIM_400000_NS6detail17trampoline_kernelINS0_14default_configENS1_21merge_config_selectorItNS0_10empty_typeEEEZNS1_10merge_implIS3_N6thrust23THRUST_200600_302600_NS6detail15normal_iteratorINS9_10device_ptrIKtEEEESF_NS9_16discard_iteratorINS9_11use_defaultEEEPS5_SJ_SJ_NS9_4lessItEEEE10hipError_tPvRmT0_T1_T2_T3_T4_T5_mmT6_P12ihipStream_tbEUlT_E0_NS1_11comp_targetILNS1_3genE4ELNS1_11target_archE910ELNS1_3gpuE8ELNS1_3repE0EEENS1_30default_config_static_selectorELNS0_4arch9wavefront6targetE1EEEvSQ_ ; -- Begin function _ZN7rocprim17ROCPRIM_400000_NS6detail17trampoline_kernelINS0_14default_configENS1_21merge_config_selectorItNS0_10empty_typeEEEZNS1_10merge_implIS3_N6thrust23THRUST_200600_302600_NS6detail15normal_iteratorINS9_10device_ptrIKtEEEESF_NS9_16discard_iteratorINS9_11use_defaultEEEPS5_SJ_SJ_NS9_4lessItEEEE10hipError_tPvRmT0_T1_T2_T3_T4_T5_mmT6_P12ihipStream_tbEUlT_E0_NS1_11comp_targetILNS1_3genE4ELNS1_11target_archE910ELNS1_3gpuE8ELNS1_3repE0EEENS1_30default_config_static_selectorELNS0_4arch9wavefront6targetE1EEEvSQ_
	.globl	_ZN7rocprim17ROCPRIM_400000_NS6detail17trampoline_kernelINS0_14default_configENS1_21merge_config_selectorItNS0_10empty_typeEEEZNS1_10merge_implIS3_N6thrust23THRUST_200600_302600_NS6detail15normal_iteratorINS9_10device_ptrIKtEEEESF_NS9_16discard_iteratorINS9_11use_defaultEEEPS5_SJ_SJ_NS9_4lessItEEEE10hipError_tPvRmT0_T1_T2_T3_T4_T5_mmT6_P12ihipStream_tbEUlT_E0_NS1_11comp_targetILNS1_3genE4ELNS1_11target_archE910ELNS1_3gpuE8ELNS1_3repE0EEENS1_30default_config_static_selectorELNS0_4arch9wavefront6targetE1EEEvSQ_
	.p2align	8
	.type	_ZN7rocprim17ROCPRIM_400000_NS6detail17trampoline_kernelINS0_14default_configENS1_21merge_config_selectorItNS0_10empty_typeEEEZNS1_10merge_implIS3_N6thrust23THRUST_200600_302600_NS6detail15normal_iteratorINS9_10device_ptrIKtEEEESF_NS9_16discard_iteratorINS9_11use_defaultEEEPS5_SJ_SJ_NS9_4lessItEEEE10hipError_tPvRmT0_T1_T2_T3_T4_T5_mmT6_P12ihipStream_tbEUlT_E0_NS1_11comp_targetILNS1_3genE4ELNS1_11target_archE910ELNS1_3gpuE8ELNS1_3repE0EEENS1_30default_config_static_selectorELNS0_4arch9wavefront6targetE1EEEvSQ_,@function
_ZN7rocprim17ROCPRIM_400000_NS6detail17trampoline_kernelINS0_14default_configENS1_21merge_config_selectorItNS0_10empty_typeEEEZNS1_10merge_implIS3_N6thrust23THRUST_200600_302600_NS6detail15normal_iteratorINS9_10device_ptrIKtEEEESF_NS9_16discard_iteratorINS9_11use_defaultEEEPS5_SJ_SJ_NS9_4lessItEEEE10hipError_tPvRmT0_T1_T2_T3_T4_T5_mmT6_P12ihipStream_tbEUlT_E0_NS1_11comp_targetILNS1_3genE4ELNS1_11target_archE910ELNS1_3gpuE8ELNS1_3repE0EEENS1_30default_config_static_selectorELNS0_4arch9wavefront6targetE1EEEvSQ_: ; @_ZN7rocprim17ROCPRIM_400000_NS6detail17trampoline_kernelINS0_14default_configENS1_21merge_config_selectorItNS0_10empty_typeEEEZNS1_10merge_implIS3_N6thrust23THRUST_200600_302600_NS6detail15normal_iteratorINS9_10device_ptrIKtEEEESF_NS9_16discard_iteratorINS9_11use_defaultEEEPS5_SJ_SJ_NS9_4lessItEEEE10hipError_tPvRmT0_T1_T2_T3_T4_T5_mmT6_P12ihipStream_tbEUlT_E0_NS1_11comp_targetILNS1_3genE4ELNS1_11target_archE910ELNS1_3gpuE8ELNS1_3repE0EEENS1_30default_config_static_selectorELNS0_4arch9wavefront6targetE1EEEvSQ_
; %bb.0:
	s_load_dwordx4 s[0:3], s[4:5], 0x48
	s_load_dwordx4 s[8:11], s[4:5], 0x8
	s_load_dwordx2 s[12:13], s[4:5], 0x18
	s_lshl_b32 s30, s6, 12
	s_mov_b32 s27, 0
	s_waitcnt lgkmcnt(0)
	s_add_i32 s31, s2, s0
	s_add_i32 s0, s31, 0xfff
	s_lshr_b32 s0, s0, 12
	s_min_u32 s1, s6, s0
	s_lshl_b32 s1, s1, 2
	s_load_dword s26, s[8:9], s1 offset:0x0
	s_add_i32 s6, s6, 1
	s_min_u32 s0, s6, s0
	s_lshl_b32 s0, s0, 2
	s_load_dword s6, s[8:9], s0 offset:0x0
	s_add_i32 s0, s30, 0x1000
	s_min_u32 s7, s31, s0
	s_waitcnt lgkmcnt(0)
	s_sub_i32 s2, s30, s26
	s_lshl_b64 s[0:1], s[26:27], 1
	s_add_u32 s0, s10, s0
	s_mov_b32 s3, s27
	s_addc_u32 s1, s11, s1
	s_lshl_b64 s[4:5], s[2:3], 1
	s_add_u32 s9, s12, s4
	s_addc_u32 s10, s13, s5
	s_add_i32 s2, s2, s6
	s_sub_i32 s26, s6, s26
	s_sub_i32 s8, s7, s2
	s_add_u32 s2, s8, s26
	s_addc_u32 s3, 0, 0
	v_mov_b32_e32 v1, 0
	v_cmp_le_u32_e32 vcc, s26, v0
	s_and_saveexec_b64 s[4:5], vcc
	s_xor_b64 s[4:5], exec, s[4:5]
	s_cbranch_execz .LBB400_4
; %bb.1:
	v_cmp_gt_u64_e32 vcc, s[2:3], v[0:1]
	s_and_saveexec_b64 s[6:7], vcc
	s_cbranch_execz .LBB400_3
; %bb.2:
	v_mov_b32_e32 v1, s27
	v_subrev_co_u32_e32 v2, vcc, s26, v0
	v_subb_co_u32_e32 v3, vcc, 0, v1, vcc
	v_lshlrev_b64 v[2:3], 1, v[2:3]
	v_mov_b32_e32 v1, s10
	v_add_co_u32_e32 v2, vcc, s9, v2
	v_addc_co_u32_e32 v3, vcc, v1, v3, vcc
	global_load_ushort v1, v[2:3], off
	v_lshlrev_b32_e32 v2, 1, v0
	s_waitcnt vmcnt(0)
	ds_write_b16 v2, v1
.LBB400_3:
	s_or_b64 exec, exec, s[6:7]
.LBB400_4:
	s_or_saveexec_b64 s[4:5], s[4:5]
	v_lshlrev_b32_e32 v1, 1, v0
	s_xor_b64 exec, exec, s[4:5]
	s_cbranch_execz .LBB400_6
; %bb.5:
	global_load_ushort v2, v1, s[0:1]
	s_waitcnt vmcnt(0)
	ds_write_b16 v1, v2
.LBB400_6:
	s_or_b64 exec, exec, s[4:5]
	v_or_b32_e32 v2, 0x100, v0
	v_cmp_le_u32_e32 vcc, s26, v2
	s_and_saveexec_b64 s[4:5], vcc
	s_xor_b64 s[4:5], exec, s[4:5]
	s_cbranch_execz .LBB400_10
; %bb.7:
	v_mov_b32_e32 v3, 0
	v_cmp_gt_u64_e32 vcc, s[2:3], v[2:3]
	s_and_saveexec_b64 s[6:7], vcc
	s_cbranch_execz .LBB400_9
; %bb.8:
	v_mov_b32_e32 v3, s27
	v_subrev_co_u32_e32 v2, vcc, s26, v0
	v_subb_co_u32_e32 v3, vcc, 0, v3, vcc
	v_lshlrev_b64 v[2:3], 1, v[2:3]
	v_mov_b32_e32 v4, s10
	v_add_co_u32_e32 v2, vcc, s9, v2
	v_addc_co_u32_e32 v3, vcc, v4, v3, vcc
	global_load_ushort v2, v[2:3], off offset:512
	s_waitcnt vmcnt(0)
	ds_write_b16 v1, v2 offset:512
.LBB400_9:
	s_or_b64 exec, exec, s[6:7]
.LBB400_10:
	s_andn2_saveexec_b64 s[4:5], s[4:5]
	s_cbranch_execz .LBB400_12
; %bb.11:
	global_load_ushort v2, v1, s[0:1] offset:512
	s_waitcnt vmcnt(0)
	ds_write_b16 v1, v2 offset:512
.LBB400_12:
	s_or_b64 exec, exec, s[4:5]
	v_or_b32_e32 v2, 0x200, v0
	v_cmp_le_u32_e32 vcc, s26, v2
	s_and_saveexec_b64 s[4:5], vcc
	s_xor_b64 s[4:5], exec, s[4:5]
	s_cbranch_execz .LBB400_16
; %bb.13:
	v_mov_b32_e32 v3, 0
	v_cmp_gt_u64_e32 vcc, s[2:3], v[2:3]
	s_and_saveexec_b64 s[6:7], vcc
	s_cbranch_execz .LBB400_15
; %bb.14:
	v_mov_b32_e32 v3, s27
	v_subrev_co_u32_e32 v2, vcc, s26, v0
	v_subb_co_u32_e32 v3, vcc, 0, v3, vcc
	v_lshlrev_b64 v[2:3], 1, v[2:3]
	v_mov_b32_e32 v4, s10
	v_add_co_u32_e32 v2, vcc, s9, v2
	v_addc_co_u32_e32 v3, vcc, v4, v3, vcc
	global_load_ushort v2, v[2:3], off offset:1024
	s_waitcnt vmcnt(0)
	ds_write_b16 v1, v2 offset:1024
.LBB400_15:
	s_or_b64 exec, exec, s[6:7]
.LBB400_16:
	s_andn2_saveexec_b64 s[4:5], s[4:5]
	s_cbranch_execz .LBB400_18
; %bb.17:
	global_load_ushort v2, v1, s[0:1] offset:1024
	s_waitcnt vmcnt(0)
	ds_write_b16 v1, v2 offset:1024
.LBB400_18:
	;; [unrolled: 32-line block ×7, first 2 shown]
	s_or_b64 exec, exec, s[4:5]
	v_or_b32_e32 v2, 0x800, v0
	v_mov_b32_e32 v3, 0
	v_cmp_le_u32_e32 vcc, s26, v2
	s_and_saveexec_b64 s[4:5], vcc
	s_xor_b64 s[4:5], exec, s[4:5]
	s_cbranch_execz .LBB400_52
; %bb.49:
	v_cmp_gt_u64_e32 vcc, s[2:3], v[2:3]
	s_and_saveexec_b64 s[6:7], vcc
	s_cbranch_execz .LBB400_51
; %bb.50:
	v_mov_b32_e32 v3, s27
	v_subrev_co_u32_e32 v2, vcc, s26, v2
	v_subb_co_u32_e32 v3, vcc, 0, v3, vcc
	v_lshlrev_b64 v[2:3], 1, v[2:3]
	v_mov_b32_e32 v4, s10
	v_add_co_u32_e32 v2, vcc, s9, v2
	v_addc_co_u32_e32 v3, vcc, v4, v3, vcc
	global_load_ushort v2, v[2:3], off
	s_waitcnt vmcnt(0)
	ds_write_b16 v1, v2 offset:4096
.LBB400_51:
	s_or_b64 exec, exec, s[6:7]
                                        ; implicit-def: $vgpr2_vgpr3
.LBB400_52:
	s_andn2_saveexec_b64 s[4:5], s[4:5]
	s_cbranch_execz .LBB400_54
; %bb.53:
	v_lshlrev_b32_e32 v2, 1, v2
	global_load_ushort v2, v2, s[0:1]
	s_waitcnt vmcnt(0)
	ds_write_b16 v1, v2 offset:4096
.LBB400_54:
	s_or_b64 exec, exec, s[4:5]
	v_or_b32_e32 v2, 0x900, v0
	v_mov_b32_e32 v3, 0
	v_cmp_le_u32_e32 vcc, s26, v2
	s_and_saveexec_b64 s[4:5], vcc
	s_xor_b64 s[4:5], exec, s[4:5]
	s_cbranch_execz .LBB400_58
; %bb.55:
	v_cmp_gt_u64_e32 vcc, s[2:3], v[2:3]
	s_and_saveexec_b64 s[6:7], vcc
	s_cbranch_execz .LBB400_57
; %bb.56:
	v_mov_b32_e32 v3, s27
	v_subrev_co_u32_e32 v2, vcc, s26, v2
	v_subb_co_u32_e32 v3, vcc, 0, v3, vcc
	v_lshlrev_b64 v[2:3], 1, v[2:3]
	v_mov_b32_e32 v4, s10
	v_add_co_u32_e32 v2, vcc, s9, v2
	v_addc_co_u32_e32 v3, vcc, v4, v3, vcc
	global_load_ushort v2, v[2:3], off
	s_waitcnt vmcnt(0)
	ds_write_b16 v1, v2 offset:4608
.LBB400_57:
	s_or_b64 exec, exec, s[6:7]
                                        ; implicit-def: $vgpr2_vgpr3
.LBB400_58:
	s_andn2_saveexec_b64 s[4:5], s[4:5]
	s_cbranch_execz .LBB400_60
; %bb.59:
	v_lshlrev_b32_e32 v2, 1, v2
	global_load_ushort v2, v2, s[0:1]
	s_waitcnt vmcnt(0)
	ds_write_b16 v1, v2 offset:4608
.LBB400_60:
	;; [unrolled: 34-line block ×7, first 2 shown]
	s_or_b64 exec, exec, s[4:5]
	v_or_b32_e32 v2, 0xf00, v0
	v_mov_b32_e32 v3, 0
	v_cmp_le_u32_e32 vcc, s26, v2
	s_and_saveexec_b64 s[4:5], vcc
	s_xor_b64 s[4:5], exec, s[4:5]
	s_cbranch_execz .LBB400_94
; %bb.91:
	v_cmp_gt_u64_e32 vcc, s[2:3], v[2:3]
	s_and_saveexec_b64 s[2:3], vcc
	s_cbranch_execz .LBB400_93
; %bb.92:
	v_mov_b32_e32 v3, s27
	v_subrev_co_u32_e32 v2, vcc, s26, v2
	v_subb_co_u32_e32 v3, vcc, 0, v3, vcc
	v_lshlrev_b64 v[2:3], 1, v[2:3]
	v_mov_b32_e32 v4, s10
	v_add_co_u32_e32 v2, vcc, s9, v2
	v_addc_co_u32_e32 v3, vcc, v4, v3, vcc
	global_load_ushort v2, v[2:3], off
	s_waitcnt vmcnt(0)
	ds_write_b16 v1, v2 offset:7680
.LBB400_93:
	s_or_b64 exec, exec, s[2:3]
                                        ; implicit-def: $vgpr2_vgpr3
                                        ; implicit-def: $vgpr1
.LBB400_94:
	s_andn2_saveexec_b64 s[2:3], s[4:5]
	s_cbranch_execz .LBB400_96
; %bb.95:
	v_lshlrev_b32_e32 v2, 1, v2
	global_load_ushort v2, v2, s[0:1]
	s_waitcnt vmcnt(0)
	ds_write_b16 v1, v2 offset:7680
.LBB400_96:
	s_or_b64 exec, exec, s[2:3]
	v_lshlrev_b32_e32 v1, 4, v0
	v_sub_u32_e64 v4, v1, s8 clamp
	v_min_u32_e32 v2, s26, v1
	v_cmp_lt_u32_e32 vcc, v4, v2
	s_waitcnt lgkmcnt(0)
	s_barrier
	s_and_saveexec_b64 s[0:1], vcc
	s_cbranch_execz .LBB400_100
; %bb.97:
	v_lshlrev_b32_e32 v3, 1, v1
	v_lshl_add_u32 v3, s26, 1, v3
	s_mov_b64 s[2:3], 0
.LBB400_98:                             ; =>This Inner Loop Header: Depth=1
	v_add_u32_e32 v5, v2, v4
	v_lshrrev_b32_e32 v6, 1, v5
	v_not_b32_e32 v7, v6
	v_and_b32_e32 v5, -2, v5
	v_lshl_add_u32 v7, v7, 1, v3
	ds_read_u16 v5, v5
	ds_read_u16 v7, v7
	v_add_u32_e32 v8, 1, v6
	s_waitcnt lgkmcnt(0)
	v_cmp_lt_u16_e32 vcc, v7, v5
	v_cndmask_b32_e32 v2, v2, v6, vcc
	v_cndmask_b32_e32 v4, v8, v4, vcc
	v_cmp_ge_u32_e32 vcc, v4, v2
	s_or_b64 s[2:3], vcc, s[2:3]
	s_andn2_b64 exec, exec, s[2:3]
	s_cbranch_execnz .LBB400_98
; %bb.99:
	s_or_b64 exec, exec, s[2:3]
.LBB400_100:
	s_or_b64 exec, exec, s[0:1]
	v_add_u32_e32 v2, s26, v1
	s_add_i32 s27, s8, s26
	v_sub_u32_e32 v5, v2, v4
	v_cmp_ge_u32_e32 vcc, s26, v4
	v_cmp_ge_u32_e64 s[0:1], s27, v5
	s_or_b64 s[0:1], vcc, s[0:1]
                                        ; implicit-def: $vgpr2
                                        ; implicit-def: $vgpr3
                                        ; implicit-def: $vgpr6
                                        ; implicit-def: $vgpr7
                                        ; implicit-def: $vgpr8
                                        ; implicit-def: $vgpr9
                                        ; implicit-def: $vgpr10
                                        ; implicit-def: $vgpr11
	s_and_saveexec_b64 s[28:29], s[0:1]
	s_cbranch_execz .LBB400_106
; %bb.101:
	v_cmp_gt_u32_e32 vcc, s26, v4
                                        ; implicit-def: $vgpr2
	s_and_saveexec_b64 s[0:1], vcc
	s_cbranch_execz .LBB400_103
; %bb.102:
	v_lshlrev_b32_e32 v2, 1, v4
	ds_read_u16 v2, v2
.LBB400_103:
	s_or_b64 exec, exec, s[0:1]
	v_cmp_le_u32_e64 s[0:1], s27, v5
	v_cmp_gt_u32_e64 s[2:3], s27, v5
                                        ; implicit-def: $vgpr3
	s_and_saveexec_b64 s[4:5], s[2:3]
	s_cbranch_execz .LBB400_105
; %bb.104:
	v_lshlrev_b32_e32 v3, 1, v5
	ds_read_u16 v3, v3
.LBB400_105:
	s_or_b64 exec, exec, s[4:5]
	s_waitcnt lgkmcnt(0)
	v_cmp_ge_u16_e64 s[2:3], v3, v2
	s_and_b64 s[2:3], vcc, s[2:3]
	s_or_b64 vcc, s[0:1], s[2:3]
	v_mov_b32_e32 v7, s27
	v_mov_b32_e32 v8, s26
	v_cndmask_b32_e32 v6, v5, v4, vcc
	v_cndmask_b32_e32 v9, v7, v8, vcc
	v_add_u32_e32 v6, 1, v6
	v_add_u32_e32 v9, -1, v9
	v_min_u32_e32 v9, v6, v9
	v_lshlrev_b32_e32 v9, 1, v9
	ds_read_u16 v9, v9
	v_cndmask_b32_e32 v4, v4, v6, vcc
	v_cndmask_b32_e32 v5, v6, v5, vcc
	v_cmp_gt_u32_e64 s[2:3], s26, v4
	v_cmp_le_u32_e64 s[0:1], s27, v5
	s_waitcnt lgkmcnt(0)
	v_cndmask_b32_e32 v10, v9, v3, vcc
	v_cndmask_b32_e32 v9, v2, v9, vcc
	v_cmp_ge_u16_e64 s[4:5], v10, v9
	s_and_b64 s[2:3], s[2:3], s[4:5]
	s_or_b64 s[0:1], s[0:1], s[2:3]
	v_cndmask_b32_e64 v6, v5, v4, s[0:1]
	v_cndmask_b32_e64 v11, v7, v8, s[0:1]
	v_add_u32_e32 v6, 1, v6
	v_add_u32_e32 v11, -1, v11
	v_min_u32_e32 v11, v6, v11
	v_lshlrev_b32_e32 v11, 1, v11
	ds_read_u16 v11, v11
	v_cndmask_b32_e64 v4, v4, v6, s[0:1]
	v_cndmask_b32_e64 v5, v6, v5, s[0:1]
	v_cmp_gt_u32_e64 s[4:5], s26, v4
	v_cmp_le_u32_e64 s[2:3], s27, v5
	s_waitcnt lgkmcnt(0)
	v_cndmask_b32_e64 v12, v11, v10, s[0:1]
	v_cndmask_b32_e64 v11, v9, v11, s[0:1]
	v_cmp_ge_u16_e64 s[6:7], v12, v11
	s_and_b64 s[4:5], s[4:5], s[6:7]
	s_or_b64 s[4:5], s[2:3], s[4:5]
	v_cndmask_b32_e64 v6, v5, v4, s[4:5]
	v_cndmask_b32_e64 v13, v7, v8, s[4:5]
	v_add_u32_e32 v6, 1, v6
	v_add_u32_e32 v13, -1, v13
	v_min_u32_e32 v13, v6, v13
	v_lshlrev_b32_e32 v13, 1, v13
	ds_read_u16 v13, v13
	v_cndmask_b32_e64 v4, v4, v6, s[4:5]
	v_cndmask_b32_e64 v5, v6, v5, s[4:5]
	v_cmp_gt_u32_e64 s[6:7], s26, v4
	v_cmp_le_u32_e64 s[2:3], s27, v5
	s_waitcnt lgkmcnt(0)
	v_cndmask_b32_e64 v14, v13, v12, s[4:5]
	v_cndmask_b32_e64 v13, v11, v13, s[4:5]
	;; [unrolled: 17-line block ×10, first 2 shown]
	v_cmp_ge_u16_e64 s[24:25], v30, v29
	s_and_b64 s[22:23], s[22:23], s[24:25]
	s_or_b64 s[20:21], s[20:21], s[22:23]
	v_cndmask_b32_e64 v6, v5, v4, s[20:21]
	v_cndmask_b32_e64 v31, v7, v8, s[20:21]
	v_add_u32_e32 v6, 1, v6
	v_add_u32_e32 v31, -1, v31
	v_min_u32_e32 v31, v6, v31
	v_lshlrev_b32_e32 v31, 1, v31
	ds_read_u16 v31, v31
	v_cndmask_b32_e32 v2, v3, v2, vcc
	v_cndmask_b32_e64 v3, v10, v9, s[0:1]
	v_cndmask_b32_e64 v9, v12, v11, s[4:5]
	;; [unrolled: 1-line block ×3, first 2 shown]
	s_waitcnt lgkmcnt(0)
	v_cndmask_b32_e64 v10, v31, v30, s[20:21]
	v_cndmask_b32_e64 v11, v29, v31, s[20:21]
	;; [unrolled: 1-line block ×3, first 2 shown]
	v_cmp_gt_u32_e64 s[0:1], s26, v4
	v_cmp_ge_u16_e64 s[4:5], v10, v11
	v_cmp_le_u32_e32 vcc, s27, v5
	s_and_b64 s[0:1], s[0:1], s[4:5]
	s_or_b64 vcc, vcc, s[0:1]
	v_cndmask_b32_e32 v6, v5, v4, vcc
	v_cndmask_b32_e32 v12, v7, v8, vcc
	v_add_u32_e32 v6, 1, v6
	v_add_u32_e32 v12, -1, v12
	v_min_u32_e32 v12, v6, v12
	v_lshlrev_b32_e32 v12, 1, v12
	ds_read_u16 v12, v12
	v_cndmask_b32_e64 v13, v14, v13, s[2:3]
	v_cndmask_b32_e64 v14, v16, v15, s[6:7]
	;; [unrolled: 1-line block ×3, first 2 shown]
	v_cndmask_b32_e32 v4, v4, v6, vcc
	s_waitcnt lgkmcnt(0)
	v_cndmask_b32_e32 v17, v12, v10, vcc
	v_cndmask_b32_e32 v12, v11, v12, vcc
	;; [unrolled: 1-line block ×3, first 2 shown]
	v_cmp_gt_u32_e64 s[2:3], s26, v4
	v_cmp_ge_u16_e64 s[4:5], v17, v12
	v_cmp_le_u32_e64 s[0:1], s27, v5
	s_and_b64 s[2:3], s[2:3], s[4:5]
	s_or_b64 s[0:1], s[0:1], s[2:3]
	v_cndmask_b32_e64 v6, v5, v4, s[0:1]
	v_cndmask_b32_e64 v18, v7, v8, s[0:1]
	v_add_u32_e32 v6, 1, v6
	v_add_u32_e32 v18, -1, v18
	v_min_u32_e32 v18, v6, v18
	v_lshlrev_b32_e32 v18, 1, v18
	ds_read_u16 v18, v18
	v_cndmask_b32_e64 v16, v20, v19, s[12:13]
	v_cndmask_b32_e64 v20, v24, v23, s[14:15]
	;; [unrolled: 1-line block ×4, first 2 shown]
	s_waitcnt lgkmcnt(0)
	v_cndmask_b32_e64 v23, v18, v17, s[0:1]
	v_cndmask_b32_e64 v18, v12, v18, s[0:1]
	v_cmp_gt_u32_e64 s[4:5], s26, v4
	v_cmp_ge_u16_e64 s[6:7], v23, v18
	v_cmp_le_u32_e64 s[2:3], s27, v5
	s_and_b64 s[4:5], s[4:5], s[6:7]
	s_or_b64 s[2:3], s[2:3], s[4:5]
	v_cndmask_b32_e64 v6, v5, v4, s[2:3]
	v_cndmask_b32_e64 v7, v7, v8, s[2:3]
	v_add_u32_e32 v6, 1, v6
	v_add_u32_e32 v7, -1, v7
	v_min_u32_e32 v7, v6, v7
	v_lshlrev_b32_e32 v7, 1, v7
	ds_read_u16 v7, v7
	v_cndmask_b32_e64 v4, v4, v6, s[2:3]
	v_cndmask_b32_e64 v12, v17, v12, s[0:1]
	v_cndmask_b32_e64 v17, v23, v18, s[2:3]
	v_cndmask_b32_e64 v5, v6, v5, s[2:3]
	s_waitcnt lgkmcnt(0)
	v_cndmask_b32_e64 v8, v7, v23, s[2:3]
	v_cndmask_b32_e64 v7, v18, v7, s[2:3]
	v_cmp_gt_u32_e64 s[0:1], s26, v4
	v_cmp_ge_u16_e64 s[2:3], v8, v7
	v_cndmask_b32_e64 v19, v22, v21, s[10:11]
	v_cndmask_b32_e64 v21, v26, v25, s[16:17]
	v_cndmask_b32_e32 v25, v10, v11, vcc
	v_cmp_le_u32_e32 vcc, s27, v5
	s_and_b64 s[0:1], s[0:1], s[2:3]
	s_or_b64 vcc, vcc, s[0:1]
	v_cndmask_b32_e64 v22, v28, v27, s[18:19]
	v_cndmask_b32_e64 v24, v30, v29, s[20:21]
	v_cndmask_b32_e32 v4, v8, v7, vcc
	s_mov_b32 s0, 0x5040100
	v_perm_b32 v11, v3, v2, s0
	v_perm_b32 v10, v13, v9, s0
	;; [unrolled: 1-line block ×8, first 2 shown]
.LBB400_106:
	s_or_b64 exec, exec, s[28:29]
	s_sub_i32 s0, s31, s30
	v_and_b32_e32 v0, 0xfc, v0
	s_cmpk_gt_u32 s0, 0xfff
	v_lshl_add_u32 v0, v1, 1, v0
	s_mov_b64 s[0:1], -1
	s_barrier
	ds_write2_b32 v0, v11, v10 offset1:1
	ds_write2_b32 v0, v9, v8 offset0:2 offset1:3
	ds_write2_b32 v0, v7, v6 offset0:4 offset1:5
	;; [unrolled: 1-line block ×3, first 2 shown]
	s_waitcnt lgkmcnt(0)
	s_cbranch_scc1 .LBB400_109
; %bb.107:
	s_andn2_b64 vcc, exec, s[0:1]
	s_cbranch_vccz .LBB400_110
.LBB400_108:
	s_endpgm
.LBB400_109:
	s_barrier
	s_cbranch_execnz .LBB400_108
.LBB400_110:
	s_barrier
	s_endpgm
	.section	.rodata,"a",@progbits
	.p2align	6, 0x0
	.amdhsa_kernel _ZN7rocprim17ROCPRIM_400000_NS6detail17trampoline_kernelINS0_14default_configENS1_21merge_config_selectorItNS0_10empty_typeEEEZNS1_10merge_implIS3_N6thrust23THRUST_200600_302600_NS6detail15normal_iteratorINS9_10device_ptrIKtEEEESF_NS9_16discard_iteratorINS9_11use_defaultEEEPS5_SJ_SJ_NS9_4lessItEEEE10hipError_tPvRmT0_T1_T2_T3_T4_T5_mmT6_P12ihipStream_tbEUlT_E0_NS1_11comp_targetILNS1_3genE4ELNS1_11target_archE910ELNS1_3gpuE8ELNS1_3repE0EEENS1_30default_config_static_selectorELNS0_4arch9wavefront6targetE1EEEvSQ_
		.amdhsa_group_segment_fixed_size 8448
		.amdhsa_private_segment_fixed_size 0
		.amdhsa_kernarg_size 96
		.amdhsa_user_sgpr_count 6
		.amdhsa_user_sgpr_private_segment_buffer 1
		.amdhsa_user_sgpr_dispatch_ptr 0
		.amdhsa_user_sgpr_queue_ptr 0
		.amdhsa_user_sgpr_kernarg_segment_ptr 1
		.amdhsa_user_sgpr_dispatch_id 0
		.amdhsa_user_sgpr_flat_scratch_init 0
		.amdhsa_user_sgpr_kernarg_preload_length 0
		.amdhsa_user_sgpr_kernarg_preload_offset 0
		.amdhsa_user_sgpr_private_segment_size 0
		.amdhsa_uses_dynamic_stack 0
		.amdhsa_system_sgpr_private_segment_wavefront_offset 0
		.amdhsa_system_sgpr_workgroup_id_x 1
		.amdhsa_system_sgpr_workgroup_id_y 0
		.amdhsa_system_sgpr_workgroup_id_z 0
		.amdhsa_system_sgpr_workgroup_info 0
		.amdhsa_system_vgpr_workitem_id 0
		.amdhsa_next_free_vgpr 32
		.amdhsa_next_free_sgpr 32
		.amdhsa_accum_offset 32
		.amdhsa_reserve_vcc 1
		.amdhsa_reserve_flat_scratch 0
		.amdhsa_float_round_mode_32 0
		.amdhsa_float_round_mode_16_64 0
		.amdhsa_float_denorm_mode_32 3
		.amdhsa_float_denorm_mode_16_64 3
		.amdhsa_dx10_clamp 1
		.amdhsa_ieee_mode 1
		.amdhsa_fp16_overflow 0
		.amdhsa_tg_split 0
		.amdhsa_exception_fp_ieee_invalid_op 0
		.amdhsa_exception_fp_denorm_src 0
		.amdhsa_exception_fp_ieee_div_zero 0
		.amdhsa_exception_fp_ieee_overflow 0
		.amdhsa_exception_fp_ieee_underflow 0
		.amdhsa_exception_fp_ieee_inexact 0
		.amdhsa_exception_int_div_zero 0
	.end_amdhsa_kernel
	.section	.text._ZN7rocprim17ROCPRIM_400000_NS6detail17trampoline_kernelINS0_14default_configENS1_21merge_config_selectorItNS0_10empty_typeEEEZNS1_10merge_implIS3_N6thrust23THRUST_200600_302600_NS6detail15normal_iteratorINS9_10device_ptrIKtEEEESF_NS9_16discard_iteratorINS9_11use_defaultEEEPS5_SJ_SJ_NS9_4lessItEEEE10hipError_tPvRmT0_T1_T2_T3_T4_T5_mmT6_P12ihipStream_tbEUlT_E0_NS1_11comp_targetILNS1_3genE4ELNS1_11target_archE910ELNS1_3gpuE8ELNS1_3repE0EEENS1_30default_config_static_selectorELNS0_4arch9wavefront6targetE1EEEvSQ_,"axG",@progbits,_ZN7rocprim17ROCPRIM_400000_NS6detail17trampoline_kernelINS0_14default_configENS1_21merge_config_selectorItNS0_10empty_typeEEEZNS1_10merge_implIS3_N6thrust23THRUST_200600_302600_NS6detail15normal_iteratorINS9_10device_ptrIKtEEEESF_NS9_16discard_iteratorINS9_11use_defaultEEEPS5_SJ_SJ_NS9_4lessItEEEE10hipError_tPvRmT0_T1_T2_T3_T4_T5_mmT6_P12ihipStream_tbEUlT_E0_NS1_11comp_targetILNS1_3genE4ELNS1_11target_archE910ELNS1_3gpuE8ELNS1_3repE0EEENS1_30default_config_static_selectorELNS0_4arch9wavefront6targetE1EEEvSQ_,comdat
.Lfunc_end400:
	.size	_ZN7rocprim17ROCPRIM_400000_NS6detail17trampoline_kernelINS0_14default_configENS1_21merge_config_selectorItNS0_10empty_typeEEEZNS1_10merge_implIS3_N6thrust23THRUST_200600_302600_NS6detail15normal_iteratorINS9_10device_ptrIKtEEEESF_NS9_16discard_iteratorINS9_11use_defaultEEEPS5_SJ_SJ_NS9_4lessItEEEE10hipError_tPvRmT0_T1_T2_T3_T4_T5_mmT6_P12ihipStream_tbEUlT_E0_NS1_11comp_targetILNS1_3genE4ELNS1_11target_archE910ELNS1_3gpuE8ELNS1_3repE0EEENS1_30default_config_static_selectorELNS0_4arch9wavefront6targetE1EEEvSQ_, .Lfunc_end400-_ZN7rocprim17ROCPRIM_400000_NS6detail17trampoline_kernelINS0_14default_configENS1_21merge_config_selectorItNS0_10empty_typeEEEZNS1_10merge_implIS3_N6thrust23THRUST_200600_302600_NS6detail15normal_iteratorINS9_10device_ptrIKtEEEESF_NS9_16discard_iteratorINS9_11use_defaultEEEPS5_SJ_SJ_NS9_4lessItEEEE10hipError_tPvRmT0_T1_T2_T3_T4_T5_mmT6_P12ihipStream_tbEUlT_E0_NS1_11comp_targetILNS1_3genE4ELNS1_11target_archE910ELNS1_3gpuE8ELNS1_3repE0EEENS1_30default_config_static_selectorELNS0_4arch9wavefront6targetE1EEEvSQ_
                                        ; -- End function
	.section	.AMDGPU.csdata,"",@progbits
; Kernel info:
; codeLenInByte = 4364
; NumSgprs: 36
; NumVgprs: 32
; NumAgprs: 0
; TotalNumVgprs: 32
; ScratchSize: 0
; MemoryBound: 0
; FloatMode: 240
; IeeeMode: 1
; LDSByteSize: 8448 bytes/workgroup (compile time only)
; SGPRBlocks: 4
; VGPRBlocks: 3
; NumSGPRsForWavesPerEU: 36
; NumVGPRsForWavesPerEU: 32
; AccumOffset: 32
; Occupancy: 7
; WaveLimiterHint : 1
; COMPUTE_PGM_RSRC2:SCRATCH_EN: 0
; COMPUTE_PGM_RSRC2:USER_SGPR: 6
; COMPUTE_PGM_RSRC2:TRAP_HANDLER: 0
; COMPUTE_PGM_RSRC2:TGID_X_EN: 1
; COMPUTE_PGM_RSRC2:TGID_Y_EN: 0
; COMPUTE_PGM_RSRC2:TGID_Z_EN: 0
; COMPUTE_PGM_RSRC2:TIDIG_COMP_CNT: 0
; COMPUTE_PGM_RSRC3_GFX90A:ACCUM_OFFSET: 7
; COMPUTE_PGM_RSRC3_GFX90A:TG_SPLIT: 0
	.section	.text._ZN7rocprim17ROCPRIM_400000_NS6detail17trampoline_kernelINS0_14default_configENS1_21merge_config_selectorItNS0_10empty_typeEEEZNS1_10merge_implIS3_N6thrust23THRUST_200600_302600_NS6detail15normal_iteratorINS9_10device_ptrIKtEEEESF_NS9_16discard_iteratorINS9_11use_defaultEEEPS5_SJ_SJ_NS9_4lessItEEEE10hipError_tPvRmT0_T1_T2_T3_T4_T5_mmT6_P12ihipStream_tbEUlT_E0_NS1_11comp_targetILNS1_3genE3ELNS1_11target_archE908ELNS1_3gpuE7ELNS1_3repE0EEENS1_30default_config_static_selectorELNS0_4arch9wavefront6targetE1EEEvSQ_,"axG",@progbits,_ZN7rocprim17ROCPRIM_400000_NS6detail17trampoline_kernelINS0_14default_configENS1_21merge_config_selectorItNS0_10empty_typeEEEZNS1_10merge_implIS3_N6thrust23THRUST_200600_302600_NS6detail15normal_iteratorINS9_10device_ptrIKtEEEESF_NS9_16discard_iteratorINS9_11use_defaultEEEPS5_SJ_SJ_NS9_4lessItEEEE10hipError_tPvRmT0_T1_T2_T3_T4_T5_mmT6_P12ihipStream_tbEUlT_E0_NS1_11comp_targetILNS1_3genE3ELNS1_11target_archE908ELNS1_3gpuE7ELNS1_3repE0EEENS1_30default_config_static_selectorELNS0_4arch9wavefront6targetE1EEEvSQ_,comdat
	.protected	_ZN7rocprim17ROCPRIM_400000_NS6detail17trampoline_kernelINS0_14default_configENS1_21merge_config_selectorItNS0_10empty_typeEEEZNS1_10merge_implIS3_N6thrust23THRUST_200600_302600_NS6detail15normal_iteratorINS9_10device_ptrIKtEEEESF_NS9_16discard_iteratorINS9_11use_defaultEEEPS5_SJ_SJ_NS9_4lessItEEEE10hipError_tPvRmT0_T1_T2_T3_T4_T5_mmT6_P12ihipStream_tbEUlT_E0_NS1_11comp_targetILNS1_3genE3ELNS1_11target_archE908ELNS1_3gpuE7ELNS1_3repE0EEENS1_30default_config_static_selectorELNS0_4arch9wavefront6targetE1EEEvSQ_ ; -- Begin function _ZN7rocprim17ROCPRIM_400000_NS6detail17trampoline_kernelINS0_14default_configENS1_21merge_config_selectorItNS0_10empty_typeEEEZNS1_10merge_implIS3_N6thrust23THRUST_200600_302600_NS6detail15normal_iteratorINS9_10device_ptrIKtEEEESF_NS9_16discard_iteratorINS9_11use_defaultEEEPS5_SJ_SJ_NS9_4lessItEEEE10hipError_tPvRmT0_T1_T2_T3_T4_T5_mmT6_P12ihipStream_tbEUlT_E0_NS1_11comp_targetILNS1_3genE3ELNS1_11target_archE908ELNS1_3gpuE7ELNS1_3repE0EEENS1_30default_config_static_selectorELNS0_4arch9wavefront6targetE1EEEvSQ_
	.globl	_ZN7rocprim17ROCPRIM_400000_NS6detail17trampoline_kernelINS0_14default_configENS1_21merge_config_selectorItNS0_10empty_typeEEEZNS1_10merge_implIS3_N6thrust23THRUST_200600_302600_NS6detail15normal_iteratorINS9_10device_ptrIKtEEEESF_NS9_16discard_iteratorINS9_11use_defaultEEEPS5_SJ_SJ_NS9_4lessItEEEE10hipError_tPvRmT0_T1_T2_T3_T4_T5_mmT6_P12ihipStream_tbEUlT_E0_NS1_11comp_targetILNS1_3genE3ELNS1_11target_archE908ELNS1_3gpuE7ELNS1_3repE0EEENS1_30default_config_static_selectorELNS0_4arch9wavefront6targetE1EEEvSQ_
	.p2align	8
	.type	_ZN7rocprim17ROCPRIM_400000_NS6detail17trampoline_kernelINS0_14default_configENS1_21merge_config_selectorItNS0_10empty_typeEEEZNS1_10merge_implIS3_N6thrust23THRUST_200600_302600_NS6detail15normal_iteratorINS9_10device_ptrIKtEEEESF_NS9_16discard_iteratorINS9_11use_defaultEEEPS5_SJ_SJ_NS9_4lessItEEEE10hipError_tPvRmT0_T1_T2_T3_T4_T5_mmT6_P12ihipStream_tbEUlT_E0_NS1_11comp_targetILNS1_3genE3ELNS1_11target_archE908ELNS1_3gpuE7ELNS1_3repE0EEENS1_30default_config_static_selectorELNS0_4arch9wavefront6targetE1EEEvSQ_,@function
_ZN7rocprim17ROCPRIM_400000_NS6detail17trampoline_kernelINS0_14default_configENS1_21merge_config_selectorItNS0_10empty_typeEEEZNS1_10merge_implIS3_N6thrust23THRUST_200600_302600_NS6detail15normal_iteratorINS9_10device_ptrIKtEEEESF_NS9_16discard_iteratorINS9_11use_defaultEEEPS5_SJ_SJ_NS9_4lessItEEEE10hipError_tPvRmT0_T1_T2_T3_T4_T5_mmT6_P12ihipStream_tbEUlT_E0_NS1_11comp_targetILNS1_3genE3ELNS1_11target_archE908ELNS1_3gpuE7ELNS1_3repE0EEENS1_30default_config_static_selectorELNS0_4arch9wavefront6targetE1EEEvSQ_: ; @_ZN7rocprim17ROCPRIM_400000_NS6detail17trampoline_kernelINS0_14default_configENS1_21merge_config_selectorItNS0_10empty_typeEEEZNS1_10merge_implIS3_N6thrust23THRUST_200600_302600_NS6detail15normal_iteratorINS9_10device_ptrIKtEEEESF_NS9_16discard_iteratorINS9_11use_defaultEEEPS5_SJ_SJ_NS9_4lessItEEEE10hipError_tPvRmT0_T1_T2_T3_T4_T5_mmT6_P12ihipStream_tbEUlT_E0_NS1_11comp_targetILNS1_3genE3ELNS1_11target_archE908ELNS1_3gpuE7ELNS1_3repE0EEENS1_30default_config_static_selectorELNS0_4arch9wavefront6targetE1EEEvSQ_
; %bb.0:
	.section	.rodata,"a",@progbits
	.p2align	6, 0x0
	.amdhsa_kernel _ZN7rocprim17ROCPRIM_400000_NS6detail17trampoline_kernelINS0_14default_configENS1_21merge_config_selectorItNS0_10empty_typeEEEZNS1_10merge_implIS3_N6thrust23THRUST_200600_302600_NS6detail15normal_iteratorINS9_10device_ptrIKtEEEESF_NS9_16discard_iteratorINS9_11use_defaultEEEPS5_SJ_SJ_NS9_4lessItEEEE10hipError_tPvRmT0_T1_T2_T3_T4_T5_mmT6_P12ihipStream_tbEUlT_E0_NS1_11comp_targetILNS1_3genE3ELNS1_11target_archE908ELNS1_3gpuE7ELNS1_3repE0EEENS1_30default_config_static_selectorELNS0_4arch9wavefront6targetE1EEEvSQ_
		.amdhsa_group_segment_fixed_size 0
		.amdhsa_private_segment_fixed_size 0
		.amdhsa_kernarg_size 96
		.amdhsa_user_sgpr_count 6
		.amdhsa_user_sgpr_private_segment_buffer 1
		.amdhsa_user_sgpr_dispatch_ptr 0
		.amdhsa_user_sgpr_queue_ptr 0
		.amdhsa_user_sgpr_kernarg_segment_ptr 1
		.amdhsa_user_sgpr_dispatch_id 0
		.amdhsa_user_sgpr_flat_scratch_init 0
		.amdhsa_user_sgpr_kernarg_preload_length 0
		.amdhsa_user_sgpr_kernarg_preload_offset 0
		.amdhsa_user_sgpr_private_segment_size 0
		.amdhsa_uses_dynamic_stack 0
		.amdhsa_system_sgpr_private_segment_wavefront_offset 0
		.amdhsa_system_sgpr_workgroup_id_x 1
		.amdhsa_system_sgpr_workgroup_id_y 0
		.amdhsa_system_sgpr_workgroup_id_z 0
		.amdhsa_system_sgpr_workgroup_info 0
		.amdhsa_system_vgpr_workitem_id 0
		.amdhsa_next_free_vgpr 1
		.amdhsa_next_free_sgpr 0
		.amdhsa_accum_offset 4
		.amdhsa_reserve_vcc 0
		.amdhsa_reserve_flat_scratch 0
		.amdhsa_float_round_mode_32 0
		.amdhsa_float_round_mode_16_64 0
		.amdhsa_float_denorm_mode_32 3
		.amdhsa_float_denorm_mode_16_64 3
		.amdhsa_dx10_clamp 1
		.amdhsa_ieee_mode 1
		.amdhsa_fp16_overflow 0
		.amdhsa_tg_split 0
		.amdhsa_exception_fp_ieee_invalid_op 0
		.amdhsa_exception_fp_denorm_src 0
		.amdhsa_exception_fp_ieee_div_zero 0
		.amdhsa_exception_fp_ieee_overflow 0
		.amdhsa_exception_fp_ieee_underflow 0
		.amdhsa_exception_fp_ieee_inexact 0
		.amdhsa_exception_int_div_zero 0
	.end_amdhsa_kernel
	.section	.text._ZN7rocprim17ROCPRIM_400000_NS6detail17trampoline_kernelINS0_14default_configENS1_21merge_config_selectorItNS0_10empty_typeEEEZNS1_10merge_implIS3_N6thrust23THRUST_200600_302600_NS6detail15normal_iteratorINS9_10device_ptrIKtEEEESF_NS9_16discard_iteratorINS9_11use_defaultEEEPS5_SJ_SJ_NS9_4lessItEEEE10hipError_tPvRmT0_T1_T2_T3_T4_T5_mmT6_P12ihipStream_tbEUlT_E0_NS1_11comp_targetILNS1_3genE3ELNS1_11target_archE908ELNS1_3gpuE7ELNS1_3repE0EEENS1_30default_config_static_selectorELNS0_4arch9wavefront6targetE1EEEvSQ_,"axG",@progbits,_ZN7rocprim17ROCPRIM_400000_NS6detail17trampoline_kernelINS0_14default_configENS1_21merge_config_selectorItNS0_10empty_typeEEEZNS1_10merge_implIS3_N6thrust23THRUST_200600_302600_NS6detail15normal_iteratorINS9_10device_ptrIKtEEEESF_NS9_16discard_iteratorINS9_11use_defaultEEEPS5_SJ_SJ_NS9_4lessItEEEE10hipError_tPvRmT0_T1_T2_T3_T4_T5_mmT6_P12ihipStream_tbEUlT_E0_NS1_11comp_targetILNS1_3genE3ELNS1_11target_archE908ELNS1_3gpuE7ELNS1_3repE0EEENS1_30default_config_static_selectorELNS0_4arch9wavefront6targetE1EEEvSQ_,comdat
.Lfunc_end401:
	.size	_ZN7rocprim17ROCPRIM_400000_NS6detail17trampoline_kernelINS0_14default_configENS1_21merge_config_selectorItNS0_10empty_typeEEEZNS1_10merge_implIS3_N6thrust23THRUST_200600_302600_NS6detail15normal_iteratorINS9_10device_ptrIKtEEEESF_NS9_16discard_iteratorINS9_11use_defaultEEEPS5_SJ_SJ_NS9_4lessItEEEE10hipError_tPvRmT0_T1_T2_T3_T4_T5_mmT6_P12ihipStream_tbEUlT_E0_NS1_11comp_targetILNS1_3genE3ELNS1_11target_archE908ELNS1_3gpuE7ELNS1_3repE0EEENS1_30default_config_static_selectorELNS0_4arch9wavefront6targetE1EEEvSQ_, .Lfunc_end401-_ZN7rocprim17ROCPRIM_400000_NS6detail17trampoline_kernelINS0_14default_configENS1_21merge_config_selectorItNS0_10empty_typeEEEZNS1_10merge_implIS3_N6thrust23THRUST_200600_302600_NS6detail15normal_iteratorINS9_10device_ptrIKtEEEESF_NS9_16discard_iteratorINS9_11use_defaultEEEPS5_SJ_SJ_NS9_4lessItEEEE10hipError_tPvRmT0_T1_T2_T3_T4_T5_mmT6_P12ihipStream_tbEUlT_E0_NS1_11comp_targetILNS1_3genE3ELNS1_11target_archE908ELNS1_3gpuE7ELNS1_3repE0EEENS1_30default_config_static_selectorELNS0_4arch9wavefront6targetE1EEEvSQ_
                                        ; -- End function
	.section	.AMDGPU.csdata,"",@progbits
; Kernel info:
; codeLenInByte = 0
; NumSgprs: 4
; NumVgprs: 0
; NumAgprs: 0
; TotalNumVgprs: 0
; ScratchSize: 0
; MemoryBound: 0
; FloatMode: 240
; IeeeMode: 1
; LDSByteSize: 0 bytes/workgroup (compile time only)
; SGPRBlocks: 0
; VGPRBlocks: 0
; NumSGPRsForWavesPerEU: 4
; NumVGPRsForWavesPerEU: 1
; AccumOffset: 4
; Occupancy: 8
; WaveLimiterHint : 0
; COMPUTE_PGM_RSRC2:SCRATCH_EN: 0
; COMPUTE_PGM_RSRC2:USER_SGPR: 6
; COMPUTE_PGM_RSRC2:TRAP_HANDLER: 0
; COMPUTE_PGM_RSRC2:TGID_X_EN: 1
; COMPUTE_PGM_RSRC2:TGID_Y_EN: 0
; COMPUTE_PGM_RSRC2:TGID_Z_EN: 0
; COMPUTE_PGM_RSRC2:TIDIG_COMP_CNT: 0
; COMPUTE_PGM_RSRC3_GFX90A:ACCUM_OFFSET: 0
; COMPUTE_PGM_RSRC3_GFX90A:TG_SPLIT: 0
	.section	.text._ZN7rocprim17ROCPRIM_400000_NS6detail17trampoline_kernelINS0_14default_configENS1_21merge_config_selectorItNS0_10empty_typeEEEZNS1_10merge_implIS3_N6thrust23THRUST_200600_302600_NS6detail15normal_iteratorINS9_10device_ptrIKtEEEESF_NS9_16discard_iteratorINS9_11use_defaultEEEPS5_SJ_SJ_NS9_4lessItEEEE10hipError_tPvRmT0_T1_T2_T3_T4_T5_mmT6_P12ihipStream_tbEUlT_E0_NS1_11comp_targetILNS1_3genE2ELNS1_11target_archE906ELNS1_3gpuE6ELNS1_3repE0EEENS1_30default_config_static_selectorELNS0_4arch9wavefront6targetE1EEEvSQ_,"axG",@progbits,_ZN7rocprim17ROCPRIM_400000_NS6detail17trampoline_kernelINS0_14default_configENS1_21merge_config_selectorItNS0_10empty_typeEEEZNS1_10merge_implIS3_N6thrust23THRUST_200600_302600_NS6detail15normal_iteratorINS9_10device_ptrIKtEEEESF_NS9_16discard_iteratorINS9_11use_defaultEEEPS5_SJ_SJ_NS9_4lessItEEEE10hipError_tPvRmT0_T1_T2_T3_T4_T5_mmT6_P12ihipStream_tbEUlT_E0_NS1_11comp_targetILNS1_3genE2ELNS1_11target_archE906ELNS1_3gpuE6ELNS1_3repE0EEENS1_30default_config_static_selectorELNS0_4arch9wavefront6targetE1EEEvSQ_,comdat
	.protected	_ZN7rocprim17ROCPRIM_400000_NS6detail17trampoline_kernelINS0_14default_configENS1_21merge_config_selectorItNS0_10empty_typeEEEZNS1_10merge_implIS3_N6thrust23THRUST_200600_302600_NS6detail15normal_iteratorINS9_10device_ptrIKtEEEESF_NS9_16discard_iteratorINS9_11use_defaultEEEPS5_SJ_SJ_NS9_4lessItEEEE10hipError_tPvRmT0_T1_T2_T3_T4_T5_mmT6_P12ihipStream_tbEUlT_E0_NS1_11comp_targetILNS1_3genE2ELNS1_11target_archE906ELNS1_3gpuE6ELNS1_3repE0EEENS1_30default_config_static_selectorELNS0_4arch9wavefront6targetE1EEEvSQ_ ; -- Begin function _ZN7rocprim17ROCPRIM_400000_NS6detail17trampoline_kernelINS0_14default_configENS1_21merge_config_selectorItNS0_10empty_typeEEEZNS1_10merge_implIS3_N6thrust23THRUST_200600_302600_NS6detail15normal_iteratorINS9_10device_ptrIKtEEEESF_NS9_16discard_iteratorINS9_11use_defaultEEEPS5_SJ_SJ_NS9_4lessItEEEE10hipError_tPvRmT0_T1_T2_T3_T4_T5_mmT6_P12ihipStream_tbEUlT_E0_NS1_11comp_targetILNS1_3genE2ELNS1_11target_archE906ELNS1_3gpuE6ELNS1_3repE0EEENS1_30default_config_static_selectorELNS0_4arch9wavefront6targetE1EEEvSQ_
	.globl	_ZN7rocprim17ROCPRIM_400000_NS6detail17trampoline_kernelINS0_14default_configENS1_21merge_config_selectorItNS0_10empty_typeEEEZNS1_10merge_implIS3_N6thrust23THRUST_200600_302600_NS6detail15normal_iteratorINS9_10device_ptrIKtEEEESF_NS9_16discard_iteratorINS9_11use_defaultEEEPS5_SJ_SJ_NS9_4lessItEEEE10hipError_tPvRmT0_T1_T2_T3_T4_T5_mmT6_P12ihipStream_tbEUlT_E0_NS1_11comp_targetILNS1_3genE2ELNS1_11target_archE906ELNS1_3gpuE6ELNS1_3repE0EEENS1_30default_config_static_selectorELNS0_4arch9wavefront6targetE1EEEvSQ_
	.p2align	8
	.type	_ZN7rocprim17ROCPRIM_400000_NS6detail17trampoline_kernelINS0_14default_configENS1_21merge_config_selectorItNS0_10empty_typeEEEZNS1_10merge_implIS3_N6thrust23THRUST_200600_302600_NS6detail15normal_iteratorINS9_10device_ptrIKtEEEESF_NS9_16discard_iteratorINS9_11use_defaultEEEPS5_SJ_SJ_NS9_4lessItEEEE10hipError_tPvRmT0_T1_T2_T3_T4_T5_mmT6_P12ihipStream_tbEUlT_E0_NS1_11comp_targetILNS1_3genE2ELNS1_11target_archE906ELNS1_3gpuE6ELNS1_3repE0EEENS1_30default_config_static_selectorELNS0_4arch9wavefront6targetE1EEEvSQ_,@function
_ZN7rocprim17ROCPRIM_400000_NS6detail17trampoline_kernelINS0_14default_configENS1_21merge_config_selectorItNS0_10empty_typeEEEZNS1_10merge_implIS3_N6thrust23THRUST_200600_302600_NS6detail15normal_iteratorINS9_10device_ptrIKtEEEESF_NS9_16discard_iteratorINS9_11use_defaultEEEPS5_SJ_SJ_NS9_4lessItEEEE10hipError_tPvRmT0_T1_T2_T3_T4_T5_mmT6_P12ihipStream_tbEUlT_E0_NS1_11comp_targetILNS1_3genE2ELNS1_11target_archE906ELNS1_3gpuE6ELNS1_3repE0EEENS1_30default_config_static_selectorELNS0_4arch9wavefront6targetE1EEEvSQ_: ; @_ZN7rocprim17ROCPRIM_400000_NS6detail17trampoline_kernelINS0_14default_configENS1_21merge_config_selectorItNS0_10empty_typeEEEZNS1_10merge_implIS3_N6thrust23THRUST_200600_302600_NS6detail15normal_iteratorINS9_10device_ptrIKtEEEESF_NS9_16discard_iteratorINS9_11use_defaultEEEPS5_SJ_SJ_NS9_4lessItEEEE10hipError_tPvRmT0_T1_T2_T3_T4_T5_mmT6_P12ihipStream_tbEUlT_E0_NS1_11comp_targetILNS1_3genE2ELNS1_11target_archE906ELNS1_3gpuE6ELNS1_3repE0EEENS1_30default_config_static_selectorELNS0_4arch9wavefront6targetE1EEEvSQ_
; %bb.0:
	.section	.rodata,"a",@progbits
	.p2align	6, 0x0
	.amdhsa_kernel _ZN7rocprim17ROCPRIM_400000_NS6detail17trampoline_kernelINS0_14default_configENS1_21merge_config_selectorItNS0_10empty_typeEEEZNS1_10merge_implIS3_N6thrust23THRUST_200600_302600_NS6detail15normal_iteratorINS9_10device_ptrIKtEEEESF_NS9_16discard_iteratorINS9_11use_defaultEEEPS5_SJ_SJ_NS9_4lessItEEEE10hipError_tPvRmT0_T1_T2_T3_T4_T5_mmT6_P12ihipStream_tbEUlT_E0_NS1_11comp_targetILNS1_3genE2ELNS1_11target_archE906ELNS1_3gpuE6ELNS1_3repE0EEENS1_30default_config_static_selectorELNS0_4arch9wavefront6targetE1EEEvSQ_
		.amdhsa_group_segment_fixed_size 0
		.amdhsa_private_segment_fixed_size 0
		.amdhsa_kernarg_size 96
		.amdhsa_user_sgpr_count 6
		.amdhsa_user_sgpr_private_segment_buffer 1
		.amdhsa_user_sgpr_dispatch_ptr 0
		.amdhsa_user_sgpr_queue_ptr 0
		.amdhsa_user_sgpr_kernarg_segment_ptr 1
		.amdhsa_user_sgpr_dispatch_id 0
		.amdhsa_user_sgpr_flat_scratch_init 0
		.amdhsa_user_sgpr_kernarg_preload_length 0
		.amdhsa_user_sgpr_kernarg_preload_offset 0
		.amdhsa_user_sgpr_private_segment_size 0
		.amdhsa_uses_dynamic_stack 0
		.amdhsa_system_sgpr_private_segment_wavefront_offset 0
		.amdhsa_system_sgpr_workgroup_id_x 1
		.amdhsa_system_sgpr_workgroup_id_y 0
		.amdhsa_system_sgpr_workgroup_id_z 0
		.amdhsa_system_sgpr_workgroup_info 0
		.amdhsa_system_vgpr_workitem_id 0
		.amdhsa_next_free_vgpr 1
		.amdhsa_next_free_sgpr 0
		.amdhsa_accum_offset 4
		.amdhsa_reserve_vcc 0
		.amdhsa_reserve_flat_scratch 0
		.amdhsa_float_round_mode_32 0
		.amdhsa_float_round_mode_16_64 0
		.amdhsa_float_denorm_mode_32 3
		.amdhsa_float_denorm_mode_16_64 3
		.amdhsa_dx10_clamp 1
		.amdhsa_ieee_mode 1
		.amdhsa_fp16_overflow 0
		.amdhsa_tg_split 0
		.amdhsa_exception_fp_ieee_invalid_op 0
		.amdhsa_exception_fp_denorm_src 0
		.amdhsa_exception_fp_ieee_div_zero 0
		.amdhsa_exception_fp_ieee_overflow 0
		.amdhsa_exception_fp_ieee_underflow 0
		.amdhsa_exception_fp_ieee_inexact 0
		.amdhsa_exception_int_div_zero 0
	.end_amdhsa_kernel
	.section	.text._ZN7rocprim17ROCPRIM_400000_NS6detail17trampoline_kernelINS0_14default_configENS1_21merge_config_selectorItNS0_10empty_typeEEEZNS1_10merge_implIS3_N6thrust23THRUST_200600_302600_NS6detail15normal_iteratorINS9_10device_ptrIKtEEEESF_NS9_16discard_iteratorINS9_11use_defaultEEEPS5_SJ_SJ_NS9_4lessItEEEE10hipError_tPvRmT0_T1_T2_T3_T4_T5_mmT6_P12ihipStream_tbEUlT_E0_NS1_11comp_targetILNS1_3genE2ELNS1_11target_archE906ELNS1_3gpuE6ELNS1_3repE0EEENS1_30default_config_static_selectorELNS0_4arch9wavefront6targetE1EEEvSQ_,"axG",@progbits,_ZN7rocprim17ROCPRIM_400000_NS6detail17trampoline_kernelINS0_14default_configENS1_21merge_config_selectorItNS0_10empty_typeEEEZNS1_10merge_implIS3_N6thrust23THRUST_200600_302600_NS6detail15normal_iteratorINS9_10device_ptrIKtEEEESF_NS9_16discard_iteratorINS9_11use_defaultEEEPS5_SJ_SJ_NS9_4lessItEEEE10hipError_tPvRmT0_T1_T2_T3_T4_T5_mmT6_P12ihipStream_tbEUlT_E0_NS1_11comp_targetILNS1_3genE2ELNS1_11target_archE906ELNS1_3gpuE6ELNS1_3repE0EEENS1_30default_config_static_selectorELNS0_4arch9wavefront6targetE1EEEvSQ_,comdat
.Lfunc_end402:
	.size	_ZN7rocprim17ROCPRIM_400000_NS6detail17trampoline_kernelINS0_14default_configENS1_21merge_config_selectorItNS0_10empty_typeEEEZNS1_10merge_implIS3_N6thrust23THRUST_200600_302600_NS6detail15normal_iteratorINS9_10device_ptrIKtEEEESF_NS9_16discard_iteratorINS9_11use_defaultEEEPS5_SJ_SJ_NS9_4lessItEEEE10hipError_tPvRmT0_T1_T2_T3_T4_T5_mmT6_P12ihipStream_tbEUlT_E0_NS1_11comp_targetILNS1_3genE2ELNS1_11target_archE906ELNS1_3gpuE6ELNS1_3repE0EEENS1_30default_config_static_selectorELNS0_4arch9wavefront6targetE1EEEvSQ_, .Lfunc_end402-_ZN7rocprim17ROCPRIM_400000_NS6detail17trampoline_kernelINS0_14default_configENS1_21merge_config_selectorItNS0_10empty_typeEEEZNS1_10merge_implIS3_N6thrust23THRUST_200600_302600_NS6detail15normal_iteratorINS9_10device_ptrIKtEEEESF_NS9_16discard_iteratorINS9_11use_defaultEEEPS5_SJ_SJ_NS9_4lessItEEEE10hipError_tPvRmT0_T1_T2_T3_T4_T5_mmT6_P12ihipStream_tbEUlT_E0_NS1_11comp_targetILNS1_3genE2ELNS1_11target_archE906ELNS1_3gpuE6ELNS1_3repE0EEENS1_30default_config_static_selectorELNS0_4arch9wavefront6targetE1EEEvSQ_
                                        ; -- End function
	.section	.AMDGPU.csdata,"",@progbits
; Kernel info:
; codeLenInByte = 0
; NumSgprs: 4
; NumVgprs: 0
; NumAgprs: 0
; TotalNumVgprs: 0
; ScratchSize: 0
; MemoryBound: 0
; FloatMode: 240
; IeeeMode: 1
; LDSByteSize: 0 bytes/workgroup (compile time only)
; SGPRBlocks: 0
; VGPRBlocks: 0
; NumSGPRsForWavesPerEU: 4
; NumVGPRsForWavesPerEU: 1
; AccumOffset: 4
; Occupancy: 8
; WaveLimiterHint : 0
; COMPUTE_PGM_RSRC2:SCRATCH_EN: 0
; COMPUTE_PGM_RSRC2:USER_SGPR: 6
; COMPUTE_PGM_RSRC2:TRAP_HANDLER: 0
; COMPUTE_PGM_RSRC2:TGID_X_EN: 1
; COMPUTE_PGM_RSRC2:TGID_Y_EN: 0
; COMPUTE_PGM_RSRC2:TGID_Z_EN: 0
; COMPUTE_PGM_RSRC2:TIDIG_COMP_CNT: 0
; COMPUTE_PGM_RSRC3_GFX90A:ACCUM_OFFSET: 0
; COMPUTE_PGM_RSRC3_GFX90A:TG_SPLIT: 0
	.section	.text._ZN7rocprim17ROCPRIM_400000_NS6detail17trampoline_kernelINS0_14default_configENS1_21merge_config_selectorItNS0_10empty_typeEEEZNS1_10merge_implIS3_N6thrust23THRUST_200600_302600_NS6detail15normal_iteratorINS9_10device_ptrIKtEEEESF_NS9_16discard_iteratorINS9_11use_defaultEEEPS5_SJ_SJ_NS9_4lessItEEEE10hipError_tPvRmT0_T1_T2_T3_T4_T5_mmT6_P12ihipStream_tbEUlT_E0_NS1_11comp_targetILNS1_3genE10ELNS1_11target_archE1201ELNS1_3gpuE5ELNS1_3repE0EEENS1_30default_config_static_selectorELNS0_4arch9wavefront6targetE1EEEvSQ_,"axG",@progbits,_ZN7rocprim17ROCPRIM_400000_NS6detail17trampoline_kernelINS0_14default_configENS1_21merge_config_selectorItNS0_10empty_typeEEEZNS1_10merge_implIS3_N6thrust23THRUST_200600_302600_NS6detail15normal_iteratorINS9_10device_ptrIKtEEEESF_NS9_16discard_iteratorINS9_11use_defaultEEEPS5_SJ_SJ_NS9_4lessItEEEE10hipError_tPvRmT0_T1_T2_T3_T4_T5_mmT6_P12ihipStream_tbEUlT_E0_NS1_11comp_targetILNS1_3genE10ELNS1_11target_archE1201ELNS1_3gpuE5ELNS1_3repE0EEENS1_30default_config_static_selectorELNS0_4arch9wavefront6targetE1EEEvSQ_,comdat
	.protected	_ZN7rocprim17ROCPRIM_400000_NS6detail17trampoline_kernelINS0_14default_configENS1_21merge_config_selectorItNS0_10empty_typeEEEZNS1_10merge_implIS3_N6thrust23THRUST_200600_302600_NS6detail15normal_iteratorINS9_10device_ptrIKtEEEESF_NS9_16discard_iteratorINS9_11use_defaultEEEPS5_SJ_SJ_NS9_4lessItEEEE10hipError_tPvRmT0_T1_T2_T3_T4_T5_mmT6_P12ihipStream_tbEUlT_E0_NS1_11comp_targetILNS1_3genE10ELNS1_11target_archE1201ELNS1_3gpuE5ELNS1_3repE0EEENS1_30default_config_static_selectorELNS0_4arch9wavefront6targetE1EEEvSQ_ ; -- Begin function _ZN7rocprim17ROCPRIM_400000_NS6detail17trampoline_kernelINS0_14default_configENS1_21merge_config_selectorItNS0_10empty_typeEEEZNS1_10merge_implIS3_N6thrust23THRUST_200600_302600_NS6detail15normal_iteratorINS9_10device_ptrIKtEEEESF_NS9_16discard_iteratorINS9_11use_defaultEEEPS5_SJ_SJ_NS9_4lessItEEEE10hipError_tPvRmT0_T1_T2_T3_T4_T5_mmT6_P12ihipStream_tbEUlT_E0_NS1_11comp_targetILNS1_3genE10ELNS1_11target_archE1201ELNS1_3gpuE5ELNS1_3repE0EEENS1_30default_config_static_selectorELNS0_4arch9wavefront6targetE1EEEvSQ_
	.globl	_ZN7rocprim17ROCPRIM_400000_NS6detail17trampoline_kernelINS0_14default_configENS1_21merge_config_selectorItNS0_10empty_typeEEEZNS1_10merge_implIS3_N6thrust23THRUST_200600_302600_NS6detail15normal_iteratorINS9_10device_ptrIKtEEEESF_NS9_16discard_iteratorINS9_11use_defaultEEEPS5_SJ_SJ_NS9_4lessItEEEE10hipError_tPvRmT0_T1_T2_T3_T4_T5_mmT6_P12ihipStream_tbEUlT_E0_NS1_11comp_targetILNS1_3genE10ELNS1_11target_archE1201ELNS1_3gpuE5ELNS1_3repE0EEENS1_30default_config_static_selectorELNS0_4arch9wavefront6targetE1EEEvSQ_
	.p2align	8
	.type	_ZN7rocprim17ROCPRIM_400000_NS6detail17trampoline_kernelINS0_14default_configENS1_21merge_config_selectorItNS0_10empty_typeEEEZNS1_10merge_implIS3_N6thrust23THRUST_200600_302600_NS6detail15normal_iteratorINS9_10device_ptrIKtEEEESF_NS9_16discard_iteratorINS9_11use_defaultEEEPS5_SJ_SJ_NS9_4lessItEEEE10hipError_tPvRmT0_T1_T2_T3_T4_T5_mmT6_P12ihipStream_tbEUlT_E0_NS1_11comp_targetILNS1_3genE10ELNS1_11target_archE1201ELNS1_3gpuE5ELNS1_3repE0EEENS1_30default_config_static_selectorELNS0_4arch9wavefront6targetE1EEEvSQ_,@function
_ZN7rocprim17ROCPRIM_400000_NS6detail17trampoline_kernelINS0_14default_configENS1_21merge_config_selectorItNS0_10empty_typeEEEZNS1_10merge_implIS3_N6thrust23THRUST_200600_302600_NS6detail15normal_iteratorINS9_10device_ptrIKtEEEESF_NS9_16discard_iteratorINS9_11use_defaultEEEPS5_SJ_SJ_NS9_4lessItEEEE10hipError_tPvRmT0_T1_T2_T3_T4_T5_mmT6_P12ihipStream_tbEUlT_E0_NS1_11comp_targetILNS1_3genE10ELNS1_11target_archE1201ELNS1_3gpuE5ELNS1_3repE0EEENS1_30default_config_static_selectorELNS0_4arch9wavefront6targetE1EEEvSQ_: ; @_ZN7rocprim17ROCPRIM_400000_NS6detail17trampoline_kernelINS0_14default_configENS1_21merge_config_selectorItNS0_10empty_typeEEEZNS1_10merge_implIS3_N6thrust23THRUST_200600_302600_NS6detail15normal_iteratorINS9_10device_ptrIKtEEEESF_NS9_16discard_iteratorINS9_11use_defaultEEEPS5_SJ_SJ_NS9_4lessItEEEE10hipError_tPvRmT0_T1_T2_T3_T4_T5_mmT6_P12ihipStream_tbEUlT_E0_NS1_11comp_targetILNS1_3genE10ELNS1_11target_archE1201ELNS1_3gpuE5ELNS1_3repE0EEENS1_30default_config_static_selectorELNS0_4arch9wavefront6targetE1EEEvSQ_
; %bb.0:
	.section	.rodata,"a",@progbits
	.p2align	6, 0x0
	.amdhsa_kernel _ZN7rocprim17ROCPRIM_400000_NS6detail17trampoline_kernelINS0_14default_configENS1_21merge_config_selectorItNS0_10empty_typeEEEZNS1_10merge_implIS3_N6thrust23THRUST_200600_302600_NS6detail15normal_iteratorINS9_10device_ptrIKtEEEESF_NS9_16discard_iteratorINS9_11use_defaultEEEPS5_SJ_SJ_NS9_4lessItEEEE10hipError_tPvRmT0_T1_T2_T3_T4_T5_mmT6_P12ihipStream_tbEUlT_E0_NS1_11comp_targetILNS1_3genE10ELNS1_11target_archE1201ELNS1_3gpuE5ELNS1_3repE0EEENS1_30default_config_static_selectorELNS0_4arch9wavefront6targetE1EEEvSQ_
		.amdhsa_group_segment_fixed_size 0
		.amdhsa_private_segment_fixed_size 0
		.amdhsa_kernarg_size 96
		.amdhsa_user_sgpr_count 6
		.amdhsa_user_sgpr_private_segment_buffer 1
		.amdhsa_user_sgpr_dispatch_ptr 0
		.amdhsa_user_sgpr_queue_ptr 0
		.amdhsa_user_sgpr_kernarg_segment_ptr 1
		.amdhsa_user_sgpr_dispatch_id 0
		.amdhsa_user_sgpr_flat_scratch_init 0
		.amdhsa_user_sgpr_kernarg_preload_length 0
		.amdhsa_user_sgpr_kernarg_preload_offset 0
		.amdhsa_user_sgpr_private_segment_size 0
		.amdhsa_uses_dynamic_stack 0
		.amdhsa_system_sgpr_private_segment_wavefront_offset 0
		.amdhsa_system_sgpr_workgroup_id_x 1
		.amdhsa_system_sgpr_workgroup_id_y 0
		.amdhsa_system_sgpr_workgroup_id_z 0
		.amdhsa_system_sgpr_workgroup_info 0
		.amdhsa_system_vgpr_workitem_id 0
		.amdhsa_next_free_vgpr 1
		.amdhsa_next_free_sgpr 0
		.amdhsa_accum_offset 4
		.amdhsa_reserve_vcc 0
		.amdhsa_reserve_flat_scratch 0
		.amdhsa_float_round_mode_32 0
		.amdhsa_float_round_mode_16_64 0
		.amdhsa_float_denorm_mode_32 3
		.amdhsa_float_denorm_mode_16_64 3
		.amdhsa_dx10_clamp 1
		.amdhsa_ieee_mode 1
		.amdhsa_fp16_overflow 0
		.amdhsa_tg_split 0
		.amdhsa_exception_fp_ieee_invalid_op 0
		.amdhsa_exception_fp_denorm_src 0
		.amdhsa_exception_fp_ieee_div_zero 0
		.amdhsa_exception_fp_ieee_overflow 0
		.amdhsa_exception_fp_ieee_underflow 0
		.amdhsa_exception_fp_ieee_inexact 0
		.amdhsa_exception_int_div_zero 0
	.end_amdhsa_kernel
	.section	.text._ZN7rocprim17ROCPRIM_400000_NS6detail17trampoline_kernelINS0_14default_configENS1_21merge_config_selectorItNS0_10empty_typeEEEZNS1_10merge_implIS3_N6thrust23THRUST_200600_302600_NS6detail15normal_iteratorINS9_10device_ptrIKtEEEESF_NS9_16discard_iteratorINS9_11use_defaultEEEPS5_SJ_SJ_NS9_4lessItEEEE10hipError_tPvRmT0_T1_T2_T3_T4_T5_mmT6_P12ihipStream_tbEUlT_E0_NS1_11comp_targetILNS1_3genE10ELNS1_11target_archE1201ELNS1_3gpuE5ELNS1_3repE0EEENS1_30default_config_static_selectorELNS0_4arch9wavefront6targetE1EEEvSQ_,"axG",@progbits,_ZN7rocprim17ROCPRIM_400000_NS6detail17trampoline_kernelINS0_14default_configENS1_21merge_config_selectorItNS0_10empty_typeEEEZNS1_10merge_implIS3_N6thrust23THRUST_200600_302600_NS6detail15normal_iteratorINS9_10device_ptrIKtEEEESF_NS9_16discard_iteratorINS9_11use_defaultEEEPS5_SJ_SJ_NS9_4lessItEEEE10hipError_tPvRmT0_T1_T2_T3_T4_T5_mmT6_P12ihipStream_tbEUlT_E0_NS1_11comp_targetILNS1_3genE10ELNS1_11target_archE1201ELNS1_3gpuE5ELNS1_3repE0EEENS1_30default_config_static_selectorELNS0_4arch9wavefront6targetE1EEEvSQ_,comdat
.Lfunc_end403:
	.size	_ZN7rocprim17ROCPRIM_400000_NS6detail17trampoline_kernelINS0_14default_configENS1_21merge_config_selectorItNS0_10empty_typeEEEZNS1_10merge_implIS3_N6thrust23THRUST_200600_302600_NS6detail15normal_iteratorINS9_10device_ptrIKtEEEESF_NS9_16discard_iteratorINS9_11use_defaultEEEPS5_SJ_SJ_NS9_4lessItEEEE10hipError_tPvRmT0_T1_T2_T3_T4_T5_mmT6_P12ihipStream_tbEUlT_E0_NS1_11comp_targetILNS1_3genE10ELNS1_11target_archE1201ELNS1_3gpuE5ELNS1_3repE0EEENS1_30default_config_static_selectorELNS0_4arch9wavefront6targetE1EEEvSQ_, .Lfunc_end403-_ZN7rocprim17ROCPRIM_400000_NS6detail17trampoline_kernelINS0_14default_configENS1_21merge_config_selectorItNS0_10empty_typeEEEZNS1_10merge_implIS3_N6thrust23THRUST_200600_302600_NS6detail15normal_iteratorINS9_10device_ptrIKtEEEESF_NS9_16discard_iteratorINS9_11use_defaultEEEPS5_SJ_SJ_NS9_4lessItEEEE10hipError_tPvRmT0_T1_T2_T3_T4_T5_mmT6_P12ihipStream_tbEUlT_E0_NS1_11comp_targetILNS1_3genE10ELNS1_11target_archE1201ELNS1_3gpuE5ELNS1_3repE0EEENS1_30default_config_static_selectorELNS0_4arch9wavefront6targetE1EEEvSQ_
                                        ; -- End function
	.section	.AMDGPU.csdata,"",@progbits
; Kernel info:
; codeLenInByte = 0
; NumSgprs: 4
; NumVgprs: 0
; NumAgprs: 0
; TotalNumVgprs: 0
; ScratchSize: 0
; MemoryBound: 0
; FloatMode: 240
; IeeeMode: 1
; LDSByteSize: 0 bytes/workgroup (compile time only)
; SGPRBlocks: 0
; VGPRBlocks: 0
; NumSGPRsForWavesPerEU: 4
; NumVGPRsForWavesPerEU: 1
; AccumOffset: 4
; Occupancy: 8
; WaveLimiterHint : 0
; COMPUTE_PGM_RSRC2:SCRATCH_EN: 0
; COMPUTE_PGM_RSRC2:USER_SGPR: 6
; COMPUTE_PGM_RSRC2:TRAP_HANDLER: 0
; COMPUTE_PGM_RSRC2:TGID_X_EN: 1
; COMPUTE_PGM_RSRC2:TGID_Y_EN: 0
; COMPUTE_PGM_RSRC2:TGID_Z_EN: 0
; COMPUTE_PGM_RSRC2:TIDIG_COMP_CNT: 0
; COMPUTE_PGM_RSRC3_GFX90A:ACCUM_OFFSET: 0
; COMPUTE_PGM_RSRC3_GFX90A:TG_SPLIT: 0
	.section	.text._ZN7rocprim17ROCPRIM_400000_NS6detail17trampoline_kernelINS0_14default_configENS1_21merge_config_selectorItNS0_10empty_typeEEEZNS1_10merge_implIS3_N6thrust23THRUST_200600_302600_NS6detail15normal_iteratorINS9_10device_ptrIKtEEEESF_NS9_16discard_iteratorINS9_11use_defaultEEEPS5_SJ_SJ_NS9_4lessItEEEE10hipError_tPvRmT0_T1_T2_T3_T4_T5_mmT6_P12ihipStream_tbEUlT_E0_NS1_11comp_targetILNS1_3genE10ELNS1_11target_archE1200ELNS1_3gpuE4ELNS1_3repE0EEENS1_30default_config_static_selectorELNS0_4arch9wavefront6targetE1EEEvSQ_,"axG",@progbits,_ZN7rocprim17ROCPRIM_400000_NS6detail17trampoline_kernelINS0_14default_configENS1_21merge_config_selectorItNS0_10empty_typeEEEZNS1_10merge_implIS3_N6thrust23THRUST_200600_302600_NS6detail15normal_iteratorINS9_10device_ptrIKtEEEESF_NS9_16discard_iteratorINS9_11use_defaultEEEPS5_SJ_SJ_NS9_4lessItEEEE10hipError_tPvRmT0_T1_T2_T3_T4_T5_mmT6_P12ihipStream_tbEUlT_E0_NS1_11comp_targetILNS1_3genE10ELNS1_11target_archE1200ELNS1_3gpuE4ELNS1_3repE0EEENS1_30default_config_static_selectorELNS0_4arch9wavefront6targetE1EEEvSQ_,comdat
	.protected	_ZN7rocprim17ROCPRIM_400000_NS6detail17trampoline_kernelINS0_14default_configENS1_21merge_config_selectorItNS0_10empty_typeEEEZNS1_10merge_implIS3_N6thrust23THRUST_200600_302600_NS6detail15normal_iteratorINS9_10device_ptrIKtEEEESF_NS9_16discard_iteratorINS9_11use_defaultEEEPS5_SJ_SJ_NS9_4lessItEEEE10hipError_tPvRmT0_T1_T2_T3_T4_T5_mmT6_P12ihipStream_tbEUlT_E0_NS1_11comp_targetILNS1_3genE10ELNS1_11target_archE1200ELNS1_3gpuE4ELNS1_3repE0EEENS1_30default_config_static_selectorELNS0_4arch9wavefront6targetE1EEEvSQ_ ; -- Begin function _ZN7rocprim17ROCPRIM_400000_NS6detail17trampoline_kernelINS0_14default_configENS1_21merge_config_selectorItNS0_10empty_typeEEEZNS1_10merge_implIS3_N6thrust23THRUST_200600_302600_NS6detail15normal_iteratorINS9_10device_ptrIKtEEEESF_NS9_16discard_iteratorINS9_11use_defaultEEEPS5_SJ_SJ_NS9_4lessItEEEE10hipError_tPvRmT0_T1_T2_T3_T4_T5_mmT6_P12ihipStream_tbEUlT_E0_NS1_11comp_targetILNS1_3genE10ELNS1_11target_archE1200ELNS1_3gpuE4ELNS1_3repE0EEENS1_30default_config_static_selectorELNS0_4arch9wavefront6targetE1EEEvSQ_
	.globl	_ZN7rocprim17ROCPRIM_400000_NS6detail17trampoline_kernelINS0_14default_configENS1_21merge_config_selectorItNS0_10empty_typeEEEZNS1_10merge_implIS3_N6thrust23THRUST_200600_302600_NS6detail15normal_iteratorINS9_10device_ptrIKtEEEESF_NS9_16discard_iteratorINS9_11use_defaultEEEPS5_SJ_SJ_NS9_4lessItEEEE10hipError_tPvRmT0_T1_T2_T3_T4_T5_mmT6_P12ihipStream_tbEUlT_E0_NS1_11comp_targetILNS1_3genE10ELNS1_11target_archE1200ELNS1_3gpuE4ELNS1_3repE0EEENS1_30default_config_static_selectorELNS0_4arch9wavefront6targetE1EEEvSQ_
	.p2align	8
	.type	_ZN7rocprim17ROCPRIM_400000_NS6detail17trampoline_kernelINS0_14default_configENS1_21merge_config_selectorItNS0_10empty_typeEEEZNS1_10merge_implIS3_N6thrust23THRUST_200600_302600_NS6detail15normal_iteratorINS9_10device_ptrIKtEEEESF_NS9_16discard_iteratorINS9_11use_defaultEEEPS5_SJ_SJ_NS9_4lessItEEEE10hipError_tPvRmT0_T1_T2_T3_T4_T5_mmT6_P12ihipStream_tbEUlT_E0_NS1_11comp_targetILNS1_3genE10ELNS1_11target_archE1200ELNS1_3gpuE4ELNS1_3repE0EEENS1_30default_config_static_selectorELNS0_4arch9wavefront6targetE1EEEvSQ_,@function
_ZN7rocprim17ROCPRIM_400000_NS6detail17trampoline_kernelINS0_14default_configENS1_21merge_config_selectorItNS0_10empty_typeEEEZNS1_10merge_implIS3_N6thrust23THRUST_200600_302600_NS6detail15normal_iteratorINS9_10device_ptrIKtEEEESF_NS9_16discard_iteratorINS9_11use_defaultEEEPS5_SJ_SJ_NS9_4lessItEEEE10hipError_tPvRmT0_T1_T2_T3_T4_T5_mmT6_P12ihipStream_tbEUlT_E0_NS1_11comp_targetILNS1_3genE10ELNS1_11target_archE1200ELNS1_3gpuE4ELNS1_3repE0EEENS1_30default_config_static_selectorELNS0_4arch9wavefront6targetE1EEEvSQ_: ; @_ZN7rocprim17ROCPRIM_400000_NS6detail17trampoline_kernelINS0_14default_configENS1_21merge_config_selectorItNS0_10empty_typeEEEZNS1_10merge_implIS3_N6thrust23THRUST_200600_302600_NS6detail15normal_iteratorINS9_10device_ptrIKtEEEESF_NS9_16discard_iteratorINS9_11use_defaultEEEPS5_SJ_SJ_NS9_4lessItEEEE10hipError_tPvRmT0_T1_T2_T3_T4_T5_mmT6_P12ihipStream_tbEUlT_E0_NS1_11comp_targetILNS1_3genE10ELNS1_11target_archE1200ELNS1_3gpuE4ELNS1_3repE0EEENS1_30default_config_static_selectorELNS0_4arch9wavefront6targetE1EEEvSQ_
; %bb.0:
	.section	.rodata,"a",@progbits
	.p2align	6, 0x0
	.amdhsa_kernel _ZN7rocprim17ROCPRIM_400000_NS6detail17trampoline_kernelINS0_14default_configENS1_21merge_config_selectorItNS0_10empty_typeEEEZNS1_10merge_implIS3_N6thrust23THRUST_200600_302600_NS6detail15normal_iteratorINS9_10device_ptrIKtEEEESF_NS9_16discard_iteratorINS9_11use_defaultEEEPS5_SJ_SJ_NS9_4lessItEEEE10hipError_tPvRmT0_T1_T2_T3_T4_T5_mmT6_P12ihipStream_tbEUlT_E0_NS1_11comp_targetILNS1_3genE10ELNS1_11target_archE1200ELNS1_3gpuE4ELNS1_3repE0EEENS1_30default_config_static_selectorELNS0_4arch9wavefront6targetE1EEEvSQ_
		.amdhsa_group_segment_fixed_size 0
		.amdhsa_private_segment_fixed_size 0
		.amdhsa_kernarg_size 96
		.amdhsa_user_sgpr_count 6
		.amdhsa_user_sgpr_private_segment_buffer 1
		.amdhsa_user_sgpr_dispatch_ptr 0
		.amdhsa_user_sgpr_queue_ptr 0
		.amdhsa_user_sgpr_kernarg_segment_ptr 1
		.amdhsa_user_sgpr_dispatch_id 0
		.amdhsa_user_sgpr_flat_scratch_init 0
		.amdhsa_user_sgpr_kernarg_preload_length 0
		.amdhsa_user_sgpr_kernarg_preload_offset 0
		.amdhsa_user_sgpr_private_segment_size 0
		.amdhsa_uses_dynamic_stack 0
		.amdhsa_system_sgpr_private_segment_wavefront_offset 0
		.amdhsa_system_sgpr_workgroup_id_x 1
		.amdhsa_system_sgpr_workgroup_id_y 0
		.amdhsa_system_sgpr_workgroup_id_z 0
		.amdhsa_system_sgpr_workgroup_info 0
		.amdhsa_system_vgpr_workitem_id 0
		.amdhsa_next_free_vgpr 1
		.amdhsa_next_free_sgpr 0
		.amdhsa_accum_offset 4
		.amdhsa_reserve_vcc 0
		.amdhsa_reserve_flat_scratch 0
		.amdhsa_float_round_mode_32 0
		.amdhsa_float_round_mode_16_64 0
		.amdhsa_float_denorm_mode_32 3
		.amdhsa_float_denorm_mode_16_64 3
		.amdhsa_dx10_clamp 1
		.amdhsa_ieee_mode 1
		.amdhsa_fp16_overflow 0
		.amdhsa_tg_split 0
		.amdhsa_exception_fp_ieee_invalid_op 0
		.amdhsa_exception_fp_denorm_src 0
		.amdhsa_exception_fp_ieee_div_zero 0
		.amdhsa_exception_fp_ieee_overflow 0
		.amdhsa_exception_fp_ieee_underflow 0
		.amdhsa_exception_fp_ieee_inexact 0
		.amdhsa_exception_int_div_zero 0
	.end_amdhsa_kernel
	.section	.text._ZN7rocprim17ROCPRIM_400000_NS6detail17trampoline_kernelINS0_14default_configENS1_21merge_config_selectorItNS0_10empty_typeEEEZNS1_10merge_implIS3_N6thrust23THRUST_200600_302600_NS6detail15normal_iteratorINS9_10device_ptrIKtEEEESF_NS9_16discard_iteratorINS9_11use_defaultEEEPS5_SJ_SJ_NS9_4lessItEEEE10hipError_tPvRmT0_T1_T2_T3_T4_T5_mmT6_P12ihipStream_tbEUlT_E0_NS1_11comp_targetILNS1_3genE10ELNS1_11target_archE1200ELNS1_3gpuE4ELNS1_3repE0EEENS1_30default_config_static_selectorELNS0_4arch9wavefront6targetE1EEEvSQ_,"axG",@progbits,_ZN7rocprim17ROCPRIM_400000_NS6detail17trampoline_kernelINS0_14default_configENS1_21merge_config_selectorItNS0_10empty_typeEEEZNS1_10merge_implIS3_N6thrust23THRUST_200600_302600_NS6detail15normal_iteratorINS9_10device_ptrIKtEEEESF_NS9_16discard_iteratorINS9_11use_defaultEEEPS5_SJ_SJ_NS9_4lessItEEEE10hipError_tPvRmT0_T1_T2_T3_T4_T5_mmT6_P12ihipStream_tbEUlT_E0_NS1_11comp_targetILNS1_3genE10ELNS1_11target_archE1200ELNS1_3gpuE4ELNS1_3repE0EEENS1_30default_config_static_selectorELNS0_4arch9wavefront6targetE1EEEvSQ_,comdat
.Lfunc_end404:
	.size	_ZN7rocprim17ROCPRIM_400000_NS6detail17trampoline_kernelINS0_14default_configENS1_21merge_config_selectorItNS0_10empty_typeEEEZNS1_10merge_implIS3_N6thrust23THRUST_200600_302600_NS6detail15normal_iteratorINS9_10device_ptrIKtEEEESF_NS9_16discard_iteratorINS9_11use_defaultEEEPS5_SJ_SJ_NS9_4lessItEEEE10hipError_tPvRmT0_T1_T2_T3_T4_T5_mmT6_P12ihipStream_tbEUlT_E0_NS1_11comp_targetILNS1_3genE10ELNS1_11target_archE1200ELNS1_3gpuE4ELNS1_3repE0EEENS1_30default_config_static_selectorELNS0_4arch9wavefront6targetE1EEEvSQ_, .Lfunc_end404-_ZN7rocprim17ROCPRIM_400000_NS6detail17trampoline_kernelINS0_14default_configENS1_21merge_config_selectorItNS0_10empty_typeEEEZNS1_10merge_implIS3_N6thrust23THRUST_200600_302600_NS6detail15normal_iteratorINS9_10device_ptrIKtEEEESF_NS9_16discard_iteratorINS9_11use_defaultEEEPS5_SJ_SJ_NS9_4lessItEEEE10hipError_tPvRmT0_T1_T2_T3_T4_T5_mmT6_P12ihipStream_tbEUlT_E0_NS1_11comp_targetILNS1_3genE10ELNS1_11target_archE1200ELNS1_3gpuE4ELNS1_3repE0EEENS1_30default_config_static_selectorELNS0_4arch9wavefront6targetE1EEEvSQ_
                                        ; -- End function
	.section	.AMDGPU.csdata,"",@progbits
; Kernel info:
; codeLenInByte = 0
; NumSgprs: 4
; NumVgprs: 0
; NumAgprs: 0
; TotalNumVgprs: 0
; ScratchSize: 0
; MemoryBound: 0
; FloatMode: 240
; IeeeMode: 1
; LDSByteSize: 0 bytes/workgroup (compile time only)
; SGPRBlocks: 0
; VGPRBlocks: 0
; NumSGPRsForWavesPerEU: 4
; NumVGPRsForWavesPerEU: 1
; AccumOffset: 4
; Occupancy: 8
; WaveLimiterHint : 0
; COMPUTE_PGM_RSRC2:SCRATCH_EN: 0
; COMPUTE_PGM_RSRC2:USER_SGPR: 6
; COMPUTE_PGM_RSRC2:TRAP_HANDLER: 0
; COMPUTE_PGM_RSRC2:TGID_X_EN: 1
; COMPUTE_PGM_RSRC2:TGID_Y_EN: 0
; COMPUTE_PGM_RSRC2:TGID_Z_EN: 0
; COMPUTE_PGM_RSRC2:TIDIG_COMP_CNT: 0
; COMPUTE_PGM_RSRC3_GFX90A:ACCUM_OFFSET: 0
; COMPUTE_PGM_RSRC3_GFX90A:TG_SPLIT: 0
	.section	.text._ZN7rocprim17ROCPRIM_400000_NS6detail17trampoline_kernelINS0_14default_configENS1_21merge_config_selectorItNS0_10empty_typeEEEZNS1_10merge_implIS3_N6thrust23THRUST_200600_302600_NS6detail15normal_iteratorINS9_10device_ptrIKtEEEESF_NS9_16discard_iteratorINS9_11use_defaultEEEPS5_SJ_SJ_NS9_4lessItEEEE10hipError_tPvRmT0_T1_T2_T3_T4_T5_mmT6_P12ihipStream_tbEUlT_E0_NS1_11comp_targetILNS1_3genE9ELNS1_11target_archE1100ELNS1_3gpuE3ELNS1_3repE0EEENS1_30default_config_static_selectorELNS0_4arch9wavefront6targetE1EEEvSQ_,"axG",@progbits,_ZN7rocprim17ROCPRIM_400000_NS6detail17trampoline_kernelINS0_14default_configENS1_21merge_config_selectorItNS0_10empty_typeEEEZNS1_10merge_implIS3_N6thrust23THRUST_200600_302600_NS6detail15normal_iteratorINS9_10device_ptrIKtEEEESF_NS9_16discard_iteratorINS9_11use_defaultEEEPS5_SJ_SJ_NS9_4lessItEEEE10hipError_tPvRmT0_T1_T2_T3_T4_T5_mmT6_P12ihipStream_tbEUlT_E0_NS1_11comp_targetILNS1_3genE9ELNS1_11target_archE1100ELNS1_3gpuE3ELNS1_3repE0EEENS1_30default_config_static_selectorELNS0_4arch9wavefront6targetE1EEEvSQ_,comdat
	.protected	_ZN7rocprim17ROCPRIM_400000_NS6detail17trampoline_kernelINS0_14default_configENS1_21merge_config_selectorItNS0_10empty_typeEEEZNS1_10merge_implIS3_N6thrust23THRUST_200600_302600_NS6detail15normal_iteratorINS9_10device_ptrIKtEEEESF_NS9_16discard_iteratorINS9_11use_defaultEEEPS5_SJ_SJ_NS9_4lessItEEEE10hipError_tPvRmT0_T1_T2_T3_T4_T5_mmT6_P12ihipStream_tbEUlT_E0_NS1_11comp_targetILNS1_3genE9ELNS1_11target_archE1100ELNS1_3gpuE3ELNS1_3repE0EEENS1_30default_config_static_selectorELNS0_4arch9wavefront6targetE1EEEvSQ_ ; -- Begin function _ZN7rocprim17ROCPRIM_400000_NS6detail17trampoline_kernelINS0_14default_configENS1_21merge_config_selectorItNS0_10empty_typeEEEZNS1_10merge_implIS3_N6thrust23THRUST_200600_302600_NS6detail15normal_iteratorINS9_10device_ptrIKtEEEESF_NS9_16discard_iteratorINS9_11use_defaultEEEPS5_SJ_SJ_NS9_4lessItEEEE10hipError_tPvRmT0_T1_T2_T3_T4_T5_mmT6_P12ihipStream_tbEUlT_E0_NS1_11comp_targetILNS1_3genE9ELNS1_11target_archE1100ELNS1_3gpuE3ELNS1_3repE0EEENS1_30default_config_static_selectorELNS0_4arch9wavefront6targetE1EEEvSQ_
	.globl	_ZN7rocprim17ROCPRIM_400000_NS6detail17trampoline_kernelINS0_14default_configENS1_21merge_config_selectorItNS0_10empty_typeEEEZNS1_10merge_implIS3_N6thrust23THRUST_200600_302600_NS6detail15normal_iteratorINS9_10device_ptrIKtEEEESF_NS9_16discard_iteratorINS9_11use_defaultEEEPS5_SJ_SJ_NS9_4lessItEEEE10hipError_tPvRmT0_T1_T2_T3_T4_T5_mmT6_P12ihipStream_tbEUlT_E0_NS1_11comp_targetILNS1_3genE9ELNS1_11target_archE1100ELNS1_3gpuE3ELNS1_3repE0EEENS1_30default_config_static_selectorELNS0_4arch9wavefront6targetE1EEEvSQ_
	.p2align	8
	.type	_ZN7rocprim17ROCPRIM_400000_NS6detail17trampoline_kernelINS0_14default_configENS1_21merge_config_selectorItNS0_10empty_typeEEEZNS1_10merge_implIS3_N6thrust23THRUST_200600_302600_NS6detail15normal_iteratorINS9_10device_ptrIKtEEEESF_NS9_16discard_iteratorINS9_11use_defaultEEEPS5_SJ_SJ_NS9_4lessItEEEE10hipError_tPvRmT0_T1_T2_T3_T4_T5_mmT6_P12ihipStream_tbEUlT_E0_NS1_11comp_targetILNS1_3genE9ELNS1_11target_archE1100ELNS1_3gpuE3ELNS1_3repE0EEENS1_30default_config_static_selectorELNS0_4arch9wavefront6targetE1EEEvSQ_,@function
_ZN7rocprim17ROCPRIM_400000_NS6detail17trampoline_kernelINS0_14default_configENS1_21merge_config_selectorItNS0_10empty_typeEEEZNS1_10merge_implIS3_N6thrust23THRUST_200600_302600_NS6detail15normal_iteratorINS9_10device_ptrIKtEEEESF_NS9_16discard_iteratorINS9_11use_defaultEEEPS5_SJ_SJ_NS9_4lessItEEEE10hipError_tPvRmT0_T1_T2_T3_T4_T5_mmT6_P12ihipStream_tbEUlT_E0_NS1_11comp_targetILNS1_3genE9ELNS1_11target_archE1100ELNS1_3gpuE3ELNS1_3repE0EEENS1_30default_config_static_selectorELNS0_4arch9wavefront6targetE1EEEvSQ_: ; @_ZN7rocprim17ROCPRIM_400000_NS6detail17trampoline_kernelINS0_14default_configENS1_21merge_config_selectorItNS0_10empty_typeEEEZNS1_10merge_implIS3_N6thrust23THRUST_200600_302600_NS6detail15normal_iteratorINS9_10device_ptrIKtEEEESF_NS9_16discard_iteratorINS9_11use_defaultEEEPS5_SJ_SJ_NS9_4lessItEEEE10hipError_tPvRmT0_T1_T2_T3_T4_T5_mmT6_P12ihipStream_tbEUlT_E0_NS1_11comp_targetILNS1_3genE9ELNS1_11target_archE1100ELNS1_3gpuE3ELNS1_3repE0EEENS1_30default_config_static_selectorELNS0_4arch9wavefront6targetE1EEEvSQ_
; %bb.0:
	.section	.rodata,"a",@progbits
	.p2align	6, 0x0
	.amdhsa_kernel _ZN7rocprim17ROCPRIM_400000_NS6detail17trampoline_kernelINS0_14default_configENS1_21merge_config_selectorItNS0_10empty_typeEEEZNS1_10merge_implIS3_N6thrust23THRUST_200600_302600_NS6detail15normal_iteratorINS9_10device_ptrIKtEEEESF_NS9_16discard_iteratorINS9_11use_defaultEEEPS5_SJ_SJ_NS9_4lessItEEEE10hipError_tPvRmT0_T1_T2_T3_T4_T5_mmT6_P12ihipStream_tbEUlT_E0_NS1_11comp_targetILNS1_3genE9ELNS1_11target_archE1100ELNS1_3gpuE3ELNS1_3repE0EEENS1_30default_config_static_selectorELNS0_4arch9wavefront6targetE1EEEvSQ_
		.amdhsa_group_segment_fixed_size 0
		.amdhsa_private_segment_fixed_size 0
		.amdhsa_kernarg_size 96
		.amdhsa_user_sgpr_count 6
		.amdhsa_user_sgpr_private_segment_buffer 1
		.amdhsa_user_sgpr_dispatch_ptr 0
		.amdhsa_user_sgpr_queue_ptr 0
		.amdhsa_user_sgpr_kernarg_segment_ptr 1
		.amdhsa_user_sgpr_dispatch_id 0
		.amdhsa_user_sgpr_flat_scratch_init 0
		.amdhsa_user_sgpr_kernarg_preload_length 0
		.amdhsa_user_sgpr_kernarg_preload_offset 0
		.amdhsa_user_sgpr_private_segment_size 0
		.amdhsa_uses_dynamic_stack 0
		.amdhsa_system_sgpr_private_segment_wavefront_offset 0
		.amdhsa_system_sgpr_workgroup_id_x 1
		.amdhsa_system_sgpr_workgroup_id_y 0
		.amdhsa_system_sgpr_workgroup_id_z 0
		.amdhsa_system_sgpr_workgroup_info 0
		.amdhsa_system_vgpr_workitem_id 0
		.amdhsa_next_free_vgpr 1
		.amdhsa_next_free_sgpr 0
		.amdhsa_accum_offset 4
		.amdhsa_reserve_vcc 0
		.amdhsa_reserve_flat_scratch 0
		.amdhsa_float_round_mode_32 0
		.amdhsa_float_round_mode_16_64 0
		.amdhsa_float_denorm_mode_32 3
		.amdhsa_float_denorm_mode_16_64 3
		.amdhsa_dx10_clamp 1
		.amdhsa_ieee_mode 1
		.amdhsa_fp16_overflow 0
		.amdhsa_tg_split 0
		.amdhsa_exception_fp_ieee_invalid_op 0
		.amdhsa_exception_fp_denorm_src 0
		.amdhsa_exception_fp_ieee_div_zero 0
		.amdhsa_exception_fp_ieee_overflow 0
		.amdhsa_exception_fp_ieee_underflow 0
		.amdhsa_exception_fp_ieee_inexact 0
		.amdhsa_exception_int_div_zero 0
	.end_amdhsa_kernel
	.section	.text._ZN7rocprim17ROCPRIM_400000_NS6detail17trampoline_kernelINS0_14default_configENS1_21merge_config_selectorItNS0_10empty_typeEEEZNS1_10merge_implIS3_N6thrust23THRUST_200600_302600_NS6detail15normal_iteratorINS9_10device_ptrIKtEEEESF_NS9_16discard_iteratorINS9_11use_defaultEEEPS5_SJ_SJ_NS9_4lessItEEEE10hipError_tPvRmT0_T1_T2_T3_T4_T5_mmT6_P12ihipStream_tbEUlT_E0_NS1_11comp_targetILNS1_3genE9ELNS1_11target_archE1100ELNS1_3gpuE3ELNS1_3repE0EEENS1_30default_config_static_selectorELNS0_4arch9wavefront6targetE1EEEvSQ_,"axG",@progbits,_ZN7rocprim17ROCPRIM_400000_NS6detail17trampoline_kernelINS0_14default_configENS1_21merge_config_selectorItNS0_10empty_typeEEEZNS1_10merge_implIS3_N6thrust23THRUST_200600_302600_NS6detail15normal_iteratorINS9_10device_ptrIKtEEEESF_NS9_16discard_iteratorINS9_11use_defaultEEEPS5_SJ_SJ_NS9_4lessItEEEE10hipError_tPvRmT0_T1_T2_T3_T4_T5_mmT6_P12ihipStream_tbEUlT_E0_NS1_11comp_targetILNS1_3genE9ELNS1_11target_archE1100ELNS1_3gpuE3ELNS1_3repE0EEENS1_30default_config_static_selectorELNS0_4arch9wavefront6targetE1EEEvSQ_,comdat
.Lfunc_end405:
	.size	_ZN7rocprim17ROCPRIM_400000_NS6detail17trampoline_kernelINS0_14default_configENS1_21merge_config_selectorItNS0_10empty_typeEEEZNS1_10merge_implIS3_N6thrust23THRUST_200600_302600_NS6detail15normal_iteratorINS9_10device_ptrIKtEEEESF_NS9_16discard_iteratorINS9_11use_defaultEEEPS5_SJ_SJ_NS9_4lessItEEEE10hipError_tPvRmT0_T1_T2_T3_T4_T5_mmT6_P12ihipStream_tbEUlT_E0_NS1_11comp_targetILNS1_3genE9ELNS1_11target_archE1100ELNS1_3gpuE3ELNS1_3repE0EEENS1_30default_config_static_selectorELNS0_4arch9wavefront6targetE1EEEvSQ_, .Lfunc_end405-_ZN7rocprim17ROCPRIM_400000_NS6detail17trampoline_kernelINS0_14default_configENS1_21merge_config_selectorItNS0_10empty_typeEEEZNS1_10merge_implIS3_N6thrust23THRUST_200600_302600_NS6detail15normal_iteratorINS9_10device_ptrIKtEEEESF_NS9_16discard_iteratorINS9_11use_defaultEEEPS5_SJ_SJ_NS9_4lessItEEEE10hipError_tPvRmT0_T1_T2_T3_T4_T5_mmT6_P12ihipStream_tbEUlT_E0_NS1_11comp_targetILNS1_3genE9ELNS1_11target_archE1100ELNS1_3gpuE3ELNS1_3repE0EEENS1_30default_config_static_selectorELNS0_4arch9wavefront6targetE1EEEvSQ_
                                        ; -- End function
	.section	.AMDGPU.csdata,"",@progbits
; Kernel info:
; codeLenInByte = 0
; NumSgprs: 4
; NumVgprs: 0
; NumAgprs: 0
; TotalNumVgprs: 0
; ScratchSize: 0
; MemoryBound: 0
; FloatMode: 240
; IeeeMode: 1
; LDSByteSize: 0 bytes/workgroup (compile time only)
; SGPRBlocks: 0
; VGPRBlocks: 0
; NumSGPRsForWavesPerEU: 4
; NumVGPRsForWavesPerEU: 1
; AccumOffset: 4
; Occupancy: 8
; WaveLimiterHint : 0
; COMPUTE_PGM_RSRC2:SCRATCH_EN: 0
; COMPUTE_PGM_RSRC2:USER_SGPR: 6
; COMPUTE_PGM_RSRC2:TRAP_HANDLER: 0
; COMPUTE_PGM_RSRC2:TGID_X_EN: 1
; COMPUTE_PGM_RSRC2:TGID_Y_EN: 0
; COMPUTE_PGM_RSRC2:TGID_Z_EN: 0
; COMPUTE_PGM_RSRC2:TIDIG_COMP_CNT: 0
; COMPUTE_PGM_RSRC3_GFX90A:ACCUM_OFFSET: 0
; COMPUTE_PGM_RSRC3_GFX90A:TG_SPLIT: 0
	.section	.text._ZN7rocprim17ROCPRIM_400000_NS6detail17trampoline_kernelINS0_14default_configENS1_21merge_config_selectorItNS0_10empty_typeEEEZNS1_10merge_implIS3_N6thrust23THRUST_200600_302600_NS6detail15normal_iteratorINS9_10device_ptrIKtEEEESF_NS9_16discard_iteratorINS9_11use_defaultEEEPS5_SJ_SJ_NS9_4lessItEEEE10hipError_tPvRmT0_T1_T2_T3_T4_T5_mmT6_P12ihipStream_tbEUlT_E0_NS1_11comp_targetILNS1_3genE8ELNS1_11target_archE1030ELNS1_3gpuE2ELNS1_3repE0EEENS1_30default_config_static_selectorELNS0_4arch9wavefront6targetE1EEEvSQ_,"axG",@progbits,_ZN7rocprim17ROCPRIM_400000_NS6detail17trampoline_kernelINS0_14default_configENS1_21merge_config_selectorItNS0_10empty_typeEEEZNS1_10merge_implIS3_N6thrust23THRUST_200600_302600_NS6detail15normal_iteratorINS9_10device_ptrIKtEEEESF_NS9_16discard_iteratorINS9_11use_defaultEEEPS5_SJ_SJ_NS9_4lessItEEEE10hipError_tPvRmT0_T1_T2_T3_T4_T5_mmT6_P12ihipStream_tbEUlT_E0_NS1_11comp_targetILNS1_3genE8ELNS1_11target_archE1030ELNS1_3gpuE2ELNS1_3repE0EEENS1_30default_config_static_selectorELNS0_4arch9wavefront6targetE1EEEvSQ_,comdat
	.protected	_ZN7rocprim17ROCPRIM_400000_NS6detail17trampoline_kernelINS0_14default_configENS1_21merge_config_selectorItNS0_10empty_typeEEEZNS1_10merge_implIS3_N6thrust23THRUST_200600_302600_NS6detail15normal_iteratorINS9_10device_ptrIKtEEEESF_NS9_16discard_iteratorINS9_11use_defaultEEEPS5_SJ_SJ_NS9_4lessItEEEE10hipError_tPvRmT0_T1_T2_T3_T4_T5_mmT6_P12ihipStream_tbEUlT_E0_NS1_11comp_targetILNS1_3genE8ELNS1_11target_archE1030ELNS1_3gpuE2ELNS1_3repE0EEENS1_30default_config_static_selectorELNS0_4arch9wavefront6targetE1EEEvSQ_ ; -- Begin function _ZN7rocprim17ROCPRIM_400000_NS6detail17trampoline_kernelINS0_14default_configENS1_21merge_config_selectorItNS0_10empty_typeEEEZNS1_10merge_implIS3_N6thrust23THRUST_200600_302600_NS6detail15normal_iteratorINS9_10device_ptrIKtEEEESF_NS9_16discard_iteratorINS9_11use_defaultEEEPS5_SJ_SJ_NS9_4lessItEEEE10hipError_tPvRmT0_T1_T2_T3_T4_T5_mmT6_P12ihipStream_tbEUlT_E0_NS1_11comp_targetILNS1_3genE8ELNS1_11target_archE1030ELNS1_3gpuE2ELNS1_3repE0EEENS1_30default_config_static_selectorELNS0_4arch9wavefront6targetE1EEEvSQ_
	.globl	_ZN7rocprim17ROCPRIM_400000_NS6detail17trampoline_kernelINS0_14default_configENS1_21merge_config_selectorItNS0_10empty_typeEEEZNS1_10merge_implIS3_N6thrust23THRUST_200600_302600_NS6detail15normal_iteratorINS9_10device_ptrIKtEEEESF_NS9_16discard_iteratorINS9_11use_defaultEEEPS5_SJ_SJ_NS9_4lessItEEEE10hipError_tPvRmT0_T1_T2_T3_T4_T5_mmT6_P12ihipStream_tbEUlT_E0_NS1_11comp_targetILNS1_3genE8ELNS1_11target_archE1030ELNS1_3gpuE2ELNS1_3repE0EEENS1_30default_config_static_selectorELNS0_4arch9wavefront6targetE1EEEvSQ_
	.p2align	8
	.type	_ZN7rocprim17ROCPRIM_400000_NS6detail17trampoline_kernelINS0_14default_configENS1_21merge_config_selectorItNS0_10empty_typeEEEZNS1_10merge_implIS3_N6thrust23THRUST_200600_302600_NS6detail15normal_iteratorINS9_10device_ptrIKtEEEESF_NS9_16discard_iteratorINS9_11use_defaultEEEPS5_SJ_SJ_NS9_4lessItEEEE10hipError_tPvRmT0_T1_T2_T3_T4_T5_mmT6_P12ihipStream_tbEUlT_E0_NS1_11comp_targetILNS1_3genE8ELNS1_11target_archE1030ELNS1_3gpuE2ELNS1_3repE0EEENS1_30default_config_static_selectorELNS0_4arch9wavefront6targetE1EEEvSQ_,@function
_ZN7rocprim17ROCPRIM_400000_NS6detail17trampoline_kernelINS0_14default_configENS1_21merge_config_selectorItNS0_10empty_typeEEEZNS1_10merge_implIS3_N6thrust23THRUST_200600_302600_NS6detail15normal_iteratorINS9_10device_ptrIKtEEEESF_NS9_16discard_iteratorINS9_11use_defaultEEEPS5_SJ_SJ_NS9_4lessItEEEE10hipError_tPvRmT0_T1_T2_T3_T4_T5_mmT6_P12ihipStream_tbEUlT_E0_NS1_11comp_targetILNS1_3genE8ELNS1_11target_archE1030ELNS1_3gpuE2ELNS1_3repE0EEENS1_30default_config_static_selectorELNS0_4arch9wavefront6targetE1EEEvSQ_: ; @_ZN7rocprim17ROCPRIM_400000_NS6detail17trampoline_kernelINS0_14default_configENS1_21merge_config_selectorItNS0_10empty_typeEEEZNS1_10merge_implIS3_N6thrust23THRUST_200600_302600_NS6detail15normal_iteratorINS9_10device_ptrIKtEEEESF_NS9_16discard_iteratorINS9_11use_defaultEEEPS5_SJ_SJ_NS9_4lessItEEEE10hipError_tPvRmT0_T1_T2_T3_T4_T5_mmT6_P12ihipStream_tbEUlT_E0_NS1_11comp_targetILNS1_3genE8ELNS1_11target_archE1030ELNS1_3gpuE2ELNS1_3repE0EEENS1_30default_config_static_selectorELNS0_4arch9wavefront6targetE1EEEvSQ_
; %bb.0:
	.section	.rodata,"a",@progbits
	.p2align	6, 0x0
	.amdhsa_kernel _ZN7rocprim17ROCPRIM_400000_NS6detail17trampoline_kernelINS0_14default_configENS1_21merge_config_selectorItNS0_10empty_typeEEEZNS1_10merge_implIS3_N6thrust23THRUST_200600_302600_NS6detail15normal_iteratorINS9_10device_ptrIKtEEEESF_NS9_16discard_iteratorINS9_11use_defaultEEEPS5_SJ_SJ_NS9_4lessItEEEE10hipError_tPvRmT0_T1_T2_T3_T4_T5_mmT6_P12ihipStream_tbEUlT_E0_NS1_11comp_targetILNS1_3genE8ELNS1_11target_archE1030ELNS1_3gpuE2ELNS1_3repE0EEENS1_30default_config_static_selectorELNS0_4arch9wavefront6targetE1EEEvSQ_
		.amdhsa_group_segment_fixed_size 0
		.amdhsa_private_segment_fixed_size 0
		.amdhsa_kernarg_size 96
		.amdhsa_user_sgpr_count 6
		.amdhsa_user_sgpr_private_segment_buffer 1
		.amdhsa_user_sgpr_dispatch_ptr 0
		.amdhsa_user_sgpr_queue_ptr 0
		.amdhsa_user_sgpr_kernarg_segment_ptr 1
		.amdhsa_user_sgpr_dispatch_id 0
		.amdhsa_user_sgpr_flat_scratch_init 0
		.amdhsa_user_sgpr_kernarg_preload_length 0
		.amdhsa_user_sgpr_kernarg_preload_offset 0
		.amdhsa_user_sgpr_private_segment_size 0
		.amdhsa_uses_dynamic_stack 0
		.amdhsa_system_sgpr_private_segment_wavefront_offset 0
		.amdhsa_system_sgpr_workgroup_id_x 1
		.amdhsa_system_sgpr_workgroup_id_y 0
		.amdhsa_system_sgpr_workgroup_id_z 0
		.amdhsa_system_sgpr_workgroup_info 0
		.amdhsa_system_vgpr_workitem_id 0
		.amdhsa_next_free_vgpr 1
		.amdhsa_next_free_sgpr 0
		.amdhsa_accum_offset 4
		.amdhsa_reserve_vcc 0
		.amdhsa_reserve_flat_scratch 0
		.amdhsa_float_round_mode_32 0
		.amdhsa_float_round_mode_16_64 0
		.amdhsa_float_denorm_mode_32 3
		.amdhsa_float_denorm_mode_16_64 3
		.amdhsa_dx10_clamp 1
		.amdhsa_ieee_mode 1
		.amdhsa_fp16_overflow 0
		.amdhsa_tg_split 0
		.amdhsa_exception_fp_ieee_invalid_op 0
		.amdhsa_exception_fp_denorm_src 0
		.amdhsa_exception_fp_ieee_div_zero 0
		.amdhsa_exception_fp_ieee_overflow 0
		.amdhsa_exception_fp_ieee_underflow 0
		.amdhsa_exception_fp_ieee_inexact 0
		.amdhsa_exception_int_div_zero 0
	.end_amdhsa_kernel
	.section	.text._ZN7rocprim17ROCPRIM_400000_NS6detail17trampoline_kernelINS0_14default_configENS1_21merge_config_selectorItNS0_10empty_typeEEEZNS1_10merge_implIS3_N6thrust23THRUST_200600_302600_NS6detail15normal_iteratorINS9_10device_ptrIKtEEEESF_NS9_16discard_iteratorINS9_11use_defaultEEEPS5_SJ_SJ_NS9_4lessItEEEE10hipError_tPvRmT0_T1_T2_T3_T4_T5_mmT6_P12ihipStream_tbEUlT_E0_NS1_11comp_targetILNS1_3genE8ELNS1_11target_archE1030ELNS1_3gpuE2ELNS1_3repE0EEENS1_30default_config_static_selectorELNS0_4arch9wavefront6targetE1EEEvSQ_,"axG",@progbits,_ZN7rocprim17ROCPRIM_400000_NS6detail17trampoline_kernelINS0_14default_configENS1_21merge_config_selectorItNS0_10empty_typeEEEZNS1_10merge_implIS3_N6thrust23THRUST_200600_302600_NS6detail15normal_iteratorINS9_10device_ptrIKtEEEESF_NS9_16discard_iteratorINS9_11use_defaultEEEPS5_SJ_SJ_NS9_4lessItEEEE10hipError_tPvRmT0_T1_T2_T3_T4_T5_mmT6_P12ihipStream_tbEUlT_E0_NS1_11comp_targetILNS1_3genE8ELNS1_11target_archE1030ELNS1_3gpuE2ELNS1_3repE0EEENS1_30default_config_static_selectorELNS0_4arch9wavefront6targetE1EEEvSQ_,comdat
.Lfunc_end406:
	.size	_ZN7rocprim17ROCPRIM_400000_NS6detail17trampoline_kernelINS0_14default_configENS1_21merge_config_selectorItNS0_10empty_typeEEEZNS1_10merge_implIS3_N6thrust23THRUST_200600_302600_NS6detail15normal_iteratorINS9_10device_ptrIKtEEEESF_NS9_16discard_iteratorINS9_11use_defaultEEEPS5_SJ_SJ_NS9_4lessItEEEE10hipError_tPvRmT0_T1_T2_T3_T4_T5_mmT6_P12ihipStream_tbEUlT_E0_NS1_11comp_targetILNS1_3genE8ELNS1_11target_archE1030ELNS1_3gpuE2ELNS1_3repE0EEENS1_30default_config_static_selectorELNS0_4arch9wavefront6targetE1EEEvSQ_, .Lfunc_end406-_ZN7rocprim17ROCPRIM_400000_NS6detail17trampoline_kernelINS0_14default_configENS1_21merge_config_selectorItNS0_10empty_typeEEEZNS1_10merge_implIS3_N6thrust23THRUST_200600_302600_NS6detail15normal_iteratorINS9_10device_ptrIKtEEEESF_NS9_16discard_iteratorINS9_11use_defaultEEEPS5_SJ_SJ_NS9_4lessItEEEE10hipError_tPvRmT0_T1_T2_T3_T4_T5_mmT6_P12ihipStream_tbEUlT_E0_NS1_11comp_targetILNS1_3genE8ELNS1_11target_archE1030ELNS1_3gpuE2ELNS1_3repE0EEENS1_30default_config_static_selectorELNS0_4arch9wavefront6targetE1EEEvSQ_
                                        ; -- End function
	.section	.AMDGPU.csdata,"",@progbits
; Kernel info:
; codeLenInByte = 0
; NumSgprs: 4
; NumVgprs: 0
; NumAgprs: 0
; TotalNumVgprs: 0
; ScratchSize: 0
; MemoryBound: 0
; FloatMode: 240
; IeeeMode: 1
; LDSByteSize: 0 bytes/workgroup (compile time only)
; SGPRBlocks: 0
; VGPRBlocks: 0
; NumSGPRsForWavesPerEU: 4
; NumVGPRsForWavesPerEU: 1
; AccumOffset: 4
; Occupancy: 8
; WaveLimiterHint : 0
; COMPUTE_PGM_RSRC2:SCRATCH_EN: 0
; COMPUTE_PGM_RSRC2:USER_SGPR: 6
; COMPUTE_PGM_RSRC2:TRAP_HANDLER: 0
; COMPUTE_PGM_RSRC2:TGID_X_EN: 1
; COMPUTE_PGM_RSRC2:TGID_Y_EN: 0
; COMPUTE_PGM_RSRC2:TGID_Z_EN: 0
; COMPUTE_PGM_RSRC2:TIDIG_COMP_CNT: 0
; COMPUTE_PGM_RSRC3_GFX90A:ACCUM_OFFSET: 0
; COMPUTE_PGM_RSRC3_GFX90A:TG_SPLIT: 0
	.section	.text._ZN7rocprim17ROCPRIM_400000_NS6detail17trampoline_kernelINS0_14default_configENS1_21merge_config_selectorIxNS0_10empty_typeEEEZNS1_10merge_implIS3_N6thrust23THRUST_200600_302600_NS6detail15normal_iteratorINS9_10device_ptrIKxEEEESF_NS9_16discard_iteratorINS9_11use_defaultEEEPS5_SJ_SJ_NS9_4lessIxEEEE10hipError_tPvRmT0_T1_T2_T3_T4_T5_mmT6_P12ihipStream_tbEUlT_E_NS1_11comp_targetILNS1_3genE0ELNS1_11target_archE4294967295ELNS1_3gpuE0ELNS1_3repE0EEENS1_30default_config_static_selectorELNS0_4arch9wavefront6targetE1EEEvSQ_,"axG",@progbits,_ZN7rocprim17ROCPRIM_400000_NS6detail17trampoline_kernelINS0_14default_configENS1_21merge_config_selectorIxNS0_10empty_typeEEEZNS1_10merge_implIS3_N6thrust23THRUST_200600_302600_NS6detail15normal_iteratorINS9_10device_ptrIKxEEEESF_NS9_16discard_iteratorINS9_11use_defaultEEEPS5_SJ_SJ_NS9_4lessIxEEEE10hipError_tPvRmT0_T1_T2_T3_T4_T5_mmT6_P12ihipStream_tbEUlT_E_NS1_11comp_targetILNS1_3genE0ELNS1_11target_archE4294967295ELNS1_3gpuE0ELNS1_3repE0EEENS1_30default_config_static_selectorELNS0_4arch9wavefront6targetE1EEEvSQ_,comdat
	.protected	_ZN7rocprim17ROCPRIM_400000_NS6detail17trampoline_kernelINS0_14default_configENS1_21merge_config_selectorIxNS0_10empty_typeEEEZNS1_10merge_implIS3_N6thrust23THRUST_200600_302600_NS6detail15normal_iteratorINS9_10device_ptrIKxEEEESF_NS9_16discard_iteratorINS9_11use_defaultEEEPS5_SJ_SJ_NS9_4lessIxEEEE10hipError_tPvRmT0_T1_T2_T3_T4_T5_mmT6_P12ihipStream_tbEUlT_E_NS1_11comp_targetILNS1_3genE0ELNS1_11target_archE4294967295ELNS1_3gpuE0ELNS1_3repE0EEENS1_30default_config_static_selectorELNS0_4arch9wavefront6targetE1EEEvSQ_ ; -- Begin function _ZN7rocprim17ROCPRIM_400000_NS6detail17trampoline_kernelINS0_14default_configENS1_21merge_config_selectorIxNS0_10empty_typeEEEZNS1_10merge_implIS3_N6thrust23THRUST_200600_302600_NS6detail15normal_iteratorINS9_10device_ptrIKxEEEESF_NS9_16discard_iteratorINS9_11use_defaultEEEPS5_SJ_SJ_NS9_4lessIxEEEE10hipError_tPvRmT0_T1_T2_T3_T4_T5_mmT6_P12ihipStream_tbEUlT_E_NS1_11comp_targetILNS1_3genE0ELNS1_11target_archE4294967295ELNS1_3gpuE0ELNS1_3repE0EEENS1_30default_config_static_selectorELNS0_4arch9wavefront6targetE1EEEvSQ_
	.globl	_ZN7rocprim17ROCPRIM_400000_NS6detail17trampoline_kernelINS0_14default_configENS1_21merge_config_selectorIxNS0_10empty_typeEEEZNS1_10merge_implIS3_N6thrust23THRUST_200600_302600_NS6detail15normal_iteratorINS9_10device_ptrIKxEEEESF_NS9_16discard_iteratorINS9_11use_defaultEEEPS5_SJ_SJ_NS9_4lessIxEEEE10hipError_tPvRmT0_T1_T2_T3_T4_T5_mmT6_P12ihipStream_tbEUlT_E_NS1_11comp_targetILNS1_3genE0ELNS1_11target_archE4294967295ELNS1_3gpuE0ELNS1_3repE0EEENS1_30default_config_static_selectorELNS0_4arch9wavefront6targetE1EEEvSQ_
	.p2align	8
	.type	_ZN7rocprim17ROCPRIM_400000_NS6detail17trampoline_kernelINS0_14default_configENS1_21merge_config_selectorIxNS0_10empty_typeEEEZNS1_10merge_implIS3_N6thrust23THRUST_200600_302600_NS6detail15normal_iteratorINS9_10device_ptrIKxEEEESF_NS9_16discard_iteratorINS9_11use_defaultEEEPS5_SJ_SJ_NS9_4lessIxEEEE10hipError_tPvRmT0_T1_T2_T3_T4_T5_mmT6_P12ihipStream_tbEUlT_E_NS1_11comp_targetILNS1_3genE0ELNS1_11target_archE4294967295ELNS1_3gpuE0ELNS1_3repE0EEENS1_30default_config_static_selectorELNS0_4arch9wavefront6targetE1EEEvSQ_,@function
_ZN7rocprim17ROCPRIM_400000_NS6detail17trampoline_kernelINS0_14default_configENS1_21merge_config_selectorIxNS0_10empty_typeEEEZNS1_10merge_implIS3_N6thrust23THRUST_200600_302600_NS6detail15normal_iteratorINS9_10device_ptrIKxEEEESF_NS9_16discard_iteratorINS9_11use_defaultEEEPS5_SJ_SJ_NS9_4lessIxEEEE10hipError_tPvRmT0_T1_T2_T3_T4_T5_mmT6_P12ihipStream_tbEUlT_E_NS1_11comp_targetILNS1_3genE0ELNS1_11target_archE4294967295ELNS1_3gpuE0ELNS1_3repE0EEENS1_30default_config_static_selectorELNS0_4arch9wavefront6targetE1EEEvSQ_: ; @_ZN7rocprim17ROCPRIM_400000_NS6detail17trampoline_kernelINS0_14default_configENS1_21merge_config_selectorIxNS0_10empty_typeEEEZNS1_10merge_implIS3_N6thrust23THRUST_200600_302600_NS6detail15normal_iteratorINS9_10device_ptrIKxEEEESF_NS9_16discard_iteratorINS9_11use_defaultEEEPS5_SJ_SJ_NS9_4lessIxEEEE10hipError_tPvRmT0_T1_T2_T3_T4_T5_mmT6_P12ihipStream_tbEUlT_E_NS1_11comp_targetILNS1_3genE0ELNS1_11target_archE4294967295ELNS1_3gpuE0ELNS1_3repE0EEENS1_30default_config_static_selectorELNS0_4arch9wavefront6targetE1EEEvSQ_
; %bb.0:
	.section	.rodata,"a",@progbits
	.p2align	6, 0x0
	.amdhsa_kernel _ZN7rocprim17ROCPRIM_400000_NS6detail17trampoline_kernelINS0_14default_configENS1_21merge_config_selectorIxNS0_10empty_typeEEEZNS1_10merge_implIS3_N6thrust23THRUST_200600_302600_NS6detail15normal_iteratorINS9_10device_ptrIKxEEEESF_NS9_16discard_iteratorINS9_11use_defaultEEEPS5_SJ_SJ_NS9_4lessIxEEEE10hipError_tPvRmT0_T1_T2_T3_T4_T5_mmT6_P12ihipStream_tbEUlT_E_NS1_11comp_targetILNS1_3genE0ELNS1_11target_archE4294967295ELNS1_3gpuE0ELNS1_3repE0EEENS1_30default_config_static_selectorELNS0_4arch9wavefront6targetE1EEEvSQ_
		.amdhsa_group_segment_fixed_size 0
		.amdhsa_private_segment_fixed_size 0
		.amdhsa_kernarg_size 48
		.amdhsa_user_sgpr_count 6
		.amdhsa_user_sgpr_private_segment_buffer 1
		.amdhsa_user_sgpr_dispatch_ptr 0
		.amdhsa_user_sgpr_queue_ptr 0
		.amdhsa_user_sgpr_kernarg_segment_ptr 1
		.amdhsa_user_sgpr_dispatch_id 0
		.amdhsa_user_sgpr_flat_scratch_init 0
		.amdhsa_user_sgpr_kernarg_preload_length 0
		.amdhsa_user_sgpr_kernarg_preload_offset 0
		.amdhsa_user_sgpr_private_segment_size 0
		.amdhsa_uses_dynamic_stack 0
		.amdhsa_system_sgpr_private_segment_wavefront_offset 0
		.amdhsa_system_sgpr_workgroup_id_x 1
		.amdhsa_system_sgpr_workgroup_id_y 0
		.amdhsa_system_sgpr_workgroup_id_z 0
		.amdhsa_system_sgpr_workgroup_info 0
		.amdhsa_system_vgpr_workitem_id 0
		.amdhsa_next_free_vgpr 1
		.amdhsa_next_free_sgpr 0
		.amdhsa_accum_offset 4
		.amdhsa_reserve_vcc 0
		.amdhsa_reserve_flat_scratch 0
		.amdhsa_float_round_mode_32 0
		.amdhsa_float_round_mode_16_64 0
		.amdhsa_float_denorm_mode_32 3
		.amdhsa_float_denorm_mode_16_64 3
		.amdhsa_dx10_clamp 1
		.amdhsa_ieee_mode 1
		.amdhsa_fp16_overflow 0
		.amdhsa_tg_split 0
		.amdhsa_exception_fp_ieee_invalid_op 0
		.amdhsa_exception_fp_denorm_src 0
		.amdhsa_exception_fp_ieee_div_zero 0
		.amdhsa_exception_fp_ieee_overflow 0
		.amdhsa_exception_fp_ieee_underflow 0
		.amdhsa_exception_fp_ieee_inexact 0
		.amdhsa_exception_int_div_zero 0
	.end_amdhsa_kernel
	.section	.text._ZN7rocprim17ROCPRIM_400000_NS6detail17trampoline_kernelINS0_14default_configENS1_21merge_config_selectorIxNS0_10empty_typeEEEZNS1_10merge_implIS3_N6thrust23THRUST_200600_302600_NS6detail15normal_iteratorINS9_10device_ptrIKxEEEESF_NS9_16discard_iteratorINS9_11use_defaultEEEPS5_SJ_SJ_NS9_4lessIxEEEE10hipError_tPvRmT0_T1_T2_T3_T4_T5_mmT6_P12ihipStream_tbEUlT_E_NS1_11comp_targetILNS1_3genE0ELNS1_11target_archE4294967295ELNS1_3gpuE0ELNS1_3repE0EEENS1_30default_config_static_selectorELNS0_4arch9wavefront6targetE1EEEvSQ_,"axG",@progbits,_ZN7rocprim17ROCPRIM_400000_NS6detail17trampoline_kernelINS0_14default_configENS1_21merge_config_selectorIxNS0_10empty_typeEEEZNS1_10merge_implIS3_N6thrust23THRUST_200600_302600_NS6detail15normal_iteratorINS9_10device_ptrIKxEEEESF_NS9_16discard_iteratorINS9_11use_defaultEEEPS5_SJ_SJ_NS9_4lessIxEEEE10hipError_tPvRmT0_T1_T2_T3_T4_T5_mmT6_P12ihipStream_tbEUlT_E_NS1_11comp_targetILNS1_3genE0ELNS1_11target_archE4294967295ELNS1_3gpuE0ELNS1_3repE0EEENS1_30default_config_static_selectorELNS0_4arch9wavefront6targetE1EEEvSQ_,comdat
.Lfunc_end407:
	.size	_ZN7rocprim17ROCPRIM_400000_NS6detail17trampoline_kernelINS0_14default_configENS1_21merge_config_selectorIxNS0_10empty_typeEEEZNS1_10merge_implIS3_N6thrust23THRUST_200600_302600_NS6detail15normal_iteratorINS9_10device_ptrIKxEEEESF_NS9_16discard_iteratorINS9_11use_defaultEEEPS5_SJ_SJ_NS9_4lessIxEEEE10hipError_tPvRmT0_T1_T2_T3_T4_T5_mmT6_P12ihipStream_tbEUlT_E_NS1_11comp_targetILNS1_3genE0ELNS1_11target_archE4294967295ELNS1_3gpuE0ELNS1_3repE0EEENS1_30default_config_static_selectorELNS0_4arch9wavefront6targetE1EEEvSQ_, .Lfunc_end407-_ZN7rocprim17ROCPRIM_400000_NS6detail17trampoline_kernelINS0_14default_configENS1_21merge_config_selectorIxNS0_10empty_typeEEEZNS1_10merge_implIS3_N6thrust23THRUST_200600_302600_NS6detail15normal_iteratorINS9_10device_ptrIKxEEEESF_NS9_16discard_iteratorINS9_11use_defaultEEEPS5_SJ_SJ_NS9_4lessIxEEEE10hipError_tPvRmT0_T1_T2_T3_T4_T5_mmT6_P12ihipStream_tbEUlT_E_NS1_11comp_targetILNS1_3genE0ELNS1_11target_archE4294967295ELNS1_3gpuE0ELNS1_3repE0EEENS1_30default_config_static_selectorELNS0_4arch9wavefront6targetE1EEEvSQ_
                                        ; -- End function
	.section	.AMDGPU.csdata,"",@progbits
; Kernel info:
; codeLenInByte = 0
; NumSgprs: 4
; NumVgprs: 0
; NumAgprs: 0
; TotalNumVgprs: 0
; ScratchSize: 0
; MemoryBound: 0
; FloatMode: 240
; IeeeMode: 1
; LDSByteSize: 0 bytes/workgroup (compile time only)
; SGPRBlocks: 0
; VGPRBlocks: 0
; NumSGPRsForWavesPerEU: 4
; NumVGPRsForWavesPerEU: 1
; AccumOffset: 4
; Occupancy: 8
; WaveLimiterHint : 0
; COMPUTE_PGM_RSRC2:SCRATCH_EN: 0
; COMPUTE_PGM_RSRC2:USER_SGPR: 6
; COMPUTE_PGM_RSRC2:TRAP_HANDLER: 0
; COMPUTE_PGM_RSRC2:TGID_X_EN: 1
; COMPUTE_PGM_RSRC2:TGID_Y_EN: 0
; COMPUTE_PGM_RSRC2:TGID_Z_EN: 0
; COMPUTE_PGM_RSRC2:TIDIG_COMP_CNT: 0
; COMPUTE_PGM_RSRC3_GFX90A:ACCUM_OFFSET: 0
; COMPUTE_PGM_RSRC3_GFX90A:TG_SPLIT: 0
	.section	.text._ZN7rocprim17ROCPRIM_400000_NS6detail17trampoline_kernelINS0_14default_configENS1_21merge_config_selectorIxNS0_10empty_typeEEEZNS1_10merge_implIS3_N6thrust23THRUST_200600_302600_NS6detail15normal_iteratorINS9_10device_ptrIKxEEEESF_NS9_16discard_iteratorINS9_11use_defaultEEEPS5_SJ_SJ_NS9_4lessIxEEEE10hipError_tPvRmT0_T1_T2_T3_T4_T5_mmT6_P12ihipStream_tbEUlT_E_NS1_11comp_targetILNS1_3genE5ELNS1_11target_archE942ELNS1_3gpuE9ELNS1_3repE0EEENS1_30default_config_static_selectorELNS0_4arch9wavefront6targetE1EEEvSQ_,"axG",@progbits,_ZN7rocprim17ROCPRIM_400000_NS6detail17trampoline_kernelINS0_14default_configENS1_21merge_config_selectorIxNS0_10empty_typeEEEZNS1_10merge_implIS3_N6thrust23THRUST_200600_302600_NS6detail15normal_iteratorINS9_10device_ptrIKxEEEESF_NS9_16discard_iteratorINS9_11use_defaultEEEPS5_SJ_SJ_NS9_4lessIxEEEE10hipError_tPvRmT0_T1_T2_T3_T4_T5_mmT6_P12ihipStream_tbEUlT_E_NS1_11comp_targetILNS1_3genE5ELNS1_11target_archE942ELNS1_3gpuE9ELNS1_3repE0EEENS1_30default_config_static_selectorELNS0_4arch9wavefront6targetE1EEEvSQ_,comdat
	.protected	_ZN7rocprim17ROCPRIM_400000_NS6detail17trampoline_kernelINS0_14default_configENS1_21merge_config_selectorIxNS0_10empty_typeEEEZNS1_10merge_implIS3_N6thrust23THRUST_200600_302600_NS6detail15normal_iteratorINS9_10device_ptrIKxEEEESF_NS9_16discard_iteratorINS9_11use_defaultEEEPS5_SJ_SJ_NS9_4lessIxEEEE10hipError_tPvRmT0_T1_T2_T3_T4_T5_mmT6_P12ihipStream_tbEUlT_E_NS1_11comp_targetILNS1_3genE5ELNS1_11target_archE942ELNS1_3gpuE9ELNS1_3repE0EEENS1_30default_config_static_selectorELNS0_4arch9wavefront6targetE1EEEvSQ_ ; -- Begin function _ZN7rocprim17ROCPRIM_400000_NS6detail17trampoline_kernelINS0_14default_configENS1_21merge_config_selectorIxNS0_10empty_typeEEEZNS1_10merge_implIS3_N6thrust23THRUST_200600_302600_NS6detail15normal_iteratorINS9_10device_ptrIKxEEEESF_NS9_16discard_iteratorINS9_11use_defaultEEEPS5_SJ_SJ_NS9_4lessIxEEEE10hipError_tPvRmT0_T1_T2_T3_T4_T5_mmT6_P12ihipStream_tbEUlT_E_NS1_11comp_targetILNS1_3genE5ELNS1_11target_archE942ELNS1_3gpuE9ELNS1_3repE0EEENS1_30default_config_static_selectorELNS0_4arch9wavefront6targetE1EEEvSQ_
	.globl	_ZN7rocprim17ROCPRIM_400000_NS6detail17trampoline_kernelINS0_14default_configENS1_21merge_config_selectorIxNS0_10empty_typeEEEZNS1_10merge_implIS3_N6thrust23THRUST_200600_302600_NS6detail15normal_iteratorINS9_10device_ptrIKxEEEESF_NS9_16discard_iteratorINS9_11use_defaultEEEPS5_SJ_SJ_NS9_4lessIxEEEE10hipError_tPvRmT0_T1_T2_T3_T4_T5_mmT6_P12ihipStream_tbEUlT_E_NS1_11comp_targetILNS1_3genE5ELNS1_11target_archE942ELNS1_3gpuE9ELNS1_3repE0EEENS1_30default_config_static_selectorELNS0_4arch9wavefront6targetE1EEEvSQ_
	.p2align	8
	.type	_ZN7rocprim17ROCPRIM_400000_NS6detail17trampoline_kernelINS0_14default_configENS1_21merge_config_selectorIxNS0_10empty_typeEEEZNS1_10merge_implIS3_N6thrust23THRUST_200600_302600_NS6detail15normal_iteratorINS9_10device_ptrIKxEEEESF_NS9_16discard_iteratorINS9_11use_defaultEEEPS5_SJ_SJ_NS9_4lessIxEEEE10hipError_tPvRmT0_T1_T2_T3_T4_T5_mmT6_P12ihipStream_tbEUlT_E_NS1_11comp_targetILNS1_3genE5ELNS1_11target_archE942ELNS1_3gpuE9ELNS1_3repE0EEENS1_30default_config_static_selectorELNS0_4arch9wavefront6targetE1EEEvSQ_,@function
_ZN7rocprim17ROCPRIM_400000_NS6detail17trampoline_kernelINS0_14default_configENS1_21merge_config_selectorIxNS0_10empty_typeEEEZNS1_10merge_implIS3_N6thrust23THRUST_200600_302600_NS6detail15normal_iteratorINS9_10device_ptrIKxEEEESF_NS9_16discard_iteratorINS9_11use_defaultEEEPS5_SJ_SJ_NS9_4lessIxEEEE10hipError_tPvRmT0_T1_T2_T3_T4_T5_mmT6_P12ihipStream_tbEUlT_E_NS1_11comp_targetILNS1_3genE5ELNS1_11target_archE942ELNS1_3gpuE9ELNS1_3repE0EEENS1_30default_config_static_selectorELNS0_4arch9wavefront6targetE1EEEvSQ_: ; @_ZN7rocprim17ROCPRIM_400000_NS6detail17trampoline_kernelINS0_14default_configENS1_21merge_config_selectorIxNS0_10empty_typeEEEZNS1_10merge_implIS3_N6thrust23THRUST_200600_302600_NS6detail15normal_iteratorINS9_10device_ptrIKxEEEESF_NS9_16discard_iteratorINS9_11use_defaultEEEPS5_SJ_SJ_NS9_4lessIxEEEE10hipError_tPvRmT0_T1_T2_T3_T4_T5_mmT6_P12ihipStream_tbEUlT_E_NS1_11comp_targetILNS1_3genE5ELNS1_11target_archE942ELNS1_3gpuE9ELNS1_3repE0EEENS1_30default_config_static_selectorELNS0_4arch9wavefront6targetE1EEEvSQ_
; %bb.0:
	.section	.rodata,"a",@progbits
	.p2align	6, 0x0
	.amdhsa_kernel _ZN7rocprim17ROCPRIM_400000_NS6detail17trampoline_kernelINS0_14default_configENS1_21merge_config_selectorIxNS0_10empty_typeEEEZNS1_10merge_implIS3_N6thrust23THRUST_200600_302600_NS6detail15normal_iteratorINS9_10device_ptrIKxEEEESF_NS9_16discard_iteratorINS9_11use_defaultEEEPS5_SJ_SJ_NS9_4lessIxEEEE10hipError_tPvRmT0_T1_T2_T3_T4_T5_mmT6_P12ihipStream_tbEUlT_E_NS1_11comp_targetILNS1_3genE5ELNS1_11target_archE942ELNS1_3gpuE9ELNS1_3repE0EEENS1_30default_config_static_selectorELNS0_4arch9wavefront6targetE1EEEvSQ_
		.amdhsa_group_segment_fixed_size 0
		.amdhsa_private_segment_fixed_size 0
		.amdhsa_kernarg_size 48
		.amdhsa_user_sgpr_count 6
		.amdhsa_user_sgpr_private_segment_buffer 1
		.amdhsa_user_sgpr_dispatch_ptr 0
		.amdhsa_user_sgpr_queue_ptr 0
		.amdhsa_user_sgpr_kernarg_segment_ptr 1
		.amdhsa_user_sgpr_dispatch_id 0
		.amdhsa_user_sgpr_flat_scratch_init 0
		.amdhsa_user_sgpr_kernarg_preload_length 0
		.amdhsa_user_sgpr_kernarg_preload_offset 0
		.amdhsa_user_sgpr_private_segment_size 0
		.amdhsa_uses_dynamic_stack 0
		.amdhsa_system_sgpr_private_segment_wavefront_offset 0
		.amdhsa_system_sgpr_workgroup_id_x 1
		.amdhsa_system_sgpr_workgroup_id_y 0
		.amdhsa_system_sgpr_workgroup_id_z 0
		.amdhsa_system_sgpr_workgroup_info 0
		.amdhsa_system_vgpr_workitem_id 0
		.amdhsa_next_free_vgpr 1
		.amdhsa_next_free_sgpr 0
		.amdhsa_accum_offset 4
		.amdhsa_reserve_vcc 0
		.amdhsa_reserve_flat_scratch 0
		.amdhsa_float_round_mode_32 0
		.amdhsa_float_round_mode_16_64 0
		.amdhsa_float_denorm_mode_32 3
		.amdhsa_float_denorm_mode_16_64 3
		.amdhsa_dx10_clamp 1
		.amdhsa_ieee_mode 1
		.amdhsa_fp16_overflow 0
		.amdhsa_tg_split 0
		.amdhsa_exception_fp_ieee_invalid_op 0
		.amdhsa_exception_fp_denorm_src 0
		.amdhsa_exception_fp_ieee_div_zero 0
		.amdhsa_exception_fp_ieee_overflow 0
		.amdhsa_exception_fp_ieee_underflow 0
		.amdhsa_exception_fp_ieee_inexact 0
		.amdhsa_exception_int_div_zero 0
	.end_amdhsa_kernel
	.section	.text._ZN7rocprim17ROCPRIM_400000_NS6detail17trampoline_kernelINS0_14default_configENS1_21merge_config_selectorIxNS0_10empty_typeEEEZNS1_10merge_implIS3_N6thrust23THRUST_200600_302600_NS6detail15normal_iteratorINS9_10device_ptrIKxEEEESF_NS9_16discard_iteratorINS9_11use_defaultEEEPS5_SJ_SJ_NS9_4lessIxEEEE10hipError_tPvRmT0_T1_T2_T3_T4_T5_mmT6_P12ihipStream_tbEUlT_E_NS1_11comp_targetILNS1_3genE5ELNS1_11target_archE942ELNS1_3gpuE9ELNS1_3repE0EEENS1_30default_config_static_selectorELNS0_4arch9wavefront6targetE1EEEvSQ_,"axG",@progbits,_ZN7rocprim17ROCPRIM_400000_NS6detail17trampoline_kernelINS0_14default_configENS1_21merge_config_selectorIxNS0_10empty_typeEEEZNS1_10merge_implIS3_N6thrust23THRUST_200600_302600_NS6detail15normal_iteratorINS9_10device_ptrIKxEEEESF_NS9_16discard_iteratorINS9_11use_defaultEEEPS5_SJ_SJ_NS9_4lessIxEEEE10hipError_tPvRmT0_T1_T2_T3_T4_T5_mmT6_P12ihipStream_tbEUlT_E_NS1_11comp_targetILNS1_3genE5ELNS1_11target_archE942ELNS1_3gpuE9ELNS1_3repE0EEENS1_30default_config_static_selectorELNS0_4arch9wavefront6targetE1EEEvSQ_,comdat
.Lfunc_end408:
	.size	_ZN7rocprim17ROCPRIM_400000_NS6detail17trampoline_kernelINS0_14default_configENS1_21merge_config_selectorIxNS0_10empty_typeEEEZNS1_10merge_implIS3_N6thrust23THRUST_200600_302600_NS6detail15normal_iteratorINS9_10device_ptrIKxEEEESF_NS9_16discard_iteratorINS9_11use_defaultEEEPS5_SJ_SJ_NS9_4lessIxEEEE10hipError_tPvRmT0_T1_T2_T3_T4_T5_mmT6_P12ihipStream_tbEUlT_E_NS1_11comp_targetILNS1_3genE5ELNS1_11target_archE942ELNS1_3gpuE9ELNS1_3repE0EEENS1_30default_config_static_selectorELNS0_4arch9wavefront6targetE1EEEvSQ_, .Lfunc_end408-_ZN7rocprim17ROCPRIM_400000_NS6detail17trampoline_kernelINS0_14default_configENS1_21merge_config_selectorIxNS0_10empty_typeEEEZNS1_10merge_implIS3_N6thrust23THRUST_200600_302600_NS6detail15normal_iteratorINS9_10device_ptrIKxEEEESF_NS9_16discard_iteratorINS9_11use_defaultEEEPS5_SJ_SJ_NS9_4lessIxEEEE10hipError_tPvRmT0_T1_T2_T3_T4_T5_mmT6_P12ihipStream_tbEUlT_E_NS1_11comp_targetILNS1_3genE5ELNS1_11target_archE942ELNS1_3gpuE9ELNS1_3repE0EEENS1_30default_config_static_selectorELNS0_4arch9wavefront6targetE1EEEvSQ_
                                        ; -- End function
	.section	.AMDGPU.csdata,"",@progbits
; Kernel info:
; codeLenInByte = 0
; NumSgprs: 4
; NumVgprs: 0
; NumAgprs: 0
; TotalNumVgprs: 0
; ScratchSize: 0
; MemoryBound: 0
; FloatMode: 240
; IeeeMode: 1
; LDSByteSize: 0 bytes/workgroup (compile time only)
; SGPRBlocks: 0
; VGPRBlocks: 0
; NumSGPRsForWavesPerEU: 4
; NumVGPRsForWavesPerEU: 1
; AccumOffset: 4
; Occupancy: 8
; WaveLimiterHint : 0
; COMPUTE_PGM_RSRC2:SCRATCH_EN: 0
; COMPUTE_PGM_RSRC2:USER_SGPR: 6
; COMPUTE_PGM_RSRC2:TRAP_HANDLER: 0
; COMPUTE_PGM_RSRC2:TGID_X_EN: 1
; COMPUTE_PGM_RSRC2:TGID_Y_EN: 0
; COMPUTE_PGM_RSRC2:TGID_Z_EN: 0
; COMPUTE_PGM_RSRC2:TIDIG_COMP_CNT: 0
; COMPUTE_PGM_RSRC3_GFX90A:ACCUM_OFFSET: 0
; COMPUTE_PGM_RSRC3_GFX90A:TG_SPLIT: 0
	.section	.text._ZN7rocprim17ROCPRIM_400000_NS6detail17trampoline_kernelINS0_14default_configENS1_21merge_config_selectorIxNS0_10empty_typeEEEZNS1_10merge_implIS3_N6thrust23THRUST_200600_302600_NS6detail15normal_iteratorINS9_10device_ptrIKxEEEESF_NS9_16discard_iteratorINS9_11use_defaultEEEPS5_SJ_SJ_NS9_4lessIxEEEE10hipError_tPvRmT0_T1_T2_T3_T4_T5_mmT6_P12ihipStream_tbEUlT_E_NS1_11comp_targetILNS1_3genE4ELNS1_11target_archE910ELNS1_3gpuE8ELNS1_3repE0EEENS1_30default_config_static_selectorELNS0_4arch9wavefront6targetE1EEEvSQ_,"axG",@progbits,_ZN7rocprim17ROCPRIM_400000_NS6detail17trampoline_kernelINS0_14default_configENS1_21merge_config_selectorIxNS0_10empty_typeEEEZNS1_10merge_implIS3_N6thrust23THRUST_200600_302600_NS6detail15normal_iteratorINS9_10device_ptrIKxEEEESF_NS9_16discard_iteratorINS9_11use_defaultEEEPS5_SJ_SJ_NS9_4lessIxEEEE10hipError_tPvRmT0_T1_T2_T3_T4_T5_mmT6_P12ihipStream_tbEUlT_E_NS1_11comp_targetILNS1_3genE4ELNS1_11target_archE910ELNS1_3gpuE8ELNS1_3repE0EEENS1_30default_config_static_selectorELNS0_4arch9wavefront6targetE1EEEvSQ_,comdat
	.protected	_ZN7rocprim17ROCPRIM_400000_NS6detail17trampoline_kernelINS0_14default_configENS1_21merge_config_selectorIxNS0_10empty_typeEEEZNS1_10merge_implIS3_N6thrust23THRUST_200600_302600_NS6detail15normal_iteratorINS9_10device_ptrIKxEEEESF_NS9_16discard_iteratorINS9_11use_defaultEEEPS5_SJ_SJ_NS9_4lessIxEEEE10hipError_tPvRmT0_T1_T2_T3_T4_T5_mmT6_P12ihipStream_tbEUlT_E_NS1_11comp_targetILNS1_3genE4ELNS1_11target_archE910ELNS1_3gpuE8ELNS1_3repE0EEENS1_30default_config_static_selectorELNS0_4arch9wavefront6targetE1EEEvSQ_ ; -- Begin function _ZN7rocprim17ROCPRIM_400000_NS6detail17trampoline_kernelINS0_14default_configENS1_21merge_config_selectorIxNS0_10empty_typeEEEZNS1_10merge_implIS3_N6thrust23THRUST_200600_302600_NS6detail15normal_iteratorINS9_10device_ptrIKxEEEESF_NS9_16discard_iteratorINS9_11use_defaultEEEPS5_SJ_SJ_NS9_4lessIxEEEE10hipError_tPvRmT0_T1_T2_T3_T4_T5_mmT6_P12ihipStream_tbEUlT_E_NS1_11comp_targetILNS1_3genE4ELNS1_11target_archE910ELNS1_3gpuE8ELNS1_3repE0EEENS1_30default_config_static_selectorELNS0_4arch9wavefront6targetE1EEEvSQ_
	.globl	_ZN7rocprim17ROCPRIM_400000_NS6detail17trampoline_kernelINS0_14default_configENS1_21merge_config_selectorIxNS0_10empty_typeEEEZNS1_10merge_implIS3_N6thrust23THRUST_200600_302600_NS6detail15normal_iteratorINS9_10device_ptrIKxEEEESF_NS9_16discard_iteratorINS9_11use_defaultEEEPS5_SJ_SJ_NS9_4lessIxEEEE10hipError_tPvRmT0_T1_T2_T3_T4_T5_mmT6_P12ihipStream_tbEUlT_E_NS1_11comp_targetILNS1_3genE4ELNS1_11target_archE910ELNS1_3gpuE8ELNS1_3repE0EEENS1_30default_config_static_selectorELNS0_4arch9wavefront6targetE1EEEvSQ_
	.p2align	8
	.type	_ZN7rocprim17ROCPRIM_400000_NS6detail17trampoline_kernelINS0_14default_configENS1_21merge_config_selectorIxNS0_10empty_typeEEEZNS1_10merge_implIS3_N6thrust23THRUST_200600_302600_NS6detail15normal_iteratorINS9_10device_ptrIKxEEEESF_NS9_16discard_iteratorINS9_11use_defaultEEEPS5_SJ_SJ_NS9_4lessIxEEEE10hipError_tPvRmT0_T1_T2_T3_T4_T5_mmT6_P12ihipStream_tbEUlT_E_NS1_11comp_targetILNS1_3genE4ELNS1_11target_archE910ELNS1_3gpuE8ELNS1_3repE0EEENS1_30default_config_static_selectorELNS0_4arch9wavefront6targetE1EEEvSQ_,@function
_ZN7rocprim17ROCPRIM_400000_NS6detail17trampoline_kernelINS0_14default_configENS1_21merge_config_selectorIxNS0_10empty_typeEEEZNS1_10merge_implIS3_N6thrust23THRUST_200600_302600_NS6detail15normal_iteratorINS9_10device_ptrIKxEEEESF_NS9_16discard_iteratorINS9_11use_defaultEEEPS5_SJ_SJ_NS9_4lessIxEEEE10hipError_tPvRmT0_T1_T2_T3_T4_T5_mmT6_P12ihipStream_tbEUlT_E_NS1_11comp_targetILNS1_3genE4ELNS1_11target_archE910ELNS1_3gpuE8ELNS1_3repE0EEENS1_30default_config_static_selectorELNS0_4arch9wavefront6targetE1EEEvSQ_: ; @_ZN7rocprim17ROCPRIM_400000_NS6detail17trampoline_kernelINS0_14default_configENS1_21merge_config_selectorIxNS0_10empty_typeEEEZNS1_10merge_implIS3_N6thrust23THRUST_200600_302600_NS6detail15normal_iteratorINS9_10device_ptrIKxEEEESF_NS9_16discard_iteratorINS9_11use_defaultEEEPS5_SJ_SJ_NS9_4lessIxEEEE10hipError_tPvRmT0_T1_T2_T3_T4_T5_mmT6_P12ihipStream_tbEUlT_E_NS1_11comp_targetILNS1_3genE4ELNS1_11target_archE910ELNS1_3gpuE8ELNS1_3repE0EEENS1_30default_config_static_selectorELNS0_4arch9wavefront6targetE1EEEvSQ_
; %bb.0:
	s_load_dword s7, s[4:5], 0x28
	s_load_dword s0, s[4:5], 0x3c
	s_load_dwordx4 s[8:11], s[4:5], 0x18
	s_waitcnt lgkmcnt(0)
	v_cvt_f32_u32_e32 v1, s7
	s_and_b32 s0, s0, 0xffff
	s_add_u32 s12, s10, s8
	s_addc_u32 s13, s11, s9
	v_rcp_iflag_f32_e32 v1, v1
	s_sub_i32 s1, 0, s7
	s_mul_i32 s6, s6, s0
	s_add_i32 s0, s7, s12
	v_mul_f32_e32 v1, 0x4f7ffffe, v1
	v_cvt_u32_f32_e32 v1, v1
	s_add_i32 s0, s0, -1
	v_add_u32_e32 v0, s6, v0
	v_readfirstlane_b32 s2, v1
	s_mul_i32 s1, s1, s2
	s_mul_hi_u32 s1, s2, s1
	s_add_i32 s2, s2, s1
	s_mul_hi_u32 s1, s0, s2
	s_mul_i32 s2, s1, s7
	s_sub_i32 s0, s0, s2
	s_add_i32 s3, s1, 1
	s_sub_i32 s2, s0, s7
	s_cmp_ge_u32 s0, s7
	s_cselect_b32 s1, s3, s1
	s_cselect_b32 s0, s2, s0
	s_add_i32 s2, s1, 1
	s_cmp_ge_u32 s0, s7
	s_cselect_b32 s0, s2, s1
	v_cmp_ge_u32_e32 vcc, s0, v0
	s_and_saveexec_b64 s[0:1], vcc
	s_cbranch_execz .LBB409_6
; %bb.1:
	v_mul_lo_u32 v2, v0, s7
	v_mov_b32_e32 v3, 0
	v_mov_b32_e32 v1, s13
	v_cmp_gt_u64_e32 vcc, s[12:13], v[2:3]
	v_cndmask_b32_e64 v7, v1, 0, vcc
	v_mov_b32_e32 v1, s12
	v_cndmask_b32_e32 v6, v1, v2, vcc
	v_mov_b32_e32 v1, s11
	v_subrev_co_u32_e32 v2, vcc, s10, v6
	v_subb_co_u32_e32 v3, vcc, v7, v1, vcc
	s_load_dwordx4 s[0:3], s[4:5], 0x0
	v_cmp_gt_u64_e32 vcc, v[2:3], v[6:7]
	v_cndmask_b32_e64 v3, v3, 0, vcc
	v_cndmask_b32_e64 v2, v2, 0, vcc
	v_mov_b32_e32 v1, s9
	v_cmp_gt_u64_e32 vcc, s[8:9], v[6:7]
	v_cndmask_b32_e32 v5, v1, v7, vcc
	v_mov_b32_e32 v1, s8
	v_cndmask_b32_e32 v4, v1, v6, vcc
	v_cmp_lt_u64_e32 vcc, v[2:3], v[4:5]
	s_and_saveexec_b64 s[6:7], vcc
	s_cbranch_execz .LBB409_5
; %bb.2:
	s_load_dwordx2 s[4:5], s[4:5], 0x10
	v_lshlrev_b64 v[6:7], 3, v[6:7]
	s_waitcnt lgkmcnt(0)
	v_mov_b32_e32 v8, s5
	v_add_co_u32_e32 v1, vcc, s4, v6
	v_addc_co_u32_e32 v6, vcc, v8, v7, vcc
	s_mov_b64 s[4:5], 0
	v_mov_b32_e32 v7, s3
.LBB409_3:                              ; =>This Inner Loop Header: Depth=1
	v_add_co_u32_e32 v8, vcc, v4, v2
	v_addc_co_u32_e32 v9, vcc, v5, v3, vcc
	v_lshrrev_b64 v[8:9], 1, v[8:9]
	v_lshlrev_b64 v[12:13], 3, v[8:9]
	v_not_b32_e32 v11, v9
	v_not_b32_e32 v10, v8
	v_add_co_u32_e32 v12, vcc, s2, v12
	v_addc_co_u32_e32 v13, vcc, v7, v13, vcc
	v_lshlrev_b64 v[10:11], 3, v[10:11]
	v_add_co_u32_e32 v10, vcc, v1, v10
	v_addc_co_u32_e32 v11, vcc, v6, v11, vcc
	global_load_dwordx2 v[12:13], v[12:13], off
	v_add_co_u32_e32 v14, vcc, 1, v8
	global_load_dwordx2 v[10:11], v[10:11], off
	v_addc_co_u32_e32 v15, vcc, 0, v9, vcc
	s_waitcnt vmcnt(0)
	v_cmp_lt_i64_e32 vcc, v[10:11], v[12:13]
	v_cndmask_b32_e32 v5, v5, v9, vcc
	v_cndmask_b32_e32 v4, v4, v8, vcc
	;; [unrolled: 1-line block ×4, first 2 shown]
	v_cmp_ge_u64_e32 vcc, v[2:3], v[4:5]
	s_or_b64 s[4:5], vcc, s[4:5]
	s_andn2_b64 exec, exec, s[4:5]
	s_cbranch_execnz .LBB409_3
; %bb.4:
	s_or_b64 exec, exec, s[4:5]
.LBB409_5:
	s_or_b64 exec, exec, s[6:7]
	v_mov_b32_e32 v1, 0
	v_lshlrev_b64 v[0:1], 2, v[0:1]
	s_waitcnt lgkmcnt(0)
	v_mov_b32_e32 v3, s1
	v_add_co_u32_e32 v0, vcc, s0, v0
	v_addc_co_u32_e32 v1, vcc, v3, v1, vcc
	global_store_dword v[0:1], v2, off
.LBB409_6:
	s_endpgm
	.section	.rodata,"a",@progbits
	.p2align	6, 0x0
	.amdhsa_kernel _ZN7rocprim17ROCPRIM_400000_NS6detail17trampoline_kernelINS0_14default_configENS1_21merge_config_selectorIxNS0_10empty_typeEEEZNS1_10merge_implIS3_N6thrust23THRUST_200600_302600_NS6detail15normal_iteratorINS9_10device_ptrIKxEEEESF_NS9_16discard_iteratorINS9_11use_defaultEEEPS5_SJ_SJ_NS9_4lessIxEEEE10hipError_tPvRmT0_T1_T2_T3_T4_T5_mmT6_P12ihipStream_tbEUlT_E_NS1_11comp_targetILNS1_3genE4ELNS1_11target_archE910ELNS1_3gpuE8ELNS1_3repE0EEENS1_30default_config_static_selectorELNS0_4arch9wavefront6targetE1EEEvSQ_
		.amdhsa_group_segment_fixed_size 0
		.amdhsa_private_segment_fixed_size 0
		.amdhsa_kernarg_size 304
		.amdhsa_user_sgpr_count 6
		.amdhsa_user_sgpr_private_segment_buffer 1
		.amdhsa_user_sgpr_dispatch_ptr 0
		.amdhsa_user_sgpr_queue_ptr 0
		.amdhsa_user_sgpr_kernarg_segment_ptr 1
		.amdhsa_user_sgpr_dispatch_id 0
		.amdhsa_user_sgpr_flat_scratch_init 0
		.amdhsa_user_sgpr_kernarg_preload_length 0
		.amdhsa_user_sgpr_kernarg_preload_offset 0
		.amdhsa_user_sgpr_private_segment_size 0
		.amdhsa_uses_dynamic_stack 0
		.amdhsa_system_sgpr_private_segment_wavefront_offset 0
		.amdhsa_system_sgpr_workgroup_id_x 1
		.amdhsa_system_sgpr_workgroup_id_y 0
		.amdhsa_system_sgpr_workgroup_id_z 0
		.amdhsa_system_sgpr_workgroup_info 0
		.amdhsa_system_vgpr_workitem_id 0
		.amdhsa_next_free_vgpr 16
		.amdhsa_next_free_sgpr 14
		.amdhsa_accum_offset 16
		.amdhsa_reserve_vcc 1
		.amdhsa_reserve_flat_scratch 0
		.amdhsa_float_round_mode_32 0
		.amdhsa_float_round_mode_16_64 0
		.amdhsa_float_denorm_mode_32 3
		.amdhsa_float_denorm_mode_16_64 3
		.amdhsa_dx10_clamp 1
		.amdhsa_ieee_mode 1
		.amdhsa_fp16_overflow 0
		.amdhsa_tg_split 0
		.amdhsa_exception_fp_ieee_invalid_op 0
		.amdhsa_exception_fp_denorm_src 0
		.amdhsa_exception_fp_ieee_div_zero 0
		.amdhsa_exception_fp_ieee_overflow 0
		.amdhsa_exception_fp_ieee_underflow 0
		.amdhsa_exception_fp_ieee_inexact 0
		.amdhsa_exception_int_div_zero 0
	.end_amdhsa_kernel
	.section	.text._ZN7rocprim17ROCPRIM_400000_NS6detail17trampoline_kernelINS0_14default_configENS1_21merge_config_selectorIxNS0_10empty_typeEEEZNS1_10merge_implIS3_N6thrust23THRUST_200600_302600_NS6detail15normal_iteratorINS9_10device_ptrIKxEEEESF_NS9_16discard_iteratorINS9_11use_defaultEEEPS5_SJ_SJ_NS9_4lessIxEEEE10hipError_tPvRmT0_T1_T2_T3_T4_T5_mmT6_P12ihipStream_tbEUlT_E_NS1_11comp_targetILNS1_3genE4ELNS1_11target_archE910ELNS1_3gpuE8ELNS1_3repE0EEENS1_30default_config_static_selectorELNS0_4arch9wavefront6targetE1EEEvSQ_,"axG",@progbits,_ZN7rocprim17ROCPRIM_400000_NS6detail17trampoline_kernelINS0_14default_configENS1_21merge_config_selectorIxNS0_10empty_typeEEEZNS1_10merge_implIS3_N6thrust23THRUST_200600_302600_NS6detail15normal_iteratorINS9_10device_ptrIKxEEEESF_NS9_16discard_iteratorINS9_11use_defaultEEEPS5_SJ_SJ_NS9_4lessIxEEEE10hipError_tPvRmT0_T1_T2_T3_T4_T5_mmT6_P12ihipStream_tbEUlT_E_NS1_11comp_targetILNS1_3genE4ELNS1_11target_archE910ELNS1_3gpuE8ELNS1_3repE0EEENS1_30default_config_static_selectorELNS0_4arch9wavefront6targetE1EEEvSQ_,comdat
.Lfunc_end409:
	.size	_ZN7rocprim17ROCPRIM_400000_NS6detail17trampoline_kernelINS0_14default_configENS1_21merge_config_selectorIxNS0_10empty_typeEEEZNS1_10merge_implIS3_N6thrust23THRUST_200600_302600_NS6detail15normal_iteratorINS9_10device_ptrIKxEEEESF_NS9_16discard_iteratorINS9_11use_defaultEEEPS5_SJ_SJ_NS9_4lessIxEEEE10hipError_tPvRmT0_T1_T2_T3_T4_T5_mmT6_P12ihipStream_tbEUlT_E_NS1_11comp_targetILNS1_3genE4ELNS1_11target_archE910ELNS1_3gpuE8ELNS1_3repE0EEENS1_30default_config_static_selectorELNS0_4arch9wavefront6targetE1EEEvSQ_, .Lfunc_end409-_ZN7rocprim17ROCPRIM_400000_NS6detail17trampoline_kernelINS0_14default_configENS1_21merge_config_selectorIxNS0_10empty_typeEEEZNS1_10merge_implIS3_N6thrust23THRUST_200600_302600_NS6detail15normal_iteratorINS9_10device_ptrIKxEEEESF_NS9_16discard_iteratorINS9_11use_defaultEEEPS5_SJ_SJ_NS9_4lessIxEEEE10hipError_tPvRmT0_T1_T2_T3_T4_T5_mmT6_P12ihipStream_tbEUlT_E_NS1_11comp_targetILNS1_3genE4ELNS1_11target_archE910ELNS1_3gpuE8ELNS1_3repE0EEENS1_30default_config_static_selectorELNS0_4arch9wavefront6targetE1EEEvSQ_
                                        ; -- End function
	.section	.AMDGPU.csdata,"",@progbits
; Kernel info:
; codeLenInByte = 472
; NumSgprs: 18
; NumVgprs: 16
; NumAgprs: 0
; TotalNumVgprs: 16
; ScratchSize: 0
; MemoryBound: 0
; FloatMode: 240
; IeeeMode: 1
; LDSByteSize: 0 bytes/workgroup (compile time only)
; SGPRBlocks: 2
; VGPRBlocks: 1
; NumSGPRsForWavesPerEU: 18
; NumVGPRsForWavesPerEU: 16
; AccumOffset: 16
; Occupancy: 8
; WaveLimiterHint : 0
; COMPUTE_PGM_RSRC2:SCRATCH_EN: 0
; COMPUTE_PGM_RSRC2:USER_SGPR: 6
; COMPUTE_PGM_RSRC2:TRAP_HANDLER: 0
; COMPUTE_PGM_RSRC2:TGID_X_EN: 1
; COMPUTE_PGM_RSRC2:TGID_Y_EN: 0
; COMPUTE_PGM_RSRC2:TGID_Z_EN: 0
; COMPUTE_PGM_RSRC2:TIDIG_COMP_CNT: 0
; COMPUTE_PGM_RSRC3_GFX90A:ACCUM_OFFSET: 3
; COMPUTE_PGM_RSRC3_GFX90A:TG_SPLIT: 0
	.section	.text._ZN7rocprim17ROCPRIM_400000_NS6detail17trampoline_kernelINS0_14default_configENS1_21merge_config_selectorIxNS0_10empty_typeEEEZNS1_10merge_implIS3_N6thrust23THRUST_200600_302600_NS6detail15normal_iteratorINS9_10device_ptrIKxEEEESF_NS9_16discard_iteratorINS9_11use_defaultEEEPS5_SJ_SJ_NS9_4lessIxEEEE10hipError_tPvRmT0_T1_T2_T3_T4_T5_mmT6_P12ihipStream_tbEUlT_E_NS1_11comp_targetILNS1_3genE3ELNS1_11target_archE908ELNS1_3gpuE7ELNS1_3repE0EEENS1_30default_config_static_selectorELNS0_4arch9wavefront6targetE1EEEvSQ_,"axG",@progbits,_ZN7rocprim17ROCPRIM_400000_NS6detail17trampoline_kernelINS0_14default_configENS1_21merge_config_selectorIxNS0_10empty_typeEEEZNS1_10merge_implIS3_N6thrust23THRUST_200600_302600_NS6detail15normal_iteratorINS9_10device_ptrIKxEEEESF_NS9_16discard_iteratorINS9_11use_defaultEEEPS5_SJ_SJ_NS9_4lessIxEEEE10hipError_tPvRmT0_T1_T2_T3_T4_T5_mmT6_P12ihipStream_tbEUlT_E_NS1_11comp_targetILNS1_3genE3ELNS1_11target_archE908ELNS1_3gpuE7ELNS1_3repE0EEENS1_30default_config_static_selectorELNS0_4arch9wavefront6targetE1EEEvSQ_,comdat
	.protected	_ZN7rocprim17ROCPRIM_400000_NS6detail17trampoline_kernelINS0_14default_configENS1_21merge_config_selectorIxNS0_10empty_typeEEEZNS1_10merge_implIS3_N6thrust23THRUST_200600_302600_NS6detail15normal_iteratorINS9_10device_ptrIKxEEEESF_NS9_16discard_iteratorINS9_11use_defaultEEEPS5_SJ_SJ_NS9_4lessIxEEEE10hipError_tPvRmT0_T1_T2_T3_T4_T5_mmT6_P12ihipStream_tbEUlT_E_NS1_11comp_targetILNS1_3genE3ELNS1_11target_archE908ELNS1_3gpuE7ELNS1_3repE0EEENS1_30default_config_static_selectorELNS0_4arch9wavefront6targetE1EEEvSQ_ ; -- Begin function _ZN7rocprim17ROCPRIM_400000_NS6detail17trampoline_kernelINS0_14default_configENS1_21merge_config_selectorIxNS0_10empty_typeEEEZNS1_10merge_implIS3_N6thrust23THRUST_200600_302600_NS6detail15normal_iteratorINS9_10device_ptrIKxEEEESF_NS9_16discard_iteratorINS9_11use_defaultEEEPS5_SJ_SJ_NS9_4lessIxEEEE10hipError_tPvRmT0_T1_T2_T3_T4_T5_mmT6_P12ihipStream_tbEUlT_E_NS1_11comp_targetILNS1_3genE3ELNS1_11target_archE908ELNS1_3gpuE7ELNS1_3repE0EEENS1_30default_config_static_selectorELNS0_4arch9wavefront6targetE1EEEvSQ_
	.globl	_ZN7rocprim17ROCPRIM_400000_NS6detail17trampoline_kernelINS0_14default_configENS1_21merge_config_selectorIxNS0_10empty_typeEEEZNS1_10merge_implIS3_N6thrust23THRUST_200600_302600_NS6detail15normal_iteratorINS9_10device_ptrIKxEEEESF_NS9_16discard_iteratorINS9_11use_defaultEEEPS5_SJ_SJ_NS9_4lessIxEEEE10hipError_tPvRmT0_T1_T2_T3_T4_T5_mmT6_P12ihipStream_tbEUlT_E_NS1_11comp_targetILNS1_3genE3ELNS1_11target_archE908ELNS1_3gpuE7ELNS1_3repE0EEENS1_30default_config_static_selectorELNS0_4arch9wavefront6targetE1EEEvSQ_
	.p2align	8
	.type	_ZN7rocprim17ROCPRIM_400000_NS6detail17trampoline_kernelINS0_14default_configENS1_21merge_config_selectorIxNS0_10empty_typeEEEZNS1_10merge_implIS3_N6thrust23THRUST_200600_302600_NS6detail15normal_iteratorINS9_10device_ptrIKxEEEESF_NS9_16discard_iteratorINS9_11use_defaultEEEPS5_SJ_SJ_NS9_4lessIxEEEE10hipError_tPvRmT0_T1_T2_T3_T4_T5_mmT6_P12ihipStream_tbEUlT_E_NS1_11comp_targetILNS1_3genE3ELNS1_11target_archE908ELNS1_3gpuE7ELNS1_3repE0EEENS1_30default_config_static_selectorELNS0_4arch9wavefront6targetE1EEEvSQ_,@function
_ZN7rocprim17ROCPRIM_400000_NS6detail17trampoline_kernelINS0_14default_configENS1_21merge_config_selectorIxNS0_10empty_typeEEEZNS1_10merge_implIS3_N6thrust23THRUST_200600_302600_NS6detail15normal_iteratorINS9_10device_ptrIKxEEEESF_NS9_16discard_iteratorINS9_11use_defaultEEEPS5_SJ_SJ_NS9_4lessIxEEEE10hipError_tPvRmT0_T1_T2_T3_T4_T5_mmT6_P12ihipStream_tbEUlT_E_NS1_11comp_targetILNS1_3genE3ELNS1_11target_archE908ELNS1_3gpuE7ELNS1_3repE0EEENS1_30default_config_static_selectorELNS0_4arch9wavefront6targetE1EEEvSQ_: ; @_ZN7rocprim17ROCPRIM_400000_NS6detail17trampoline_kernelINS0_14default_configENS1_21merge_config_selectorIxNS0_10empty_typeEEEZNS1_10merge_implIS3_N6thrust23THRUST_200600_302600_NS6detail15normal_iteratorINS9_10device_ptrIKxEEEESF_NS9_16discard_iteratorINS9_11use_defaultEEEPS5_SJ_SJ_NS9_4lessIxEEEE10hipError_tPvRmT0_T1_T2_T3_T4_T5_mmT6_P12ihipStream_tbEUlT_E_NS1_11comp_targetILNS1_3genE3ELNS1_11target_archE908ELNS1_3gpuE7ELNS1_3repE0EEENS1_30default_config_static_selectorELNS0_4arch9wavefront6targetE1EEEvSQ_
; %bb.0:
	.section	.rodata,"a",@progbits
	.p2align	6, 0x0
	.amdhsa_kernel _ZN7rocprim17ROCPRIM_400000_NS6detail17trampoline_kernelINS0_14default_configENS1_21merge_config_selectorIxNS0_10empty_typeEEEZNS1_10merge_implIS3_N6thrust23THRUST_200600_302600_NS6detail15normal_iteratorINS9_10device_ptrIKxEEEESF_NS9_16discard_iteratorINS9_11use_defaultEEEPS5_SJ_SJ_NS9_4lessIxEEEE10hipError_tPvRmT0_T1_T2_T3_T4_T5_mmT6_P12ihipStream_tbEUlT_E_NS1_11comp_targetILNS1_3genE3ELNS1_11target_archE908ELNS1_3gpuE7ELNS1_3repE0EEENS1_30default_config_static_selectorELNS0_4arch9wavefront6targetE1EEEvSQ_
		.amdhsa_group_segment_fixed_size 0
		.amdhsa_private_segment_fixed_size 0
		.amdhsa_kernarg_size 48
		.amdhsa_user_sgpr_count 6
		.amdhsa_user_sgpr_private_segment_buffer 1
		.amdhsa_user_sgpr_dispatch_ptr 0
		.amdhsa_user_sgpr_queue_ptr 0
		.amdhsa_user_sgpr_kernarg_segment_ptr 1
		.amdhsa_user_sgpr_dispatch_id 0
		.amdhsa_user_sgpr_flat_scratch_init 0
		.amdhsa_user_sgpr_kernarg_preload_length 0
		.amdhsa_user_sgpr_kernarg_preload_offset 0
		.amdhsa_user_sgpr_private_segment_size 0
		.amdhsa_uses_dynamic_stack 0
		.amdhsa_system_sgpr_private_segment_wavefront_offset 0
		.amdhsa_system_sgpr_workgroup_id_x 1
		.amdhsa_system_sgpr_workgroup_id_y 0
		.amdhsa_system_sgpr_workgroup_id_z 0
		.amdhsa_system_sgpr_workgroup_info 0
		.amdhsa_system_vgpr_workitem_id 0
		.amdhsa_next_free_vgpr 1
		.amdhsa_next_free_sgpr 0
		.amdhsa_accum_offset 4
		.amdhsa_reserve_vcc 0
		.amdhsa_reserve_flat_scratch 0
		.amdhsa_float_round_mode_32 0
		.amdhsa_float_round_mode_16_64 0
		.amdhsa_float_denorm_mode_32 3
		.amdhsa_float_denorm_mode_16_64 3
		.amdhsa_dx10_clamp 1
		.amdhsa_ieee_mode 1
		.amdhsa_fp16_overflow 0
		.amdhsa_tg_split 0
		.amdhsa_exception_fp_ieee_invalid_op 0
		.amdhsa_exception_fp_denorm_src 0
		.amdhsa_exception_fp_ieee_div_zero 0
		.amdhsa_exception_fp_ieee_overflow 0
		.amdhsa_exception_fp_ieee_underflow 0
		.amdhsa_exception_fp_ieee_inexact 0
		.amdhsa_exception_int_div_zero 0
	.end_amdhsa_kernel
	.section	.text._ZN7rocprim17ROCPRIM_400000_NS6detail17trampoline_kernelINS0_14default_configENS1_21merge_config_selectorIxNS0_10empty_typeEEEZNS1_10merge_implIS3_N6thrust23THRUST_200600_302600_NS6detail15normal_iteratorINS9_10device_ptrIKxEEEESF_NS9_16discard_iteratorINS9_11use_defaultEEEPS5_SJ_SJ_NS9_4lessIxEEEE10hipError_tPvRmT0_T1_T2_T3_T4_T5_mmT6_P12ihipStream_tbEUlT_E_NS1_11comp_targetILNS1_3genE3ELNS1_11target_archE908ELNS1_3gpuE7ELNS1_3repE0EEENS1_30default_config_static_selectorELNS0_4arch9wavefront6targetE1EEEvSQ_,"axG",@progbits,_ZN7rocprim17ROCPRIM_400000_NS6detail17trampoline_kernelINS0_14default_configENS1_21merge_config_selectorIxNS0_10empty_typeEEEZNS1_10merge_implIS3_N6thrust23THRUST_200600_302600_NS6detail15normal_iteratorINS9_10device_ptrIKxEEEESF_NS9_16discard_iteratorINS9_11use_defaultEEEPS5_SJ_SJ_NS9_4lessIxEEEE10hipError_tPvRmT0_T1_T2_T3_T4_T5_mmT6_P12ihipStream_tbEUlT_E_NS1_11comp_targetILNS1_3genE3ELNS1_11target_archE908ELNS1_3gpuE7ELNS1_3repE0EEENS1_30default_config_static_selectorELNS0_4arch9wavefront6targetE1EEEvSQ_,comdat
.Lfunc_end410:
	.size	_ZN7rocprim17ROCPRIM_400000_NS6detail17trampoline_kernelINS0_14default_configENS1_21merge_config_selectorIxNS0_10empty_typeEEEZNS1_10merge_implIS3_N6thrust23THRUST_200600_302600_NS6detail15normal_iteratorINS9_10device_ptrIKxEEEESF_NS9_16discard_iteratorINS9_11use_defaultEEEPS5_SJ_SJ_NS9_4lessIxEEEE10hipError_tPvRmT0_T1_T2_T3_T4_T5_mmT6_P12ihipStream_tbEUlT_E_NS1_11comp_targetILNS1_3genE3ELNS1_11target_archE908ELNS1_3gpuE7ELNS1_3repE0EEENS1_30default_config_static_selectorELNS0_4arch9wavefront6targetE1EEEvSQ_, .Lfunc_end410-_ZN7rocprim17ROCPRIM_400000_NS6detail17trampoline_kernelINS0_14default_configENS1_21merge_config_selectorIxNS0_10empty_typeEEEZNS1_10merge_implIS3_N6thrust23THRUST_200600_302600_NS6detail15normal_iteratorINS9_10device_ptrIKxEEEESF_NS9_16discard_iteratorINS9_11use_defaultEEEPS5_SJ_SJ_NS9_4lessIxEEEE10hipError_tPvRmT0_T1_T2_T3_T4_T5_mmT6_P12ihipStream_tbEUlT_E_NS1_11comp_targetILNS1_3genE3ELNS1_11target_archE908ELNS1_3gpuE7ELNS1_3repE0EEENS1_30default_config_static_selectorELNS0_4arch9wavefront6targetE1EEEvSQ_
                                        ; -- End function
	.section	.AMDGPU.csdata,"",@progbits
; Kernel info:
; codeLenInByte = 0
; NumSgprs: 4
; NumVgprs: 0
; NumAgprs: 0
; TotalNumVgprs: 0
; ScratchSize: 0
; MemoryBound: 0
; FloatMode: 240
; IeeeMode: 1
; LDSByteSize: 0 bytes/workgroup (compile time only)
; SGPRBlocks: 0
; VGPRBlocks: 0
; NumSGPRsForWavesPerEU: 4
; NumVGPRsForWavesPerEU: 1
; AccumOffset: 4
; Occupancy: 8
; WaveLimiterHint : 0
; COMPUTE_PGM_RSRC2:SCRATCH_EN: 0
; COMPUTE_PGM_RSRC2:USER_SGPR: 6
; COMPUTE_PGM_RSRC2:TRAP_HANDLER: 0
; COMPUTE_PGM_RSRC2:TGID_X_EN: 1
; COMPUTE_PGM_RSRC2:TGID_Y_EN: 0
; COMPUTE_PGM_RSRC2:TGID_Z_EN: 0
; COMPUTE_PGM_RSRC2:TIDIG_COMP_CNT: 0
; COMPUTE_PGM_RSRC3_GFX90A:ACCUM_OFFSET: 0
; COMPUTE_PGM_RSRC3_GFX90A:TG_SPLIT: 0
	.section	.text._ZN7rocprim17ROCPRIM_400000_NS6detail17trampoline_kernelINS0_14default_configENS1_21merge_config_selectorIxNS0_10empty_typeEEEZNS1_10merge_implIS3_N6thrust23THRUST_200600_302600_NS6detail15normal_iteratorINS9_10device_ptrIKxEEEESF_NS9_16discard_iteratorINS9_11use_defaultEEEPS5_SJ_SJ_NS9_4lessIxEEEE10hipError_tPvRmT0_T1_T2_T3_T4_T5_mmT6_P12ihipStream_tbEUlT_E_NS1_11comp_targetILNS1_3genE2ELNS1_11target_archE906ELNS1_3gpuE6ELNS1_3repE0EEENS1_30default_config_static_selectorELNS0_4arch9wavefront6targetE1EEEvSQ_,"axG",@progbits,_ZN7rocprim17ROCPRIM_400000_NS6detail17trampoline_kernelINS0_14default_configENS1_21merge_config_selectorIxNS0_10empty_typeEEEZNS1_10merge_implIS3_N6thrust23THRUST_200600_302600_NS6detail15normal_iteratorINS9_10device_ptrIKxEEEESF_NS9_16discard_iteratorINS9_11use_defaultEEEPS5_SJ_SJ_NS9_4lessIxEEEE10hipError_tPvRmT0_T1_T2_T3_T4_T5_mmT6_P12ihipStream_tbEUlT_E_NS1_11comp_targetILNS1_3genE2ELNS1_11target_archE906ELNS1_3gpuE6ELNS1_3repE0EEENS1_30default_config_static_selectorELNS0_4arch9wavefront6targetE1EEEvSQ_,comdat
	.protected	_ZN7rocprim17ROCPRIM_400000_NS6detail17trampoline_kernelINS0_14default_configENS1_21merge_config_selectorIxNS0_10empty_typeEEEZNS1_10merge_implIS3_N6thrust23THRUST_200600_302600_NS6detail15normal_iteratorINS9_10device_ptrIKxEEEESF_NS9_16discard_iteratorINS9_11use_defaultEEEPS5_SJ_SJ_NS9_4lessIxEEEE10hipError_tPvRmT0_T1_T2_T3_T4_T5_mmT6_P12ihipStream_tbEUlT_E_NS1_11comp_targetILNS1_3genE2ELNS1_11target_archE906ELNS1_3gpuE6ELNS1_3repE0EEENS1_30default_config_static_selectorELNS0_4arch9wavefront6targetE1EEEvSQ_ ; -- Begin function _ZN7rocprim17ROCPRIM_400000_NS6detail17trampoline_kernelINS0_14default_configENS1_21merge_config_selectorIxNS0_10empty_typeEEEZNS1_10merge_implIS3_N6thrust23THRUST_200600_302600_NS6detail15normal_iteratorINS9_10device_ptrIKxEEEESF_NS9_16discard_iteratorINS9_11use_defaultEEEPS5_SJ_SJ_NS9_4lessIxEEEE10hipError_tPvRmT0_T1_T2_T3_T4_T5_mmT6_P12ihipStream_tbEUlT_E_NS1_11comp_targetILNS1_3genE2ELNS1_11target_archE906ELNS1_3gpuE6ELNS1_3repE0EEENS1_30default_config_static_selectorELNS0_4arch9wavefront6targetE1EEEvSQ_
	.globl	_ZN7rocprim17ROCPRIM_400000_NS6detail17trampoline_kernelINS0_14default_configENS1_21merge_config_selectorIxNS0_10empty_typeEEEZNS1_10merge_implIS3_N6thrust23THRUST_200600_302600_NS6detail15normal_iteratorINS9_10device_ptrIKxEEEESF_NS9_16discard_iteratorINS9_11use_defaultEEEPS5_SJ_SJ_NS9_4lessIxEEEE10hipError_tPvRmT0_T1_T2_T3_T4_T5_mmT6_P12ihipStream_tbEUlT_E_NS1_11comp_targetILNS1_3genE2ELNS1_11target_archE906ELNS1_3gpuE6ELNS1_3repE0EEENS1_30default_config_static_selectorELNS0_4arch9wavefront6targetE1EEEvSQ_
	.p2align	8
	.type	_ZN7rocprim17ROCPRIM_400000_NS6detail17trampoline_kernelINS0_14default_configENS1_21merge_config_selectorIxNS0_10empty_typeEEEZNS1_10merge_implIS3_N6thrust23THRUST_200600_302600_NS6detail15normal_iteratorINS9_10device_ptrIKxEEEESF_NS9_16discard_iteratorINS9_11use_defaultEEEPS5_SJ_SJ_NS9_4lessIxEEEE10hipError_tPvRmT0_T1_T2_T3_T4_T5_mmT6_P12ihipStream_tbEUlT_E_NS1_11comp_targetILNS1_3genE2ELNS1_11target_archE906ELNS1_3gpuE6ELNS1_3repE0EEENS1_30default_config_static_selectorELNS0_4arch9wavefront6targetE1EEEvSQ_,@function
_ZN7rocprim17ROCPRIM_400000_NS6detail17trampoline_kernelINS0_14default_configENS1_21merge_config_selectorIxNS0_10empty_typeEEEZNS1_10merge_implIS3_N6thrust23THRUST_200600_302600_NS6detail15normal_iteratorINS9_10device_ptrIKxEEEESF_NS9_16discard_iteratorINS9_11use_defaultEEEPS5_SJ_SJ_NS9_4lessIxEEEE10hipError_tPvRmT0_T1_T2_T3_T4_T5_mmT6_P12ihipStream_tbEUlT_E_NS1_11comp_targetILNS1_3genE2ELNS1_11target_archE906ELNS1_3gpuE6ELNS1_3repE0EEENS1_30default_config_static_selectorELNS0_4arch9wavefront6targetE1EEEvSQ_: ; @_ZN7rocprim17ROCPRIM_400000_NS6detail17trampoline_kernelINS0_14default_configENS1_21merge_config_selectorIxNS0_10empty_typeEEEZNS1_10merge_implIS3_N6thrust23THRUST_200600_302600_NS6detail15normal_iteratorINS9_10device_ptrIKxEEEESF_NS9_16discard_iteratorINS9_11use_defaultEEEPS5_SJ_SJ_NS9_4lessIxEEEE10hipError_tPvRmT0_T1_T2_T3_T4_T5_mmT6_P12ihipStream_tbEUlT_E_NS1_11comp_targetILNS1_3genE2ELNS1_11target_archE906ELNS1_3gpuE6ELNS1_3repE0EEENS1_30default_config_static_selectorELNS0_4arch9wavefront6targetE1EEEvSQ_
; %bb.0:
	.section	.rodata,"a",@progbits
	.p2align	6, 0x0
	.amdhsa_kernel _ZN7rocprim17ROCPRIM_400000_NS6detail17trampoline_kernelINS0_14default_configENS1_21merge_config_selectorIxNS0_10empty_typeEEEZNS1_10merge_implIS3_N6thrust23THRUST_200600_302600_NS6detail15normal_iteratorINS9_10device_ptrIKxEEEESF_NS9_16discard_iteratorINS9_11use_defaultEEEPS5_SJ_SJ_NS9_4lessIxEEEE10hipError_tPvRmT0_T1_T2_T3_T4_T5_mmT6_P12ihipStream_tbEUlT_E_NS1_11comp_targetILNS1_3genE2ELNS1_11target_archE906ELNS1_3gpuE6ELNS1_3repE0EEENS1_30default_config_static_selectorELNS0_4arch9wavefront6targetE1EEEvSQ_
		.amdhsa_group_segment_fixed_size 0
		.amdhsa_private_segment_fixed_size 0
		.amdhsa_kernarg_size 48
		.amdhsa_user_sgpr_count 6
		.amdhsa_user_sgpr_private_segment_buffer 1
		.amdhsa_user_sgpr_dispatch_ptr 0
		.amdhsa_user_sgpr_queue_ptr 0
		.amdhsa_user_sgpr_kernarg_segment_ptr 1
		.amdhsa_user_sgpr_dispatch_id 0
		.amdhsa_user_sgpr_flat_scratch_init 0
		.amdhsa_user_sgpr_kernarg_preload_length 0
		.amdhsa_user_sgpr_kernarg_preload_offset 0
		.amdhsa_user_sgpr_private_segment_size 0
		.amdhsa_uses_dynamic_stack 0
		.amdhsa_system_sgpr_private_segment_wavefront_offset 0
		.amdhsa_system_sgpr_workgroup_id_x 1
		.amdhsa_system_sgpr_workgroup_id_y 0
		.amdhsa_system_sgpr_workgroup_id_z 0
		.amdhsa_system_sgpr_workgroup_info 0
		.amdhsa_system_vgpr_workitem_id 0
		.amdhsa_next_free_vgpr 1
		.amdhsa_next_free_sgpr 0
		.amdhsa_accum_offset 4
		.amdhsa_reserve_vcc 0
		.amdhsa_reserve_flat_scratch 0
		.amdhsa_float_round_mode_32 0
		.amdhsa_float_round_mode_16_64 0
		.amdhsa_float_denorm_mode_32 3
		.amdhsa_float_denorm_mode_16_64 3
		.amdhsa_dx10_clamp 1
		.amdhsa_ieee_mode 1
		.amdhsa_fp16_overflow 0
		.amdhsa_tg_split 0
		.amdhsa_exception_fp_ieee_invalid_op 0
		.amdhsa_exception_fp_denorm_src 0
		.amdhsa_exception_fp_ieee_div_zero 0
		.amdhsa_exception_fp_ieee_overflow 0
		.amdhsa_exception_fp_ieee_underflow 0
		.amdhsa_exception_fp_ieee_inexact 0
		.amdhsa_exception_int_div_zero 0
	.end_amdhsa_kernel
	.section	.text._ZN7rocprim17ROCPRIM_400000_NS6detail17trampoline_kernelINS0_14default_configENS1_21merge_config_selectorIxNS0_10empty_typeEEEZNS1_10merge_implIS3_N6thrust23THRUST_200600_302600_NS6detail15normal_iteratorINS9_10device_ptrIKxEEEESF_NS9_16discard_iteratorINS9_11use_defaultEEEPS5_SJ_SJ_NS9_4lessIxEEEE10hipError_tPvRmT0_T1_T2_T3_T4_T5_mmT6_P12ihipStream_tbEUlT_E_NS1_11comp_targetILNS1_3genE2ELNS1_11target_archE906ELNS1_3gpuE6ELNS1_3repE0EEENS1_30default_config_static_selectorELNS0_4arch9wavefront6targetE1EEEvSQ_,"axG",@progbits,_ZN7rocprim17ROCPRIM_400000_NS6detail17trampoline_kernelINS0_14default_configENS1_21merge_config_selectorIxNS0_10empty_typeEEEZNS1_10merge_implIS3_N6thrust23THRUST_200600_302600_NS6detail15normal_iteratorINS9_10device_ptrIKxEEEESF_NS9_16discard_iteratorINS9_11use_defaultEEEPS5_SJ_SJ_NS9_4lessIxEEEE10hipError_tPvRmT0_T1_T2_T3_T4_T5_mmT6_P12ihipStream_tbEUlT_E_NS1_11comp_targetILNS1_3genE2ELNS1_11target_archE906ELNS1_3gpuE6ELNS1_3repE0EEENS1_30default_config_static_selectorELNS0_4arch9wavefront6targetE1EEEvSQ_,comdat
.Lfunc_end411:
	.size	_ZN7rocprim17ROCPRIM_400000_NS6detail17trampoline_kernelINS0_14default_configENS1_21merge_config_selectorIxNS0_10empty_typeEEEZNS1_10merge_implIS3_N6thrust23THRUST_200600_302600_NS6detail15normal_iteratorINS9_10device_ptrIKxEEEESF_NS9_16discard_iteratorINS9_11use_defaultEEEPS5_SJ_SJ_NS9_4lessIxEEEE10hipError_tPvRmT0_T1_T2_T3_T4_T5_mmT6_P12ihipStream_tbEUlT_E_NS1_11comp_targetILNS1_3genE2ELNS1_11target_archE906ELNS1_3gpuE6ELNS1_3repE0EEENS1_30default_config_static_selectorELNS0_4arch9wavefront6targetE1EEEvSQ_, .Lfunc_end411-_ZN7rocprim17ROCPRIM_400000_NS6detail17trampoline_kernelINS0_14default_configENS1_21merge_config_selectorIxNS0_10empty_typeEEEZNS1_10merge_implIS3_N6thrust23THRUST_200600_302600_NS6detail15normal_iteratorINS9_10device_ptrIKxEEEESF_NS9_16discard_iteratorINS9_11use_defaultEEEPS5_SJ_SJ_NS9_4lessIxEEEE10hipError_tPvRmT0_T1_T2_T3_T4_T5_mmT6_P12ihipStream_tbEUlT_E_NS1_11comp_targetILNS1_3genE2ELNS1_11target_archE906ELNS1_3gpuE6ELNS1_3repE0EEENS1_30default_config_static_selectorELNS0_4arch9wavefront6targetE1EEEvSQ_
                                        ; -- End function
	.section	.AMDGPU.csdata,"",@progbits
; Kernel info:
; codeLenInByte = 0
; NumSgprs: 4
; NumVgprs: 0
; NumAgprs: 0
; TotalNumVgprs: 0
; ScratchSize: 0
; MemoryBound: 0
; FloatMode: 240
; IeeeMode: 1
; LDSByteSize: 0 bytes/workgroup (compile time only)
; SGPRBlocks: 0
; VGPRBlocks: 0
; NumSGPRsForWavesPerEU: 4
; NumVGPRsForWavesPerEU: 1
; AccumOffset: 4
; Occupancy: 8
; WaveLimiterHint : 0
; COMPUTE_PGM_RSRC2:SCRATCH_EN: 0
; COMPUTE_PGM_RSRC2:USER_SGPR: 6
; COMPUTE_PGM_RSRC2:TRAP_HANDLER: 0
; COMPUTE_PGM_RSRC2:TGID_X_EN: 1
; COMPUTE_PGM_RSRC2:TGID_Y_EN: 0
; COMPUTE_PGM_RSRC2:TGID_Z_EN: 0
; COMPUTE_PGM_RSRC2:TIDIG_COMP_CNT: 0
; COMPUTE_PGM_RSRC3_GFX90A:ACCUM_OFFSET: 0
; COMPUTE_PGM_RSRC3_GFX90A:TG_SPLIT: 0
	.section	.text._ZN7rocprim17ROCPRIM_400000_NS6detail17trampoline_kernelINS0_14default_configENS1_21merge_config_selectorIxNS0_10empty_typeEEEZNS1_10merge_implIS3_N6thrust23THRUST_200600_302600_NS6detail15normal_iteratorINS9_10device_ptrIKxEEEESF_NS9_16discard_iteratorINS9_11use_defaultEEEPS5_SJ_SJ_NS9_4lessIxEEEE10hipError_tPvRmT0_T1_T2_T3_T4_T5_mmT6_P12ihipStream_tbEUlT_E_NS1_11comp_targetILNS1_3genE10ELNS1_11target_archE1201ELNS1_3gpuE5ELNS1_3repE0EEENS1_30default_config_static_selectorELNS0_4arch9wavefront6targetE1EEEvSQ_,"axG",@progbits,_ZN7rocprim17ROCPRIM_400000_NS6detail17trampoline_kernelINS0_14default_configENS1_21merge_config_selectorIxNS0_10empty_typeEEEZNS1_10merge_implIS3_N6thrust23THRUST_200600_302600_NS6detail15normal_iteratorINS9_10device_ptrIKxEEEESF_NS9_16discard_iteratorINS9_11use_defaultEEEPS5_SJ_SJ_NS9_4lessIxEEEE10hipError_tPvRmT0_T1_T2_T3_T4_T5_mmT6_P12ihipStream_tbEUlT_E_NS1_11comp_targetILNS1_3genE10ELNS1_11target_archE1201ELNS1_3gpuE5ELNS1_3repE0EEENS1_30default_config_static_selectorELNS0_4arch9wavefront6targetE1EEEvSQ_,comdat
	.protected	_ZN7rocprim17ROCPRIM_400000_NS6detail17trampoline_kernelINS0_14default_configENS1_21merge_config_selectorIxNS0_10empty_typeEEEZNS1_10merge_implIS3_N6thrust23THRUST_200600_302600_NS6detail15normal_iteratorINS9_10device_ptrIKxEEEESF_NS9_16discard_iteratorINS9_11use_defaultEEEPS5_SJ_SJ_NS9_4lessIxEEEE10hipError_tPvRmT0_T1_T2_T3_T4_T5_mmT6_P12ihipStream_tbEUlT_E_NS1_11comp_targetILNS1_3genE10ELNS1_11target_archE1201ELNS1_3gpuE5ELNS1_3repE0EEENS1_30default_config_static_selectorELNS0_4arch9wavefront6targetE1EEEvSQ_ ; -- Begin function _ZN7rocprim17ROCPRIM_400000_NS6detail17trampoline_kernelINS0_14default_configENS1_21merge_config_selectorIxNS0_10empty_typeEEEZNS1_10merge_implIS3_N6thrust23THRUST_200600_302600_NS6detail15normal_iteratorINS9_10device_ptrIKxEEEESF_NS9_16discard_iteratorINS9_11use_defaultEEEPS5_SJ_SJ_NS9_4lessIxEEEE10hipError_tPvRmT0_T1_T2_T3_T4_T5_mmT6_P12ihipStream_tbEUlT_E_NS1_11comp_targetILNS1_3genE10ELNS1_11target_archE1201ELNS1_3gpuE5ELNS1_3repE0EEENS1_30default_config_static_selectorELNS0_4arch9wavefront6targetE1EEEvSQ_
	.globl	_ZN7rocprim17ROCPRIM_400000_NS6detail17trampoline_kernelINS0_14default_configENS1_21merge_config_selectorIxNS0_10empty_typeEEEZNS1_10merge_implIS3_N6thrust23THRUST_200600_302600_NS6detail15normal_iteratorINS9_10device_ptrIKxEEEESF_NS9_16discard_iteratorINS9_11use_defaultEEEPS5_SJ_SJ_NS9_4lessIxEEEE10hipError_tPvRmT0_T1_T2_T3_T4_T5_mmT6_P12ihipStream_tbEUlT_E_NS1_11comp_targetILNS1_3genE10ELNS1_11target_archE1201ELNS1_3gpuE5ELNS1_3repE0EEENS1_30default_config_static_selectorELNS0_4arch9wavefront6targetE1EEEvSQ_
	.p2align	8
	.type	_ZN7rocprim17ROCPRIM_400000_NS6detail17trampoline_kernelINS0_14default_configENS1_21merge_config_selectorIxNS0_10empty_typeEEEZNS1_10merge_implIS3_N6thrust23THRUST_200600_302600_NS6detail15normal_iteratorINS9_10device_ptrIKxEEEESF_NS9_16discard_iteratorINS9_11use_defaultEEEPS5_SJ_SJ_NS9_4lessIxEEEE10hipError_tPvRmT0_T1_T2_T3_T4_T5_mmT6_P12ihipStream_tbEUlT_E_NS1_11comp_targetILNS1_3genE10ELNS1_11target_archE1201ELNS1_3gpuE5ELNS1_3repE0EEENS1_30default_config_static_selectorELNS0_4arch9wavefront6targetE1EEEvSQ_,@function
_ZN7rocprim17ROCPRIM_400000_NS6detail17trampoline_kernelINS0_14default_configENS1_21merge_config_selectorIxNS0_10empty_typeEEEZNS1_10merge_implIS3_N6thrust23THRUST_200600_302600_NS6detail15normal_iteratorINS9_10device_ptrIKxEEEESF_NS9_16discard_iteratorINS9_11use_defaultEEEPS5_SJ_SJ_NS9_4lessIxEEEE10hipError_tPvRmT0_T1_T2_T3_T4_T5_mmT6_P12ihipStream_tbEUlT_E_NS1_11comp_targetILNS1_3genE10ELNS1_11target_archE1201ELNS1_3gpuE5ELNS1_3repE0EEENS1_30default_config_static_selectorELNS0_4arch9wavefront6targetE1EEEvSQ_: ; @_ZN7rocprim17ROCPRIM_400000_NS6detail17trampoline_kernelINS0_14default_configENS1_21merge_config_selectorIxNS0_10empty_typeEEEZNS1_10merge_implIS3_N6thrust23THRUST_200600_302600_NS6detail15normal_iteratorINS9_10device_ptrIKxEEEESF_NS9_16discard_iteratorINS9_11use_defaultEEEPS5_SJ_SJ_NS9_4lessIxEEEE10hipError_tPvRmT0_T1_T2_T3_T4_T5_mmT6_P12ihipStream_tbEUlT_E_NS1_11comp_targetILNS1_3genE10ELNS1_11target_archE1201ELNS1_3gpuE5ELNS1_3repE0EEENS1_30default_config_static_selectorELNS0_4arch9wavefront6targetE1EEEvSQ_
; %bb.0:
	.section	.rodata,"a",@progbits
	.p2align	6, 0x0
	.amdhsa_kernel _ZN7rocprim17ROCPRIM_400000_NS6detail17trampoline_kernelINS0_14default_configENS1_21merge_config_selectorIxNS0_10empty_typeEEEZNS1_10merge_implIS3_N6thrust23THRUST_200600_302600_NS6detail15normal_iteratorINS9_10device_ptrIKxEEEESF_NS9_16discard_iteratorINS9_11use_defaultEEEPS5_SJ_SJ_NS9_4lessIxEEEE10hipError_tPvRmT0_T1_T2_T3_T4_T5_mmT6_P12ihipStream_tbEUlT_E_NS1_11comp_targetILNS1_3genE10ELNS1_11target_archE1201ELNS1_3gpuE5ELNS1_3repE0EEENS1_30default_config_static_selectorELNS0_4arch9wavefront6targetE1EEEvSQ_
		.amdhsa_group_segment_fixed_size 0
		.amdhsa_private_segment_fixed_size 0
		.amdhsa_kernarg_size 48
		.amdhsa_user_sgpr_count 6
		.amdhsa_user_sgpr_private_segment_buffer 1
		.amdhsa_user_sgpr_dispatch_ptr 0
		.amdhsa_user_sgpr_queue_ptr 0
		.amdhsa_user_sgpr_kernarg_segment_ptr 1
		.amdhsa_user_sgpr_dispatch_id 0
		.amdhsa_user_sgpr_flat_scratch_init 0
		.amdhsa_user_sgpr_kernarg_preload_length 0
		.amdhsa_user_sgpr_kernarg_preload_offset 0
		.amdhsa_user_sgpr_private_segment_size 0
		.amdhsa_uses_dynamic_stack 0
		.amdhsa_system_sgpr_private_segment_wavefront_offset 0
		.amdhsa_system_sgpr_workgroup_id_x 1
		.amdhsa_system_sgpr_workgroup_id_y 0
		.amdhsa_system_sgpr_workgroup_id_z 0
		.amdhsa_system_sgpr_workgroup_info 0
		.amdhsa_system_vgpr_workitem_id 0
		.amdhsa_next_free_vgpr 1
		.amdhsa_next_free_sgpr 0
		.amdhsa_accum_offset 4
		.amdhsa_reserve_vcc 0
		.amdhsa_reserve_flat_scratch 0
		.amdhsa_float_round_mode_32 0
		.amdhsa_float_round_mode_16_64 0
		.amdhsa_float_denorm_mode_32 3
		.amdhsa_float_denorm_mode_16_64 3
		.amdhsa_dx10_clamp 1
		.amdhsa_ieee_mode 1
		.amdhsa_fp16_overflow 0
		.amdhsa_tg_split 0
		.amdhsa_exception_fp_ieee_invalid_op 0
		.amdhsa_exception_fp_denorm_src 0
		.amdhsa_exception_fp_ieee_div_zero 0
		.amdhsa_exception_fp_ieee_overflow 0
		.amdhsa_exception_fp_ieee_underflow 0
		.amdhsa_exception_fp_ieee_inexact 0
		.amdhsa_exception_int_div_zero 0
	.end_amdhsa_kernel
	.section	.text._ZN7rocprim17ROCPRIM_400000_NS6detail17trampoline_kernelINS0_14default_configENS1_21merge_config_selectorIxNS0_10empty_typeEEEZNS1_10merge_implIS3_N6thrust23THRUST_200600_302600_NS6detail15normal_iteratorINS9_10device_ptrIKxEEEESF_NS9_16discard_iteratorINS9_11use_defaultEEEPS5_SJ_SJ_NS9_4lessIxEEEE10hipError_tPvRmT0_T1_T2_T3_T4_T5_mmT6_P12ihipStream_tbEUlT_E_NS1_11comp_targetILNS1_3genE10ELNS1_11target_archE1201ELNS1_3gpuE5ELNS1_3repE0EEENS1_30default_config_static_selectorELNS0_4arch9wavefront6targetE1EEEvSQ_,"axG",@progbits,_ZN7rocprim17ROCPRIM_400000_NS6detail17trampoline_kernelINS0_14default_configENS1_21merge_config_selectorIxNS0_10empty_typeEEEZNS1_10merge_implIS3_N6thrust23THRUST_200600_302600_NS6detail15normal_iteratorINS9_10device_ptrIKxEEEESF_NS9_16discard_iteratorINS9_11use_defaultEEEPS5_SJ_SJ_NS9_4lessIxEEEE10hipError_tPvRmT0_T1_T2_T3_T4_T5_mmT6_P12ihipStream_tbEUlT_E_NS1_11comp_targetILNS1_3genE10ELNS1_11target_archE1201ELNS1_3gpuE5ELNS1_3repE0EEENS1_30default_config_static_selectorELNS0_4arch9wavefront6targetE1EEEvSQ_,comdat
.Lfunc_end412:
	.size	_ZN7rocprim17ROCPRIM_400000_NS6detail17trampoline_kernelINS0_14default_configENS1_21merge_config_selectorIxNS0_10empty_typeEEEZNS1_10merge_implIS3_N6thrust23THRUST_200600_302600_NS6detail15normal_iteratorINS9_10device_ptrIKxEEEESF_NS9_16discard_iteratorINS9_11use_defaultEEEPS5_SJ_SJ_NS9_4lessIxEEEE10hipError_tPvRmT0_T1_T2_T3_T4_T5_mmT6_P12ihipStream_tbEUlT_E_NS1_11comp_targetILNS1_3genE10ELNS1_11target_archE1201ELNS1_3gpuE5ELNS1_3repE0EEENS1_30default_config_static_selectorELNS0_4arch9wavefront6targetE1EEEvSQ_, .Lfunc_end412-_ZN7rocprim17ROCPRIM_400000_NS6detail17trampoline_kernelINS0_14default_configENS1_21merge_config_selectorIxNS0_10empty_typeEEEZNS1_10merge_implIS3_N6thrust23THRUST_200600_302600_NS6detail15normal_iteratorINS9_10device_ptrIKxEEEESF_NS9_16discard_iteratorINS9_11use_defaultEEEPS5_SJ_SJ_NS9_4lessIxEEEE10hipError_tPvRmT0_T1_T2_T3_T4_T5_mmT6_P12ihipStream_tbEUlT_E_NS1_11comp_targetILNS1_3genE10ELNS1_11target_archE1201ELNS1_3gpuE5ELNS1_3repE0EEENS1_30default_config_static_selectorELNS0_4arch9wavefront6targetE1EEEvSQ_
                                        ; -- End function
	.section	.AMDGPU.csdata,"",@progbits
; Kernel info:
; codeLenInByte = 0
; NumSgprs: 4
; NumVgprs: 0
; NumAgprs: 0
; TotalNumVgprs: 0
; ScratchSize: 0
; MemoryBound: 0
; FloatMode: 240
; IeeeMode: 1
; LDSByteSize: 0 bytes/workgroup (compile time only)
; SGPRBlocks: 0
; VGPRBlocks: 0
; NumSGPRsForWavesPerEU: 4
; NumVGPRsForWavesPerEU: 1
; AccumOffset: 4
; Occupancy: 8
; WaveLimiterHint : 0
; COMPUTE_PGM_RSRC2:SCRATCH_EN: 0
; COMPUTE_PGM_RSRC2:USER_SGPR: 6
; COMPUTE_PGM_RSRC2:TRAP_HANDLER: 0
; COMPUTE_PGM_RSRC2:TGID_X_EN: 1
; COMPUTE_PGM_RSRC2:TGID_Y_EN: 0
; COMPUTE_PGM_RSRC2:TGID_Z_EN: 0
; COMPUTE_PGM_RSRC2:TIDIG_COMP_CNT: 0
; COMPUTE_PGM_RSRC3_GFX90A:ACCUM_OFFSET: 0
; COMPUTE_PGM_RSRC3_GFX90A:TG_SPLIT: 0
	.section	.text._ZN7rocprim17ROCPRIM_400000_NS6detail17trampoline_kernelINS0_14default_configENS1_21merge_config_selectorIxNS0_10empty_typeEEEZNS1_10merge_implIS3_N6thrust23THRUST_200600_302600_NS6detail15normal_iteratorINS9_10device_ptrIKxEEEESF_NS9_16discard_iteratorINS9_11use_defaultEEEPS5_SJ_SJ_NS9_4lessIxEEEE10hipError_tPvRmT0_T1_T2_T3_T4_T5_mmT6_P12ihipStream_tbEUlT_E_NS1_11comp_targetILNS1_3genE10ELNS1_11target_archE1200ELNS1_3gpuE4ELNS1_3repE0EEENS1_30default_config_static_selectorELNS0_4arch9wavefront6targetE1EEEvSQ_,"axG",@progbits,_ZN7rocprim17ROCPRIM_400000_NS6detail17trampoline_kernelINS0_14default_configENS1_21merge_config_selectorIxNS0_10empty_typeEEEZNS1_10merge_implIS3_N6thrust23THRUST_200600_302600_NS6detail15normal_iteratorINS9_10device_ptrIKxEEEESF_NS9_16discard_iteratorINS9_11use_defaultEEEPS5_SJ_SJ_NS9_4lessIxEEEE10hipError_tPvRmT0_T1_T2_T3_T4_T5_mmT6_P12ihipStream_tbEUlT_E_NS1_11comp_targetILNS1_3genE10ELNS1_11target_archE1200ELNS1_3gpuE4ELNS1_3repE0EEENS1_30default_config_static_selectorELNS0_4arch9wavefront6targetE1EEEvSQ_,comdat
	.protected	_ZN7rocprim17ROCPRIM_400000_NS6detail17trampoline_kernelINS0_14default_configENS1_21merge_config_selectorIxNS0_10empty_typeEEEZNS1_10merge_implIS3_N6thrust23THRUST_200600_302600_NS6detail15normal_iteratorINS9_10device_ptrIKxEEEESF_NS9_16discard_iteratorINS9_11use_defaultEEEPS5_SJ_SJ_NS9_4lessIxEEEE10hipError_tPvRmT0_T1_T2_T3_T4_T5_mmT6_P12ihipStream_tbEUlT_E_NS1_11comp_targetILNS1_3genE10ELNS1_11target_archE1200ELNS1_3gpuE4ELNS1_3repE0EEENS1_30default_config_static_selectorELNS0_4arch9wavefront6targetE1EEEvSQ_ ; -- Begin function _ZN7rocprim17ROCPRIM_400000_NS6detail17trampoline_kernelINS0_14default_configENS1_21merge_config_selectorIxNS0_10empty_typeEEEZNS1_10merge_implIS3_N6thrust23THRUST_200600_302600_NS6detail15normal_iteratorINS9_10device_ptrIKxEEEESF_NS9_16discard_iteratorINS9_11use_defaultEEEPS5_SJ_SJ_NS9_4lessIxEEEE10hipError_tPvRmT0_T1_T2_T3_T4_T5_mmT6_P12ihipStream_tbEUlT_E_NS1_11comp_targetILNS1_3genE10ELNS1_11target_archE1200ELNS1_3gpuE4ELNS1_3repE0EEENS1_30default_config_static_selectorELNS0_4arch9wavefront6targetE1EEEvSQ_
	.globl	_ZN7rocprim17ROCPRIM_400000_NS6detail17trampoline_kernelINS0_14default_configENS1_21merge_config_selectorIxNS0_10empty_typeEEEZNS1_10merge_implIS3_N6thrust23THRUST_200600_302600_NS6detail15normal_iteratorINS9_10device_ptrIKxEEEESF_NS9_16discard_iteratorINS9_11use_defaultEEEPS5_SJ_SJ_NS9_4lessIxEEEE10hipError_tPvRmT0_T1_T2_T3_T4_T5_mmT6_P12ihipStream_tbEUlT_E_NS1_11comp_targetILNS1_3genE10ELNS1_11target_archE1200ELNS1_3gpuE4ELNS1_3repE0EEENS1_30default_config_static_selectorELNS0_4arch9wavefront6targetE1EEEvSQ_
	.p2align	8
	.type	_ZN7rocprim17ROCPRIM_400000_NS6detail17trampoline_kernelINS0_14default_configENS1_21merge_config_selectorIxNS0_10empty_typeEEEZNS1_10merge_implIS3_N6thrust23THRUST_200600_302600_NS6detail15normal_iteratorINS9_10device_ptrIKxEEEESF_NS9_16discard_iteratorINS9_11use_defaultEEEPS5_SJ_SJ_NS9_4lessIxEEEE10hipError_tPvRmT0_T1_T2_T3_T4_T5_mmT6_P12ihipStream_tbEUlT_E_NS1_11comp_targetILNS1_3genE10ELNS1_11target_archE1200ELNS1_3gpuE4ELNS1_3repE0EEENS1_30default_config_static_selectorELNS0_4arch9wavefront6targetE1EEEvSQ_,@function
_ZN7rocprim17ROCPRIM_400000_NS6detail17trampoline_kernelINS0_14default_configENS1_21merge_config_selectorIxNS0_10empty_typeEEEZNS1_10merge_implIS3_N6thrust23THRUST_200600_302600_NS6detail15normal_iteratorINS9_10device_ptrIKxEEEESF_NS9_16discard_iteratorINS9_11use_defaultEEEPS5_SJ_SJ_NS9_4lessIxEEEE10hipError_tPvRmT0_T1_T2_T3_T4_T5_mmT6_P12ihipStream_tbEUlT_E_NS1_11comp_targetILNS1_3genE10ELNS1_11target_archE1200ELNS1_3gpuE4ELNS1_3repE0EEENS1_30default_config_static_selectorELNS0_4arch9wavefront6targetE1EEEvSQ_: ; @_ZN7rocprim17ROCPRIM_400000_NS6detail17trampoline_kernelINS0_14default_configENS1_21merge_config_selectorIxNS0_10empty_typeEEEZNS1_10merge_implIS3_N6thrust23THRUST_200600_302600_NS6detail15normal_iteratorINS9_10device_ptrIKxEEEESF_NS9_16discard_iteratorINS9_11use_defaultEEEPS5_SJ_SJ_NS9_4lessIxEEEE10hipError_tPvRmT0_T1_T2_T3_T4_T5_mmT6_P12ihipStream_tbEUlT_E_NS1_11comp_targetILNS1_3genE10ELNS1_11target_archE1200ELNS1_3gpuE4ELNS1_3repE0EEENS1_30default_config_static_selectorELNS0_4arch9wavefront6targetE1EEEvSQ_
; %bb.0:
	.section	.rodata,"a",@progbits
	.p2align	6, 0x0
	.amdhsa_kernel _ZN7rocprim17ROCPRIM_400000_NS6detail17trampoline_kernelINS0_14default_configENS1_21merge_config_selectorIxNS0_10empty_typeEEEZNS1_10merge_implIS3_N6thrust23THRUST_200600_302600_NS6detail15normal_iteratorINS9_10device_ptrIKxEEEESF_NS9_16discard_iteratorINS9_11use_defaultEEEPS5_SJ_SJ_NS9_4lessIxEEEE10hipError_tPvRmT0_T1_T2_T3_T4_T5_mmT6_P12ihipStream_tbEUlT_E_NS1_11comp_targetILNS1_3genE10ELNS1_11target_archE1200ELNS1_3gpuE4ELNS1_3repE0EEENS1_30default_config_static_selectorELNS0_4arch9wavefront6targetE1EEEvSQ_
		.amdhsa_group_segment_fixed_size 0
		.amdhsa_private_segment_fixed_size 0
		.amdhsa_kernarg_size 48
		.amdhsa_user_sgpr_count 6
		.amdhsa_user_sgpr_private_segment_buffer 1
		.amdhsa_user_sgpr_dispatch_ptr 0
		.amdhsa_user_sgpr_queue_ptr 0
		.amdhsa_user_sgpr_kernarg_segment_ptr 1
		.amdhsa_user_sgpr_dispatch_id 0
		.amdhsa_user_sgpr_flat_scratch_init 0
		.amdhsa_user_sgpr_kernarg_preload_length 0
		.amdhsa_user_sgpr_kernarg_preload_offset 0
		.amdhsa_user_sgpr_private_segment_size 0
		.amdhsa_uses_dynamic_stack 0
		.amdhsa_system_sgpr_private_segment_wavefront_offset 0
		.amdhsa_system_sgpr_workgroup_id_x 1
		.amdhsa_system_sgpr_workgroup_id_y 0
		.amdhsa_system_sgpr_workgroup_id_z 0
		.amdhsa_system_sgpr_workgroup_info 0
		.amdhsa_system_vgpr_workitem_id 0
		.amdhsa_next_free_vgpr 1
		.amdhsa_next_free_sgpr 0
		.amdhsa_accum_offset 4
		.amdhsa_reserve_vcc 0
		.amdhsa_reserve_flat_scratch 0
		.amdhsa_float_round_mode_32 0
		.amdhsa_float_round_mode_16_64 0
		.amdhsa_float_denorm_mode_32 3
		.amdhsa_float_denorm_mode_16_64 3
		.amdhsa_dx10_clamp 1
		.amdhsa_ieee_mode 1
		.amdhsa_fp16_overflow 0
		.amdhsa_tg_split 0
		.amdhsa_exception_fp_ieee_invalid_op 0
		.amdhsa_exception_fp_denorm_src 0
		.amdhsa_exception_fp_ieee_div_zero 0
		.amdhsa_exception_fp_ieee_overflow 0
		.amdhsa_exception_fp_ieee_underflow 0
		.amdhsa_exception_fp_ieee_inexact 0
		.amdhsa_exception_int_div_zero 0
	.end_amdhsa_kernel
	.section	.text._ZN7rocprim17ROCPRIM_400000_NS6detail17trampoline_kernelINS0_14default_configENS1_21merge_config_selectorIxNS0_10empty_typeEEEZNS1_10merge_implIS3_N6thrust23THRUST_200600_302600_NS6detail15normal_iteratorINS9_10device_ptrIKxEEEESF_NS9_16discard_iteratorINS9_11use_defaultEEEPS5_SJ_SJ_NS9_4lessIxEEEE10hipError_tPvRmT0_T1_T2_T3_T4_T5_mmT6_P12ihipStream_tbEUlT_E_NS1_11comp_targetILNS1_3genE10ELNS1_11target_archE1200ELNS1_3gpuE4ELNS1_3repE0EEENS1_30default_config_static_selectorELNS0_4arch9wavefront6targetE1EEEvSQ_,"axG",@progbits,_ZN7rocprim17ROCPRIM_400000_NS6detail17trampoline_kernelINS0_14default_configENS1_21merge_config_selectorIxNS0_10empty_typeEEEZNS1_10merge_implIS3_N6thrust23THRUST_200600_302600_NS6detail15normal_iteratorINS9_10device_ptrIKxEEEESF_NS9_16discard_iteratorINS9_11use_defaultEEEPS5_SJ_SJ_NS9_4lessIxEEEE10hipError_tPvRmT0_T1_T2_T3_T4_T5_mmT6_P12ihipStream_tbEUlT_E_NS1_11comp_targetILNS1_3genE10ELNS1_11target_archE1200ELNS1_3gpuE4ELNS1_3repE0EEENS1_30default_config_static_selectorELNS0_4arch9wavefront6targetE1EEEvSQ_,comdat
.Lfunc_end413:
	.size	_ZN7rocprim17ROCPRIM_400000_NS6detail17trampoline_kernelINS0_14default_configENS1_21merge_config_selectorIxNS0_10empty_typeEEEZNS1_10merge_implIS3_N6thrust23THRUST_200600_302600_NS6detail15normal_iteratorINS9_10device_ptrIKxEEEESF_NS9_16discard_iteratorINS9_11use_defaultEEEPS5_SJ_SJ_NS9_4lessIxEEEE10hipError_tPvRmT0_T1_T2_T3_T4_T5_mmT6_P12ihipStream_tbEUlT_E_NS1_11comp_targetILNS1_3genE10ELNS1_11target_archE1200ELNS1_3gpuE4ELNS1_3repE0EEENS1_30default_config_static_selectorELNS0_4arch9wavefront6targetE1EEEvSQ_, .Lfunc_end413-_ZN7rocprim17ROCPRIM_400000_NS6detail17trampoline_kernelINS0_14default_configENS1_21merge_config_selectorIxNS0_10empty_typeEEEZNS1_10merge_implIS3_N6thrust23THRUST_200600_302600_NS6detail15normal_iteratorINS9_10device_ptrIKxEEEESF_NS9_16discard_iteratorINS9_11use_defaultEEEPS5_SJ_SJ_NS9_4lessIxEEEE10hipError_tPvRmT0_T1_T2_T3_T4_T5_mmT6_P12ihipStream_tbEUlT_E_NS1_11comp_targetILNS1_3genE10ELNS1_11target_archE1200ELNS1_3gpuE4ELNS1_3repE0EEENS1_30default_config_static_selectorELNS0_4arch9wavefront6targetE1EEEvSQ_
                                        ; -- End function
	.section	.AMDGPU.csdata,"",@progbits
; Kernel info:
; codeLenInByte = 0
; NumSgprs: 4
; NumVgprs: 0
; NumAgprs: 0
; TotalNumVgprs: 0
; ScratchSize: 0
; MemoryBound: 0
; FloatMode: 240
; IeeeMode: 1
; LDSByteSize: 0 bytes/workgroup (compile time only)
; SGPRBlocks: 0
; VGPRBlocks: 0
; NumSGPRsForWavesPerEU: 4
; NumVGPRsForWavesPerEU: 1
; AccumOffset: 4
; Occupancy: 8
; WaveLimiterHint : 0
; COMPUTE_PGM_RSRC2:SCRATCH_EN: 0
; COMPUTE_PGM_RSRC2:USER_SGPR: 6
; COMPUTE_PGM_RSRC2:TRAP_HANDLER: 0
; COMPUTE_PGM_RSRC2:TGID_X_EN: 1
; COMPUTE_PGM_RSRC2:TGID_Y_EN: 0
; COMPUTE_PGM_RSRC2:TGID_Z_EN: 0
; COMPUTE_PGM_RSRC2:TIDIG_COMP_CNT: 0
; COMPUTE_PGM_RSRC3_GFX90A:ACCUM_OFFSET: 0
; COMPUTE_PGM_RSRC3_GFX90A:TG_SPLIT: 0
	.section	.text._ZN7rocprim17ROCPRIM_400000_NS6detail17trampoline_kernelINS0_14default_configENS1_21merge_config_selectorIxNS0_10empty_typeEEEZNS1_10merge_implIS3_N6thrust23THRUST_200600_302600_NS6detail15normal_iteratorINS9_10device_ptrIKxEEEESF_NS9_16discard_iteratorINS9_11use_defaultEEEPS5_SJ_SJ_NS9_4lessIxEEEE10hipError_tPvRmT0_T1_T2_T3_T4_T5_mmT6_P12ihipStream_tbEUlT_E_NS1_11comp_targetILNS1_3genE9ELNS1_11target_archE1100ELNS1_3gpuE3ELNS1_3repE0EEENS1_30default_config_static_selectorELNS0_4arch9wavefront6targetE1EEEvSQ_,"axG",@progbits,_ZN7rocprim17ROCPRIM_400000_NS6detail17trampoline_kernelINS0_14default_configENS1_21merge_config_selectorIxNS0_10empty_typeEEEZNS1_10merge_implIS3_N6thrust23THRUST_200600_302600_NS6detail15normal_iteratorINS9_10device_ptrIKxEEEESF_NS9_16discard_iteratorINS9_11use_defaultEEEPS5_SJ_SJ_NS9_4lessIxEEEE10hipError_tPvRmT0_T1_T2_T3_T4_T5_mmT6_P12ihipStream_tbEUlT_E_NS1_11comp_targetILNS1_3genE9ELNS1_11target_archE1100ELNS1_3gpuE3ELNS1_3repE0EEENS1_30default_config_static_selectorELNS0_4arch9wavefront6targetE1EEEvSQ_,comdat
	.protected	_ZN7rocprim17ROCPRIM_400000_NS6detail17trampoline_kernelINS0_14default_configENS1_21merge_config_selectorIxNS0_10empty_typeEEEZNS1_10merge_implIS3_N6thrust23THRUST_200600_302600_NS6detail15normal_iteratorINS9_10device_ptrIKxEEEESF_NS9_16discard_iteratorINS9_11use_defaultEEEPS5_SJ_SJ_NS9_4lessIxEEEE10hipError_tPvRmT0_T1_T2_T3_T4_T5_mmT6_P12ihipStream_tbEUlT_E_NS1_11comp_targetILNS1_3genE9ELNS1_11target_archE1100ELNS1_3gpuE3ELNS1_3repE0EEENS1_30default_config_static_selectorELNS0_4arch9wavefront6targetE1EEEvSQ_ ; -- Begin function _ZN7rocprim17ROCPRIM_400000_NS6detail17trampoline_kernelINS0_14default_configENS1_21merge_config_selectorIxNS0_10empty_typeEEEZNS1_10merge_implIS3_N6thrust23THRUST_200600_302600_NS6detail15normal_iteratorINS9_10device_ptrIKxEEEESF_NS9_16discard_iteratorINS9_11use_defaultEEEPS5_SJ_SJ_NS9_4lessIxEEEE10hipError_tPvRmT0_T1_T2_T3_T4_T5_mmT6_P12ihipStream_tbEUlT_E_NS1_11comp_targetILNS1_3genE9ELNS1_11target_archE1100ELNS1_3gpuE3ELNS1_3repE0EEENS1_30default_config_static_selectorELNS0_4arch9wavefront6targetE1EEEvSQ_
	.globl	_ZN7rocprim17ROCPRIM_400000_NS6detail17trampoline_kernelINS0_14default_configENS1_21merge_config_selectorIxNS0_10empty_typeEEEZNS1_10merge_implIS3_N6thrust23THRUST_200600_302600_NS6detail15normal_iteratorINS9_10device_ptrIKxEEEESF_NS9_16discard_iteratorINS9_11use_defaultEEEPS5_SJ_SJ_NS9_4lessIxEEEE10hipError_tPvRmT0_T1_T2_T3_T4_T5_mmT6_P12ihipStream_tbEUlT_E_NS1_11comp_targetILNS1_3genE9ELNS1_11target_archE1100ELNS1_3gpuE3ELNS1_3repE0EEENS1_30default_config_static_selectorELNS0_4arch9wavefront6targetE1EEEvSQ_
	.p2align	8
	.type	_ZN7rocprim17ROCPRIM_400000_NS6detail17trampoline_kernelINS0_14default_configENS1_21merge_config_selectorIxNS0_10empty_typeEEEZNS1_10merge_implIS3_N6thrust23THRUST_200600_302600_NS6detail15normal_iteratorINS9_10device_ptrIKxEEEESF_NS9_16discard_iteratorINS9_11use_defaultEEEPS5_SJ_SJ_NS9_4lessIxEEEE10hipError_tPvRmT0_T1_T2_T3_T4_T5_mmT6_P12ihipStream_tbEUlT_E_NS1_11comp_targetILNS1_3genE9ELNS1_11target_archE1100ELNS1_3gpuE3ELNS1_3repE0EEENS1_30default_config_static_selectorELNS0_4arch9wavefront6targetE1EEEvSQ_,@function
_ZN7rocprim17ROCPRIM_400000_NS6detail17trampoline_kernelINS0_14default_configENS1_21merge_config_selectorIxNS0_10empty_typeEEEZNS1_10merge_implIS3_N6thrust23THRUST_200600_302600_NS6detail15normal_iteratorINS9_10device_ptrIKxEEEESF_NS9_16discard_iteratorINS9_11use_defaultEEEPS5_SJ_SJ_NS9_4lessIxEEEE10hipError_tPvRmT0_T1_T2_T3_T4_T5_mmT6_P12ihipStream_tbEUlT_E_NS1_11comp_targetILNS1_3genE9ELNS1_11target_archE1100ELNS1_3gpuE3ELNS1_3repE0EEENS1_30default_config_static_selectorELNS0_4arch9wavefront6targetE1EEEvSQ_: ; @_ZN7rocprim17ROCPRIM_400000_NS6detail17trampoline_kernelINS0_14default_configENS1_21merge_config_selectorIxNS0_10empty_typeEEEZNS1_10merge_implIS3_N6thrust23THRUST_200600_302600_NS6detail15normal_iteratorINS9_10device_ptrIKxEEEESF_NS9_16discard_iteratorINS9_11use_defaultEEEPS5_SJ_SJ_NS9_4lessIxEEEE10hipError_tPvRmT0_T1_T2_T3_T4_T5_mmT6_P12ihipStream_tbEUlT_E_NS1_11comp_targetILNS1_3genE9ELNS1_11target_archE1100ELNS1_3gpuE3ELNS1_3repE0EEENS1_30default_config_static_selectorELNS0_4arch9wavefront6targetE1EEEvSQ_
; %bb.0:
	.section	.rodata,"a",@progbits
	.p2align	6, 0x0
	.amdhsa_kernel _ZN7rocprim17ROCPRIM_400000_NS6detail17trampoline_kernelINS0_14default_configENS1_21merge_config_selectorIxNS0_10empty_typeEEEZNS1_10merge_implIS3_N6thrust23THRUST_200600_302600_NS6detail15normal_iteratorINS9_10device_ptrIKxEEEESF_NS9_16discard_iteratorINS9_11use_defaultEEEPS5_SJ_SJ_NS9_4lessIxEEEE10hipError_tPvRmT0_T1_T2_T3_T4_T5_mmT6_P12ihipStream_tbEUlT_E_NS1_11comp_targetILNS1_3genE9ELNS1_11target_archE1100ELNS1_3gpuE3ELNS1_3repE0EEENS1_30default_config_static_selectorELNS0_4arch9wavefront6targetE1EEEvSQ_
		.amdhsa_group_segment_fixed_size 0
		.amdhsa_private_segment_fixed_size 0
		.amdhsa_kernarg_size 48
		.amdhsa_user_sgpr_count 6
		.amdhsa_user_sgpr_private_segment_buffer 1
		.amdhsa_user_sgpr_dispatch_ptr 0
		.amdhsa_user_sgpr_queue_ptr 0
		.amdhsa_user_sgpr_kernarg_segment_ptr 1
		.amdhsa_user_sgpr_dispatch_id 0
		.amdhsa_user_sgpr_flat_scratch_init 0
		.amdhsa_user_sgpr_kernarg_preload_length 0
		.amdhsa_user_sgpr_kernarg_preload_offset 0
		.amdhsa_user_sgpr_private_segment_size 0
		.amdhsa_uses_dynamic_stack 0
		.amdhsa_system_sgpr_private_segment_wavefront_offset 0
		.amdhsa_system_sgpr_workgroup_id_x 1
		.amdhsa_system_sgpr_workgroup_id_y 0
		.amdhsa_system_sgpr_workgroup_id_z 0
		.amdhsa_system_sgpr_workgroup_info 0
		.amdhsa_system_vgpr_workitem_id 0
		.amdhsa_next_free_vgpr 1
		.amdhsa_next_free_sgpr 0
		.amdhsa_accum_offset 4
		.amdhsa_reserve_vcc 0
		.amdhsa_reserve_flat_scratch 0
		.amdhsa_float_round_mode_32 0
		.amdhsa_float_round_mode_16_64 0
		.amdhsa_float_denorm_mode_32 3
		.amdhsa_float_denorm_mode_16_64 3
		.amdhsa_dx10_clamp 1
		.amdhsa_ieee_mode 1
		.amdhsa_fp16_overflow 0
		.amdhsa_tg_split 0
		.amdhsa_exception_fp_ieee_invalid_op 0
		.amdhsa_exception_fp_denorm_src 0
		.amdhsa_exception_fp_ieee_div_zero 0
		.amdhsa_exception_fp_ieee_overflow 0
		.amdhsa_exception_fp_ieee_underflow 0
		.amdhsa_exception_fp_ieee_inexact 0
		.amdhsa_exception_int_div_zero 0
	.end_amdhsa_kernel
	.section	.text._ZN7rocprim17ROCPRIM_400000_NS6detail17trampoline_kernelINS0_14default_configENS1_21merge_config_selectorIxNS0_10empty_typeEEEZNS1_10merge_implIS3_N6thrust23THRUST_200600_302600_NS6detail15normal_iteratorINS9_10device_ptrIKxEEEESF_NS9_16discard_iteratorINS9_11use_defaultEEEPS5_SJ_SJ_NS9_4lessIxEEEE10hipError_tPvRmT0_T1_T2_T3_T4_T5_mmT6_P12ihipStream_tbEUlT_E_NS1_11comp_targetILNS1_3genE9ELNS1_11target_archE1100ELNS1_3gpuE3ELNS1_3repE0EEENS1_30default_config_static_selectorELNS0_4arch9wavefront6targetE1EEEvSQ_,"axG",@progbits,_ZN7rocprim17ROCPRIM_400000_NS6detail17trampoline_kernelINS0_14default_configENS1_21merge_config_selectorIxNS0_10empty_typeEEEZNS1_10merge_implIS3_N6thrust23THRUST_200600_302600_NS6detail15normal_iteratorINS9_10device_ptrIKxEEEESF_NS9_16discard_iteratorINS9_11use_defaultEEEPS5_SJ_SJ_NS9_4lessIxEEEE10hipError_tPvRmT0_T1_T2_T3_T4_T5_mmT6_P12ihipStream_tbEUlT_E_NS1_11comp_targetILNS1_3genE9ELNS1_11target_archE1100ELNS1_3gpuE3ELNS1_3repE0EEENS1_30default_config_static_selectorELNS0_4arch9wavefront6targetE1EEEvSQ_,comdat
.Lfunc_end414:
	.size	_ZN7rocprim17ROCPRIM_400000_NS6detail17trampoline_kernelINS0_14default_configENS1_21merge_config_selectorIxNS0_10empty_typeEEEZNS1_10merge_implIS3_N6thrust23THRUST_200600_302600_NS6detail15normal_iteratorINS9_10device_ptrIKxEEEESF_NS9_16discard_iteratorINS9_11use_defaultEEEPS5_SJ_SJ_NS9_4lessIxEEEE10hipError_tPvRmT0_T1_T2_T3_T4_T5_mmT6_P12ihipStream_tbEUlT_E_NS1_11comp_targetILNS1_3genE9ELNS1_11target_archE1100ELNS1_3gpuE3ELNS1_3repE0EEENS1_30default_config_static_selectorELNS0_4arch9wavefront6targetE1EEEvSQ_, .Lfunc_end414-_ZN7rocprim17ROCPRIM_400000_NS6detail17trampoline_kernelINS0_14default_configENS1_21merge_config_selectorIxNS0_10empty_typeEEEZNS1_10merge_implIS3_N6thrust23THRUST_200600_302600_NS6detail15normal_iteratorINS9_10device_ptrIKxEEEESF_NS9_16discard_iteratorINS9_11use_defaultEEEPS5_SJ_SJ_NS9_4lessIxEEEE10hipError_tPvRmT0_T1_T2_T3_T4_T5_mmT6_P12ihipStream_tbEUlT_E_NS1_11comp_targetILNS1_3genE9ELNS1_11target_archE1100ELNS1_3gpuE3ELNS1_3repE0EEENS1_30default_config_static_selectorELNS0_4arch9wavefront6targetE1EEEvSQ_
                                        ; -- End function
	.section	.AMDGPU.csdata,"",@progbits
; Kernel info:
; codeLenInByte = 0
; NumSgprs: 4
; NumVgprs: 0
; NumAgprs: 0
; TotalNumVgprs: 0
; ScratchSize: 0
; MemoryBound: 0
; FloatMode: 240
; IeeeMode: 1
; LDSByteSize: 0 bytes/workgroup (compile time only)
; SGPRBlocks: 0
; VGPRBlocks: 0
; NumSGPRsForWavesPerEU: 4
; NumVGPRsForWavesPerEU: 1
; AccumOffset: 4
; Occupancy: 8
; WaveLimiterHint : 0
; COMPUTE_PGM_RSRC2:SCRATCH_EN: 0
; COMPUTE_PGM_RSRC2:USER_SGPR: 6
; COMPUTE_PGM_RSRC2:TRAP_HANDLER: 0
; COMPUTE_PGM_RSRC2:TGID_X_EN: 1
; COMPUTE_PGM_RSRC2:TGID_Y_EN: 0
; COMPUTE_PGM_RSRC2:TGID_Z_EN: 0
; COMPUTE_PGM_RSRC2:TIDIG_COMP_CNT: 0
; COMPUTE_PGM_RSRC3_GFX90A:ACCUM_OFFSET: 0
; COMPUTE_PGM_RSRC3_GFX90A:TG_SPLIT: 0
	.section	.text._ZN7rocprim17ROCPRIM_400000_NS6detail17trampoline_kernelINS0_14default_configENS1_21merge_config_selectorIxNS0_10empty_typeEEEZNS1_10merge_implIS3_N6thrust23THRUST_200600_302600_NS6detail15normal_iteratorINS9_10device_ptrIKxEEEESF_NS9_16discard_iteratorINS9_11use_defaultEEEPS5_SJ_SJ_NS9_4lessIxEEEE10hipError_tPvRmT0_T1_T2_T3_T4_T5_mmT6_P12ihipStream_tbEUlT_E_NS1_11comp_targetILNS1_3genE8ELNS1_11target_archE1030ELNS1_3gpuE2ELNS1_3repE0EEENS1_30default_config_static_selectorELNS0_4arch9wavefront6targetE1EEEvSQ_,"axG",@progbits,_ZN7rocprim17ROCPRIM_400000_NS6detail17trampoline_kernelINS0_14default_configENS1_21merge_config_selectorIxNS0_10empty_typeEEEZNS1_10merge_implIS3_N6thrust23THRUST_200600_302600_NS6detail15normal_iteratorINS9_10device_ptrIKxEEEESF_NS9_16discard_iteratorINS9_11use_defaultEEEPS5_SJ_SJ_NS9_4lessIxEEEE10hipError_tPvRmT0_T1_T2_T3_T4_T5_mmT6_P12ihipStream_tbEUlT_E_NS1_11comp_targetILNS1_3genE8ELNS1_11target_archE1030ELNS1_3gpuE2ELNS1_3repE0EEENS1_30default_config_static_selectorELNS0_4arch9wavefront6targetE1EEEvSQ_,comdat
	.protected	_ZN7rocprim17ROCPRIM_400000_NS6detail17trampoline_kernelINS0_14default_configENS1_21merge_config_selectorIxNS0_10empty_typeEEEZNS1_10merge_implIS3_N6thrust23THRUST_200600_302600_NS6detail15normal_iteratorINS9_10device_ptrIKxEEEESF_NS9_16discard_iteratorINS9_11use_defaultEEEPS5_SJ_SJ_NS9_4lessIxEEEE10hipError_tPvRmT0_T1_T2_T3_T4_T5_mmT6_P12ihipStream_tbEUlT_E_NS1_11comp_targetILNS1_3genE8ELNS1_11target_archE1030ELNS1_3gpuE2ELNS1_3repE0EEENS1_30default_config_static_selectorELNS0_4arch9wavefront6targetE1EEEvSQ_ ; -- Begin function _ZN7rocprim17ROCPRIM_400000_NS6detail17trampoline_kernelINS0_14default_configENS1_21merge_config_selectorIxNS0_10empty_typeEEEZNS1_10merge_implIS3_N6thrust23THRUST_200600_302600_NS6detail15normal_iteratorINS9_10device_ptrIKxEEEESF_NS9_16discard_iteratorINS9_11use_defaultEEEPS5_SJ_SJ_NS9_4lessIxEEEE10hipError_tPvRmT0_T1_T2_T3_T4_T5_mmT6_P12ihipStream_tbEUlT_E_NS1_11comp_targetILNS1_3genE8ELNS1_11target_archE1030ELNS1_3gpuE2ELNS1_3repE0EEENS1_30default_config_static_selectorELNS0_4arch9wavefront6targetE1EEEvSQ_
	.globl	_ZN7rocprim17ROCPRIM_400000_NS6detail17trampoline_kernelINS0_14default_configENS1_21merge_config_selectorIxNS0_10empty_typeEEEZNS1_10merge_implIS3_N6thrust23THRUST_200600_302600_NS6detail15normal_iteratorINS9_10device_ptrIKxEEEESF_NS9_16discard_iteratorINS9_11use_defaultEEEPS5_SJ_SJ_NS9_4lessIxEEEE10hipError_tPvRmT0_T1_T2_T3_T4_T5_mmT6_P12ihipStream_tbEUlT_E_NS1_11comp_targetILNS1_3genE8ELNS1_11target_archE1030ELNS1_3gpuE2ELNS1_3repE0EEENS1_30default_config_static_selectorELNS0_4arch9wavefront6targetE1EEEvSQ_
	.p2align	8
	.type	_ZN7rocprim17ROCPRIM_400000_NS6detail17trampoline_kernelINS0_14default_configENS1_21merge_config_selectorIxNS0_10empty_typeEEEZNS1_10merge_implIS3_N6thrust23THRUST_200600_302600_NS6detail15normal_iteratorINS9_10device_ptrIKxEEEESF_NS9_16discard_iteratorINS9_11use_defaultEEEPS5_SJ_SJ_NS9_4lessIxEEEE10hipError_tPvRmT0_T1_T2_T3_T4_T5_mmT6_P12ihipStream_tbEUlT_E_NS1_11comp_targetILNS1_3genE8ELNS1_11target_archE1030ELNS1_3gpuE2ELNS1_3repE0EEENS1_30default_config_static_selectorELNS0_4arch9wavefront6targetE1EEEvSQ_,@function
_ZN7rocprim17ROCPRIM_400000_NS6detail17trampoline_kernelINS0_14default_configENS1_21merge_config_selectorIxNS0_10empty_typeEEEZNS1_10merge_implIS3_N6thrust23THRUST_200600_302600_NS6detail15normal_iteratorINS9_10device_ptrIKxEEEESF_NS9_16discard_iteratorINS9_11use_defaultEEEPS5_SJ_SJ_NS9_4lessIxEEEE10hipError_tPvRmT0_T1_T2_T3_T4_T5_mmT6_P12ihipStream_tbEUlT_E_NS1_11comp_targetILNS1_3genE8ELNS1_11target_archE1030ELNS1_3gpuE2ELNS1_3repE0EEENS1_30default_config_static_selectorELNS0_4arch9wavefront6targetE1EEEvSQ_: ; @_ZN7rocprim17ROCPRIM_400000_NS6detail17trampoline_kernelINS0_14default_configENS1_21merge_config_selectorIxNS0_10empty_typeEEEZNS1_10merge_implIS3_N6thrust23THRUST_200600_302600_NS6detail15normal_iteratorINS9_10device_ptrIKxEEEESF_NS9_16discard_iteratorINS9_11use_defaultEEEPS5_SJ_SJ_NS9_4lessIxEEEE10hipError_tPvRmT0_T1_T2_T3_T4_T5_mmT6_P12ihipStream_tbEUlT_E_NS1_11comp_targetILNS1_3genE8ELNS1_11target_archE1030ELNS1_3gpuE2ELNS1_3repE0EEENS1_30default_config_static_selectorELNS0_4arch9wavefront6targetE1EEEvSQ_
; %bb.0:
	.section	.rodata,"a",@progbits
	.p2align	6, 0x0
	.amdhsa_kernel _ZN7rocprim17ROCPRIM_400000_NS6detail17trampoline_kernelINS0_14default_configENS1_21merge_config_selectorIxNS0_10empty_typeEEEZNS1_10merge_implIS3_N6thrust23THRUST_200600_302600_NS6detail15normal_iteratorINS9_10device_ptrIKxEEEESF_NS9_16discard_iteratorINS9_11use_defaultEEEPS5_SJ_SJ_NS9_4lessIxEEEE10hipError_tPvRmT0_T1_T2_T3_T4_T5_mmT6_P12ihipStream_tbEUlT_E_NS1_11comp_targetILNS1_3genE8ELNS1_11target_archE1030ELNS1_3gpuE2ELNS1_3repE0EEENS1_30default_config_static_selectorELNS0_4arch9wavefront6targetE1EEEvSQ_
		.amdhsa_group_segment_fixed_size 0
		.amdhsa_private_segment_fixed_size 0
		.amdhsa_kernarg_size 48
		.amdhsa_user_sgpr_count 6
		.amdhsa_user_sgpr_private_segment_buffer 1
		.amdhsa_user_sgpr_dispatch_ptr 0
		.amdhsa_user_sgpr_queue_ptr 0
		.amdhsa_user_sgpr_kernarg_segment_ptr 1
		.amdhsa_user_sgpr_dispatch_id 0
		.amdhsa_user_sgpr_flat_scratch_init 0
		.amdhsa_user_sgpr_kernarg_preload_length 0
		.amdhsa_user_sgpr_kernarg_preload_offset 0
		.amdhsa_user_sgpr_private_segment_size 0
		.amdhsa_uses_dynamic_stack 0
		.amdhsa_system_sgpr_private_segment_wavefront_offset 0
		.amdhsa_system_sgpr_workgroup_id_x 1
		.amdhsa_system_sgpr_workgroup_id_y 0
		.amdhsa_system_sgpr_workgroup_id_z 0
		.amdhsa_system_sgpr_workgroup_info 0
		.amdhsa_system_vgpr_workitem_id 0
		.amdhsa_next_free_vgpr 1
		.amdhsa_next_free_sgpr 0
		.amdhsa_accum_offset 4
		.amdhsa_reserve_vcc 0
		.amdhsa_reserve_flat_scratch 0
		.amdhsa_float_round_mode_32 0
		.amdhsa_float_round_mode_16_64 0
		.amdhsa_float_denorm_mode_32 3
		.amdhsa_float_denorm_mode_16_64 3
		.amdhsa_dx10_clamp 1
		.amdhsa_ieee_mode 1
		.amdhsa_fp16_overflow 0
		.amdhsa_tg_split 0
		.amdhsa_exception_fp_ieee_invalid_op 0
		.amdhsa_exception_fp_denorm_src 0
		.amdhsa_exception_fp_ieee_div_zero 0
		.amdhsa_exception_fp_ieee_overflow 0
		.amdhsa_exception_fp_ieee_underflow 0
		.amdhsa_exception_fp_ieee_inexact 0
		.amdhsa_exception_int_div_zero 0
	.end_amdhsa_kernel
	.section	.text._ZN7rocprim17ROCPRIM_400000_NS6detail17trampoline_kernelINS0_14default_configENS1_21merge_config_selectorIxNS0_10empty_typeEEEZNS1_10merge_implIS3_N6thrust23THRUST_200600_302600_NS6detail15normal_iteratorINS9_10device_ptrIKxEEEESF_NS9_16discard_iteratorINS9_11use_defaultEEEPS5_SJ_SJ_NS9_4lessIxEEEE10hipError_tPvRmT0_T1_T2_T3_T4_T5_mmT6_P12ihipStream_tbEUlT_E_NS1_11comp_targetILNS1_3genE8ELNS1_11target_archE1030ELNS1_3gpuE2ELNS1_3repE0EEENS1_30default_config_static_selectorELNS0_4arch9wavefront6targetE1EEEvSQ_,"axG",@progbits,_ZN7rocprim17ROCPRIM_400000_NS6detail17trampoline_kernelINS0_14default_configENS1_21merge_config_selectorIxNS0_10empty_typeEEEZNS1_10merge_implIS3_N6thrust23THRUST_200600_302600_NS6detail15normal_iteratorINS9_10device_ptrIKxEEEESF_NS9_16discard_iteratorINS9_11use_defaultEEEPS5_SJ_SJ_NS9_4lessIxEEEE10hipError_tPvRmT0_T1_T2_T3_T4_T5_mmT6_P12ihipStream_tbEUlT_E_NS1_11comp_targetILNS1_3genE8ELNS1_11target_archE1030ELNS1_3gpuE2ELNS1_3repE0EEENS1_30default_config_static_selectorELNS0_4arch9wavefront6targetE1EEEvSQ_,comdat
.Lfunc_end415:
	.size	_ZN7rocprim17ROCPRIM_400000_NS6detail17trampoline_kernelINS0_14default_configENS1_21merge_config_selectorIxNS0_10empty_typeEEEZNS1_10merge_implIS3_N6thrust23THRUST_200600_302600_NS6detail15normal_iteratorINS9_10device_ptrIKxEEEESF_NS9_16discard_iteratorINS9_11use_defaultEEEPS5_SJ_SJ_NS9_4lessIxEEEE10hipError_tPvRmT0_T1_T2_T3_T4_T5_mmT6_P12ihipStream_tbEUlT_E_NS1_11comp_targetILNS1_3genE8ELNS1_11target_archE1030ELNS1_3gpuE2ELNS1_3repE0EEENS1_30default_config_static_selectorELNS0_4arch9wavefront6targetE1EEEvSQ_, .Lfunc_end415-_ZN7rocprim17ROCPRIM_400000_NS6detail17trampoline_kernelINS0_14default_configENS1_21merge_config_selectorIxNS0_10empty_typeEEEZNS1_10merge_implIS3_N6thrust23THRUST_200600_302600_NS6detail15normal_iteratorINS9_10device_ptrIKxEEEESF_NS9_16discard_iteratorINS9_11use_defaultEEEPS5_SJ_SJ_NS9_4lessIxEEEE10hipError_tPvRmT0_T1_T2_T3_T4_T5_mmT6_P12ihipStream_tbEUlT_E_NS1_11comp_targetILNS1_3genE8ELNS1_11target_archE1030ELNS1_3gpuE2ELNS1_3repE0EEENS1_30default_config_static_selectorELNS0_4arch9wavefront6targetE1EEEvSQ_
                                        ; -- End function
	.section	.AMDGPU.csdata,"",@progbits
; Kernel info:
; codeLenInByte = 0
; NumSgprs: 4
; NumVgprs: 0
; NumAgprs: 0
; TotalNumVgprs: 0
; ScratchSize: 0
; MemoryBound: 0
; FloatMode: 240
; IeeeMode: 1
; LDSByteSize: 0 bytes/workgroup (compile time only)
; SGPRBlocks: 0
; VGPRBlocks: 0
; NumSGPRsForWavesPerEU: 4
; NumVGPRsForWavesPerEU: 1
; AccumOffset: 4
; Occupancy: 8
; WaveLimiterHint : 0
; COMPUTE_PGM_RSRC2:SCRATCH_EN: 0
; COMPUTE_PGM_RSRC2:USER_SGPR: 6
; COMPUTE_PGM_RSRC2:TRAP_HANDLER: 0
; COMPUTE_PGM_RSRC2:TGID_X_EN: 1
; COMPUTE_PGM_RSRC2:TGID_Y_EN: 0
; COMPUTE_PGM_RSRC2:TGID_Z_EN: 0
; COMPUTE_PGM_RSRC2:TIDIG_COMP_CNT: 0
; COMPUTE_PGM_RSRC3_GFX90A:ACCUM_OFFSET: 0
; COMPUTE_PGM_RSRC3_GFX90A:TG_SPLIT: 0
	.section	.text._ZN7rocprim17ROCPRIM_400000_NS6detail17trampoline_kernelINS0_14default_configENS1_21merge_config_selectorIxNS0_10empty_typeEEEZNS1_10merge_implIS3_N6thrust23THRUST_200600_302600_NS6detail15normal_iteratorINS9_10device_ptrIKxEEEESF_NS9_16discard_iteratorINS9_11use_defaultEEEPS5_SJ_SJ_NS9_4lessIxEEEE10hipError_tPvRmT0_T1_T2_T3_T4_T5_mmT6_P12ihipStream_tbEUlT_E0_NS1_11comp_targetILNS1_3genE0ELNS1_11target_archE4294967295ELNS1_3gpuE0ELNS1_3repE0EEENS1_30default_config_static_selectorELNS0_4arch9wavefront6targetE1EEEvSQ_,"axG",@progbits,_ZN7rocprim17ROCPRIM_400000_NS6detail17trampoline_kernelINS0_14default_configENS1_21merge_config_selectorIxNS0_10empty_typeEEEZNS1_10merge_implIS3_N6thrust23THRUST_200600_302600_NS6detail15normal_iteratorINS9_10device_ptrIKxEEEESF_NS9_16discard_iteratorINS9_11use_defaultEEEPS5_SJ_SJ_NS9_4lessIxEEEE10hipError_tPvRmT0_T1_T2_T3_T4_T5_mmT6_P12ihipStream_tbEUlT_E0_NS1_11comp_targetILNS1_3genE0ELNS1_11target_archE4294967295ELNS1_3gpuE0ELNS1_3repE0EEENS1_30default_config_static_selectorELNS0_4arch9wavefront6targetE1EEEvSQ_,comdat
	.protected	_ZN7rocprim17ROCPRIM_400000_NS6detail17trampoline_kernelINS0_14default_configENS1_21merge_config_selectorIxNS0_10empty_typeEEEZNS1_10merge_implIS3_N6thrust23THRUST_200600_302600_NS6detail15normal_iteratorINS9_10device_ptrIKxEEEESF_NS9_16discard_iteratorINS9_11use_defaultEEEPS5_SJ_SJ_NS9_4lessIxEEEE10hipError_tPvRmT0_T1_T2_T3_T4_T5_mmT6_P12ihipStream_tbEUlT_E0_NS1_11comp_targetILNS1_3genE0ELNS1_11target_archE4294967295ELNS1_3gpuE0ELNS1_3repE0EEENS1_30default_config_static_selectorELNS0_4arch9wavefront6targetE1EEEvSQ_ ; -- Begin function _ZN7rocprim17ROCPRIM_400000_NS6detail17trampoline_kernelINS0_14default_configENS1_21merge_config_selectorIxNS0_10empty_typeEEEZNS1_10merge_implIS3_N6thrust23THRUST_200600_302600_NS6detail15normal_iteratorINS9_10device_ptrIKxEEEESF_NS9_16discard_iteratorINS9_11use_defaultEEEPS5_SJ_SJ_NS9_4lessIxEEEE10hipError_tPvRmT0_T1_T2_T3_T4_T5_mmT6_P12ihipStream_tbEUlT_E0_NS1_11comp_targetILNS1_3genE0ELNS1_11target_archE4294967295ELNS1_3gpuE0ELNS1_3repE0EEENS1_30default_config_static_selectorELNS0_4arch9wavefront6targetE1EEEvSQ_
	.globl	_ZN7rocprim17ROCPRIM_400000_NS6detail17trampoline_kernelINS0_14default_configENS1_21merge_config_selectorIxNS0_10empty_typeEEEZNS1_10merge_implIS3_N6thrust23THRUST_200600_302600_NS6detail15normal_iteratorINS9_10device_ptrIKxEEEESF_NS9_16discard_iteratorINS9_11use_defaultEEEPS5_SJ_SJ_NS9_4lessIxEEEE10hipError_tPvRmT0_T1_T2_T3_T4_T5_mmT6_P12ihipStream_tbEUlT_E0_NS1_11comp_targetILNS1_3genE0ELNS1_11target_archE4294967295ELNS1_3gpuE0ELNS1_3repE0EEENS1_30default_config_static_selectorELNS0_4arch9wavefront6targetE1EEEvSQ_
	.p2align	8
	.type	_ZN7rocprim17ROCPRIM_400000_NS6detail17trampoline_kernelINS0_14default_configENS1_21merge_config_selectorIxNS0_10empty_typeEEEZNS1_10merge_implIS3_N6thrust23THRUST_200600_302600_NS6detail15normal_iteratorINS9_10device_ptrIKxEEEESF_NS9_16discard_iteratorINS9_11use_defaultEEEPS5_SJ_SJ_NS9_4lessIxEEEE10hipError_tPvRmT0_T1_T2_T3_T4_T5_mmT6_P12ihipStream_tbEUlT_E0_NS1_11comp_targetILNS1_3genE0ELNS1_11target_archE4294967295ELNS1_3gpuE0ELNS1_3repE0EEENS1_30default_config_static_selectorELNS0_4arch9wavefront6targetE1EEEvSQ_,@function
_ZN7rocprim17ROCPRIM_400000_NS6detail17trampoline_kernelINS0_14default_configENS1_21merge_config_selectorIxNS0_10empty_typeEEEZNS1_10merge_implIS3_N6thrust23THRUST_200600_302600_NS6detail15normal_iteratorINS9_10device_ptrIKxEEEESF_NS9_16discard_iteratorINS9_11use_defaultEEEPS5_SJ_SJ_NS9_4lessIxEEEE10hipError_tPvRmT0_T1_T2_T3_T4_T5_mmT6_P12ihipStream_tbEUlT_E0_NS1_11comp_targetILNS1_3genE0ELNS1_11target_archE4294967295ELNS1_3gpuE0ELNS1_3repE0EEENS1_30default_config_static_selectorELNS0_4arch9wavefront6targetE1EEEvSQ_: ; @_ZN7rocprim17ROCPRIM_400000_NS6detail17trampoline_kernelINS0_14default_configENS1_21merge_config_selectorIxNS0_10empty_typeEEEZNS1_10merge_implIS3_N6thrust23THRUST_200600_302600_NS6detail15normal_iteratorINS9_10device_ptrIKxEEEESF_NS9_16discard_iteratorINS9_11use_defaultEEEPS5_SJ_SJ_NS9_4lessIxEEEE10hipError_tPvRmT0_T1_T2_T3_T4_T5_mmT6_P12ihipStream_tbEUlT_E0_NS1_11comp_targetILNS1_3genE0ELNS1_11target_archE4294967295ELNS1_3gpuE0ELNS1_3repE0EEENS1_30default_config_static_selectorELNS0_4arch9wavefront6targetE1EEEvSQ_
; %bb.0:
	.section	.rodata,"a",@progbits
	.p2align	6, 0x0
	.amdhsa_kernel _ZN7rocprim17ROCPRIM_400000_NS6detail17trampoline_kernelINS0_14default_configENS1_21merge_config_selectorIxNS0_10empty_typeEEEZNS1_10merge_implIS3_N6thrust23THRUST_200600_302600_NS6detail15normal_iteratorINS9_10device_ptrIKxEEEESF_NS9_16discard_iteratorINS9_11use_defaultEEEPS5_SJ_SJ_NS9_4lessIxEEEE10hipError_tPvRmT0_T1_T2_T3_T4_T5_mmT6_P12ihipStream_tbEUlT_E0_NS1_11comp_targetILNS1_3genE0ELNS1_11target_archE4294967295ELNS1_3gpuE0ELNS1_3repE0EEENS1_30default_config_static_selectorELNS0_4arch9wavefront6targetE1EEEvSQ_
		.amdhsa_group_segment_fixed_size 0
		.amdhsa_private_segment_fixed_size 0
		.amdhsa_kernarg_size 96
		.amdhsa_user_sgpr_count 6
		.amdhsa_user_sgpr_private_segment_buffer 1
		.amdhsa_user_sgpr_dispatch_ptr 0
		.amdhsa_user_sgpr_queue_ptr 0
		.amdhsa_user_sgpr_kernarg_segment_ptr 1
		.amdhsa_user_sgpr_dispatch_id 0
		.amdhsa_user_sgpr_flat_scratch_init 0
		.amdhsa_user_sgpr_kernarg_preload_length 0
		.amdhsa_user_sgpr_kernarg_preload_offset 0
		.amdhsa_user_sgpr_private_segment_size 0
		.amdhsa_uses_dynamic_stack 0
		.amdhsa_system_sgpr_private_segment_wavefront_offset 0
		.amdhsa_system_sgpr_workgroup_id_x 1
		.amdhsa_system_sgpr_workgroup_id_y 0
		.amdhsa_system_sgpr_workgroup_id_z 0
		.amdhsa_system_sgpr_workgroup_info 0
		.amdhsa_system_vgpr_workitem_id 0
		.amdhsa_next_free_vgpr 1
		.amdhsa_next_free_sgpr 0
		.amdhsa_accum_offset 4
		.amdhsa_reserve_vcc 0
		.amdhsa_reserve_flat_scratch 0
		.amdhsa_float_round_mode_32 0
		.amdhsa_float_round_mode_16_64 0
		.amdhsa_float_denorm_mode_32 3
		.amdhsa_float_denorm_mode_16_64 3
		.amdhsa_dx10_clamp 1
		.amdhsa_ieee_mode 1
		.amdhsa_fp16_overflow 0
		.amdhsa_tg_split 0
		.amdhsa_exception_fp_ieee_invalid_op 0
		.amdhsa_exception_fp_denorm_src 0
		.amdhsa_exception_fp_ieee_div_zero 0
		.amdhsa_exception_fp_ieee_overflow 0
		.amdhsa_exception_fp_ieee_underflow 0
		.amdhsa_exception_fp_ieee_inexact 0
		.amdhsa_exception_int_div_zero 0
	.end_amdhsa_kernel
	.section	.text._ZN7rocprim17ROCPRIM_400000_NS6detail17trampoline_kernelINS0_14default_configENS1_21merge_config_selectorIxNS0_10empty_typeEEEZNS1_10merge_implIS3_N6thrust23THRUST_200600_302600_NS6detail15normal_iteratorINS9_10device_ptrIKxEEEESF_NS9_16discard_iteratorINS9_11use_defaultEEEPS5_SJ_SJ_NS9_4lessIxEEEE10hipError_tPvRmT0_T1_T2_T3_T4_T5_mmT6_P12ihipStream_tbEUlT_E0_NS1_11comp_targetILNS1_3genE0ELNS1_11target_archE4294967295ELNS1_3gpuE0ELNS1_3repE0EEENS1_30default_config_static_selectorELNS0_4arch9wavefront6targetE1EEEvSQ_,"axG",@progbits,_ZN7rocprim17ROCPRIM_400000_NS6detail17trampoline_kernelINS0_14default_configENS1_21merge_config_selectorIxNS0_10empty_typeEEEZNS1_10merge_implIS3_N6thrust23THRUST_200600_302600_NS6detail15normal_iteratorINS9_10device_ptrIKxEEEESF_NS9_16discard_iteratorINS9_11use_defaultEEEPS5_SJ_SJ_NS9_4lessIxEEEE10hipError_tPvRmT0_T1_T2_T3_T4_T5_mmT6_P12ihipStream_tbEUlT_E0_NS1_11comp_targetILNS1_3genE0ELNS1_11target_archE4294967295ELNS1_3gpuE0ELNS1_3repE0EEENS1_30default_config_static_selectorELNS0_4arch9wavefront6targetE1EEEvSQ_,comdat
.Lfunc_end416:
	.size	_ZN7rocprim17ROCPRIM_400000_NS6detail17trampoline_kernelINS0_14default_configENS1_21merge_config_selectorIxNS0_10empty_typeEEEZNS1_10merge_implIS3_N6thrust23THRUST_200600_302600_NS6detail15normal_iteratorINS9_10device_ptrIKxEEEESF_NS9_16discard_iteratorINS9_11use_defaultEEEPS5_SJ_SJ_NS9_4lessIxEEEE10hipError_tPvRmT0_T1_T2_T3_T4_T5_mmT6_P12ihipStream_tbEUlT_E0_NS1_11comp_targetILNS1_3genE0ELNS1_11target_archE4294967295ELNS1_3gpuE0ELNS1_3repE0EEENS1_30default_config_static_selectorELNS0_4arch9wavefront6targetE1EEEvSQ_, .Lfunc_end416-_ZN7rocprim17ROCPRIM_400000_NS6detail17trampoline_kernelINS0_14default_configENS1_21merge_config_selectorIxNS0_10empty_typeEEEZNS1_10merge_implIS3_N6thrust23THRUST_200600_302600_NS6detail15normal_iteratorINS9_10device_ptrIKxEEEESF_NS9_16discard_iteratorINS9_11use_defaultEEEPS5_SJ_SJ_NS9_4lessIxEEEE10hipError_tPvRmT0_T1_T2_T3_T4_T5_mmT6_P12ihipStream_tbEUlT_E0_NS1_11comp_targetILNS1_3genE0ELNS1_11target_archE4294967295ELNS1_3gpuE0ELNS1_3repE0EEENS1_30default_config_static_selectorELNS0_4arch9wavefront6targetE1EEEvSQ_
                                        ; -- End function
	.section	.AMDGPU.csdata,"",@progbits
; Kernel info:
; codeLenInByte = 0
; NumSgprs: 4
; NumVgprs: 0
; NumAgprs: 0
; TotalNumVgprs: 0
; ScratchSize: 0
; MemoryBound: 0
; FloatMode: 240
; IeeeMode: 1
; LDSByteSize: 0 bytes/workgroup (compile time only)
; SGPRBlocks: 0
; VGPRBlocks: 0
; NumSGPRsForWavesPerEU: 4
; NumVGPRsForWavesPerEU: 1
; AccumOffset: 4
; Occupancy: 8
; WaveLimiterHint : 0
; COMPUTE_PGM_RSRC2:SCRATCH_EN: 0
; COMPUTE_PGM_RSRC2:USER_SGPR: 6
; COMPUTE_PGM_RSRC2:TRAP_HANDLER: 0
; COMPUTE_PGM_RSRC2:TGID_X_EN: 1
; COMPUTE_PGM_RSRC2:TGID_Y_EN: 0
; COMPUTE_PGM_RSRC2:TGID_Z_EN: 0
; COMPUTE_PGM_RSRC2:TIDIG_COMP_CNT: 0
; COMPUTE_PGM_RSRC3_GFX90A:ACCUM_OFFSET: 0
; COMPUTE_PGM_RSRC3_GFX90A:TG_SPLIT: 0
	.section	.text._ZN7rocprim17ROCPRIM_400000_NS6detail17trampoline_kernelINS0_14default_configENS1_21merge_config_selectorIxNS0_10empty_typeEEEZNS1_10merge_implIS3_N6thrust23THRUST_200600_302600_NS6detail15normal_iteratorINS9_10device_ptrIKxEEEESF_NS9_16discard_iteratorINS9_11use_defaultEEEPS5_SJ_SJ_NS9_4lessIxEEEE10hipError_tPvRmT0_T1_T2_T3_T4_T5_mmT6_P12ihipStream_tbEUlT_E0_NS1_11comp_targetILNS1_3genE5ELNS1_11target_archE942ELNS1_3gpuE9ELNS1_3repE0EEENS1_30default_config_static_selectorELNS0_4arch9wavefront6targetE1EEEvSQ_,"axG",@progbits,_ZN7rocprim17ROCPRIM_400000_NS6detail17trampoline_kernelINS0_14default_configENS1_21merge_config_selectorIxNS0_10empty_typeEEEZNS1_10merge_implIS3_N6thrust23THRUST_200600_302600_NS6detail15normal_iteratorINS9_10device_ptrIKxEEEESF_NS9_16discard_iteratorINS9_11use_defaultEEEPS5_SJ_SJ_NS9_4lessIxEEEE10hipError_tPvRmT0_T1_T2_T3_T4_T5_mmT6_P12ihipStream_tbEUlT_E0_NS1_11comp_targetILNS1_3genE5ELNS1_11target_archE942ELNS1_3gpuE9ELNS1_3repE0EEENS1_30default_config_static_selectorELNS0_4arch9wavefront6targetE1EEEvSQ_,comdat
	.protected	_ZN7rocprim17ROCPRIM_400000_NS6detail17trampoline_kernelINS0_14default_configENS1_21merge_config_selectorIxNS0_10empty_typeEEEZNS1_10merge_implIS3_N6thrust23THRUST_200600_302600_NS6detail15normal_iteratorINS9_10device_ptrIKxEEEESF_NS9_16discard_iteratorINS9_11use_defaultEEEPS5_SJ_SJ_NS9_4lessIxEEEE10hipError_tPvRmT0_T1_T2_T3_T4_T5_mmT6_P12ihipStream_tbEUlT_E0_NS1_11comp_targetILNS1_3genE5ELNS1_11target_archE942ELNS1_3gpuE9ELNS1_3repE0EEENS1_30default_config_static_selectorELNS0_4arch9wavefront6targetE1EEEvSQ_ ; -- Begin function _ZN7rocprim17ROCPRIM_400000_NS6detail17trampoline_kernelINS0_14default_configENS1_21merge_config_selectorIxNS0_10empty_typeEEEZNS1_10merge_implIS3_N6thrust23THRUST_200600_302600_NS6detail15normal_iteratorINS9_10device_ptrIKxEEEESF_NS9_16discard_iteratorINS9_11use_defaultEEEPS5_SJ_SJ_NS9_4lessIxEEEE10hipError_tPvRmT0_T1_T2_T3_T4_T5_mmT6_P12ihipStream_tbEUlT_E0_NS1_11comp_targetILNS1_3genE5ELNS1_11target_archE942ELNS1_3gpuE9ELNS1_3repE0EEENS1_30default_config_static_selectorELNS0_4arch9wavefront6targetE1EEEvSQ_
	.globl	_ZN7rocprim17ROCPRIM_400000_NS6detail17trampoline_kernelINS0_14default_configENS1_21merge_config_selectorIxNS0_10empty_typeEEEZNS1_10merge_implIS3_N6thrust23THRUST_200600_302600_NS6detail15normal_iteratorINS9_10device_ptrIKxEEEESF_NS9_16discard_iteratorINS9_11use_defaultEEEPS5_SJ_SJ_NS9_4lessIxEEEE10hipError_tPvRmT0_T1_T2_T3_T4_T5_mmT6_P12ihipStream_tbEUlT_E0_NS1_11comp_targetILNS1_3genE5ELNS1_11target_archE942ELNS1_3gpuE9ELNS1_3repE0EEENS1_30default_config_static_selectorELNS0_4arch9wavefront6targetE1EEEvSQ_
	.p2align	8
	.type	_ZN7rocprim17ROCPRIM_400000_NS6detail17trampoline_kernelINS0_14default_configENS1_21merge_config_selectorIxNS0_10empty_typeEEEZNS1_10merge_implIS3_N6thrust23THRUST_200600_302600_NS6detail15normal_iteratorINS9_10device_ptrIKxEEEESF_NS9_16discard_iteratorINS9_11use_defaultEEEPS5_SJ_SJ_NS9_4lessIxEEEE10hipError_tPvRmT0_T1_T2_T3_T4_T5_mmT6_P12ihipStream_tbEUlT_E0_NS1_11comp_targetILNS1_3genE5ELNS1_11target_archE942ELNS1_3gpuE9ELNS1_3repE0EEENS1_30default_config_static_selectorELNS0_4arch9wavefront6targetE1EEEvSQ_,@function
_ZN7rocprim17ROCPRIM_400000_NS6detail17trampoline_kernelINS0_14default_configENS1_21merge_config_selectorIxNS0_10empty_typeEEEZNS1_10merge_implIS3_N6thrust23THRUST_200600_302600_NS6detail15normal_iteratorINS9_10device_ptrIKxEEEESF_NS9_16discard_iteratorINS9_11use_defaultEEEPS5_SJ_SJ_NS9_4lessIxEEEE10hipError_tPvRmT0_T1_T2_T3_T4_T5_mmT6_P12ihipStream_tbEUlT_E0_NS1_11comp_targetILNS1_3genE5ELNS1_11target_archE942ELNS1_3gpuE9ELNS1_3repE0EEENS1_30default_config_static_selectorELNS0_4arch9wavefront6targetE1EEEvSQ_: ; @_ZN7rocprim17ROCPRIM_400000_NS6detail17trampoline_kernelINS0_14default_configENS1_21merge_config_selectorIxNS0_10empty_typeEEEZNS1_10merge_implIS3_N6thrust23THRUST_200600_302600_NS6detail15normal_iteratorINS9_10device_ptrIKxEEEESF_NS9_16discard_iteratorINS9_11use_defaultEEEPS5_SJ_SJ_NS9_4lessIxEEEE10hipError_tPvRmT0_T1_T2_T3_T4_T5_mmT6_P12ihipStream_tbEUlT_E0_NS1_11comp_targetILNS1_3genE5ELNS1_11target_archE942ELNS1_3gpuE9ELNS1_3repE0EEENS1_30default_config_static_selectorELNS0_4arch9wavefront6targetE1EEEvSQ_
; %bb.0:
	.section	.rodata,"a",@progbits
	.p2align	6, 0x0
	.amdhsa_kernel _ZN7rocprim17ROCPRIM_400000_NS6detail17trampoline_kernelINS0_14default_configENS1_21merge_config_selectorIxNS0_10empty_typeEEEZNS1_10merge_implIS3_N6thrust23THRUST_200600_302600_NS6detail15normal_iteratorINS9_10device_ptrIKxEEEESF_NS9_16discard_iteratorINS9_11use_defaultEEEPS5_SJ_SJ_NS9_4lessIxEEEE10hipError_tPvRmT0_T1_T2_T3_T4_T5_mmT6_P12ihipStream_tbEUlT_E0_NS1_11comp_targetILNS1_3genE5ELNS1_11target_archE942ELNS1_3gpuE9ELNS1_3repE0EEENS1_30default_config_static_selectorELNS0_4arch9wavefront6targetE1EEEvSQ_
		.amdhsa_group_segment_fixed_size 0
		.amdhsa_private_segment_fixed_size 0
		.amdhsa_kernarg_size 96
		.amdhsa_user_sgpr_count 6
		.amdhsa_user_sgpr_private_segment_buffer 1
		.amdhsa_user_sgpr_dispatch_ptr 0
		.amdhsa_user_sgpr_queue_ptr 0
		.amdhsa_user_sgpr_kernarg_segment_ptr 1
		.amdhsa_user_sgpr_dispatch_id 0
		.amdhsa_user_sgpr_flat_scratch_init 0
		.amdhsa_user_sgpr_kernarg_preload_length 0
		.amdhsa_user_sgpr_kernarg_preload_offset 0
		.amdhsa_user_sgpr_private_segment_size 0
		.amdhsa_uses_dynamic_stack 0
		.amdhsa_system_sgpr_private_segment_wavefront_offset 0
		.amdhsa_system_sgpr_workgroup_id_x 1
		.amdhsa_system_sgpr_workgroup_id_y 0
		.amdhsa_system_sgpr_workgroup_id_z 0
		.amdhsa_system_sgpr_workgroup_info 0
		.amdhsa_system_vgpr_workitem_id 0
		.amdhsa_next_free_vgpr 1
		.amdhsa_next_free_sgpr 0
		.amdhsa_accum_offset 4
		.amdhsa_reserve_vcc 0
		.amdhsa_reserve_flat_scratch 0
		.amdhsa_float_round_mode_32 0
		.amdhsa_float_round_mode_16_64 0
		.amdhsa_float_denorm_mode_32 3
		.amdhsa_float_denorm_mode_16_64 3
		.amdhsa_dx10_clamp 1
		.amdhsa_ieee_mode 1
		.amdhsa_fp16_overflow 0
		.amdhsa_tg_split 0
		.amdhsa_exception_fp_ieee_invalid_op 0
		.amdhsa_exception_fp_denorm_src 0
		.amdhsa_exception_fp_ieee_div_zero 0
		.amdhsa_exception_fp_ieee_overflow 0
		.amdhsa_exception_fp_ieee_underflow 0
		.amdhsa_exception_fp_ieee_inexact 0
		.amdhsa_exception_int_div_zero 0
	.end_amdhsa_kernel
	.section	.text._ZN7rocprim17ROCPRIM_400000_NS6detail17trampoline_kernelINS0_14default_configENS1_21merge_config_selectorIxNS0_10empty_typeEEEZNS1_10merge_implIS3_N6thrust23THRUST_200600_302600_NS6detail15normal_iteratorINS9_10device_ptrIKxEEEESF_NS9_16discard_iteratorINS9_11use_defaultEEEPS5_SJ_SJ_NS9_4lessIxEEEE10hipError_tPvRmT0_T1_T2_T3_T4_T5_mmT6_P12ihipStream_tbEUlT_E0_NS1_11comp_targetILNS1_3genE5ELNS1_11target_archE942ELNS1_3gpuE9ELNS1_3repE0EEENS1_30default_config_static_selectorELNS0_4arch9wavefront6targetE1EEEvSQ_,"axG",@progbits,_ZN7rocprim17ROCPRIM_400000_NS6detail17trampoline_kernelINS0_14default_configENS1_21merge_config_selectorIxNS0_10empty_typeEEEZNS1_10merge_implIS3_N6thrust23THRUST_200600_302600_NS6detail15normal_iteratorINS9_10device_ptrIKxEEEESF_NS9_16discard_iteratorINS9_11use_defaultEEEPS5_SJ_SJ_NS9_4lessIxEEEE10hipError_tPvRmT0_T1_T2_T3_T4_T5_mmT6_P12ihipStream_tbEUlT_E0_NS1_11comp_targetILNS1_3genE5ELNS1_11target_archE942ELNS1_3gpuE9ELNS1_3repE0EEENS1_30default_config_static_selectorELNS0_4arch9wavefront6targetE1EEEvSQ_,comdat
.Lfunc_end417:
	.size	_ZN7rocprim17ROCPRIM_400000_NS6detail17trampoline_kernelINS0_14default_configENS1_21merge_config_selectorIxNS0_10empty_typeEEEZNS1_10merge_implIS3_N6thrust23THRUST_200600_302600_NS6detail15normal_iteratorINS9_10device_ptrIKxEEEESF_NS9_16discard_iteratorINS9_11use_defaultEEEPS5_SJ_SJ_NS9_4lessIxEEEE10hipError_tPvRmT0_T1_T2_T3_T4_T5_mmT6_P12ihipStream_tbEUlT_E0_NS1_11comp_targetILNS1_3genE5ELNS1_11target_archE942ELNS1_3gpuE9ELNS1_3repE0EEENS1_30default_config_static_selectorELNS0_4arch9wavefront6targetE1EEEvSQ_, .Lfunc_end417-_ZN7rocprim17ROCPRIM_400000_NS6detail17trampoline_kernelINS0_14default_configENS1_21merge_config_selectorIxNS0_10empty_typeEEEZNS1_10merge_implIS3_N6thrust23THRUST_200600_302600_NS6detail15normal_iteratorINS9_10device_ptrIKxEEEESF_NS9_16discard_iteratorINS9_11use_defaultEEEPS5_SJ_SJ_NS9_4lessIxEEEE10hipError_tPvRmT0_T1_T2_T3_T4_T5_mmT6_P12ihipStream_tbEUlT_E0_NS1_11comp_targetILNS1_3genE5ELNS1_11target_archE942ELNS1_3gpuE9ELNS1_3repE0EEENS1_30default_config_static_selectorELNS0_4arch9wavefront6targetE1EEEvSQ_
                                        ; -- End function
	.section	.AMDGPU.csdata,"",@progbits
; Kernel info:
; codeLenInByte = 0
; NumSgprs: 4
; NumVgprs: 0
; NumAgprs: 0
; TotalNumVgprs: 0
; ScratchSize: 0
; MemoryBound: 0
; FloatMode: 240
; IeeeMode: 1
; LDSByteSize: 0 bytes/workgroup (compile time only)
; SGPRBlocks: 0
; VGPRBlocks: 0
; NumSGPRsForWavesPerEU: 4
; NumVGPRsForWavesPerEU: 1
; AccumOffset: 4
; Occupancy: 8
; WaveLimiterHint : 0
; COMPUTE_PGM_RSRC2:SCRATCH_EN: 0
; COMPUTE_PGM_RSRC2:USER_SGPR: 6
; COMPUTE_PGM_RSRC2:TRAP_HANDLER: 0
; COMPUTE_PGM_RSRC2:TGID_X_EN: 1
; COMPUTE_PGM_RSRC2:TGID_Y_EN: 0
; COMPUTE_PGM_RSRC2:TGID_Z_EN: 0
; COMPUTE_PGM_RSRC2:TIDIG_COMP_CNT: 0
; COMPUTE_PGM_RSRC3_GFX90A:ACCUM_OFFSET: 0
; COMPUTE_PGM_RSRC3_GFX90A:TG_SPLIT: 0
	.section	.text._ZN7rocprim17ROCPRIM_400000_NS6detail17trampoline_kernelINS0_14default_configENS1_21merge_config_selectorIxNS0_10empty_typeEEEZNS1_10merge_implIS3_N6thrust23THRUST_200600_302600_NS6detail15normal_iteratorINS9_10device_ptrIKxEEEESF_NS9_16discard_iteratorINS9_11use_defaultEEEPS5_SJ_SJ_NS9_4lessIxEEEE10hipError_tPvRmT0_T1_T2_T3_T4_T5_mmT6_P12ihipStream_tbEUlT_E0_NS1_11comp_targetILNS1_3genE4ELNS1_11target_archE910ELNS1_3gpuE8ELNS1_3repE0EEENS1_30default_config_static_selectorELNS0_4arch9wavefront6targetE1EEEvSQ_,"axG",@progbits,_ZN7rocprim17ROCPRIM_400000_NS6detail17trampoline_kernelINS0_14default_configENS1_21merge_config_selectorIxNS0_10empty_typeEEEZNS1_10merge_implIS3_N6thrust23THRUST_200600_302600_NS6detail15normal_iteratorINS9_10device_ptrIKxEEEESF_NS9_16discard_iteratorINS9_11use_defaultEEEPS5_SJ_SJ_NS9_4lessIxEEEE10hipError_tPvRmT0_T1_T2_T3_T4_T5_mmT6_P12ihipStream_tbEUlT_E0_NS1_11comp_targetILNS1_3genE4ELNS1_11target_archE910ELNS1_3gpuE8ELNS1_3repE0EEENS1_30default_config_static_selectorELNS0_4arch9wavefront6targetE1EEEvSQ_,comdat
	.protected	_ZN7rocprim17ROCPRIM_400000_NS6detail17trampoline_kernelINS0_14default_configENS1_21merge_config_selectorIxNS0_10empty_typeEEEZNS1_10merge_implIS3_N6thrust23THRUST_200600_302600_NS6detail15normal_iteratorINS9_10device_ptrIKxEEEESF_NS9_16discard_iteratorINS9_11use_defaultEEEPS5_SJ_SJ_NS9_4lessIxEEEE10hipError_tPvRmT0_T1_T2_T3_T4_T5_mmT6_P12ihipStream_tbEUlT_E0_NS1_11comp_targetILNS1_3genE4ELNS1_11target_archE910ELNS1_3gpuE8ELNS1_3repE0EEENS1_30default_config_static_selectorELNS0_4arch9wavefront6targetE1EEEvSQ_ ; -- Begin function _ZN7rocprim17ROCPRIM_400000_NS6detail17trampoline_kernelINS0_14default_configENS1_21merge_config_selectorIxNS0_10empty_typeEEEZNS1_10merge_implIS3_N6thrust23THRUST_200600_302600_NS6detail15normal_iteratorINS9_10device_ptrIKxEEEESF_NS9_16discard_iteratorINS9_11use_defaultEEEPS5_SJ_SJ_NS9_4lessIxEEEE10hipError_tPvRmT0_T1_T2_T3_T4_T5_mmT6_P12ihipStream_tbEUlT_E0_NS1_11comp_targetILNS1_3genE4ELNS1_11target_archE910ELNS1_3gpuE8ELNS1_3repE0EEENS1_30default_config_static_selectorELNS0_4arch9wavefront6targetE1EEEvSQ_
	.globl	_ZN7rocprim17ROCPRIM_400000_NS6detail17trampoline_kernelINS0_14default_configENS1_21merge_config_selectorIxNS0_10empty_typeEEEZNS1_10merge_implIS3_N6thrust23THRUST_200600_302600_NS6detail15normal_iteratorINS9_10device_ptrIKxEEEESF_NS9_16discard_iteratorINS9_11use_defaultEEEPS5_SJ_SJ_NS9_4lessIxEEEE10hipError_tPvRmT0_T1_T2_T3_T4_T5_mmT6_P12ihipStream_tbEUlT_E0_NS1_11comp_targetILNS1_3genE4ELNS1_11target_archE910ELNS1_3gpuE8ELNS1_3repE0EEENS1_30default_config_static_selectorELNS0_4arch9wavefront6targetE1EEEvSQ_
	.p2align	8
	.type	_ZN7rocprim17ROCPRIM_400000_NS6detail17trampoline_kernelINS0_14default_configENS1_21merge_config_selectorIxNS0_10empty_typeEEEZNS1_10merge_implIS3_N6thrust23THRUST_200600_302600_NS6detail15normal_iteratorINS9_10device_ptrIKxEEEESF_NS9_16discard_iteratorINS9_11use_defaultEEEPS5_SJ_SJ_NS9_4lessIxEEEE10hipError_tPvRmT0_T1_T2_T3_T4_T5_mmT6_P12ihipStream_tbEUlT_E0_NS1_11comp_targetILNS1_3genE4ELNS1_11target_archE910ELNS1_3gpuE8ELNS1_3repE0EEENS1_30default_config_static_selectorELNS0_4arch9wavefront6targetE1EEEvSQ_,@function
_ZN7rocprim17ROCPRIM_400000_NS6detail17trampoline_kernelINS0_14default_configENS1_21merge_config_selectorIxNS0_10empty_typeEEEZNS1_10merge_implIS3_N6thrust23THRUST_200600_302600_NS6detail15normal_iteratorINS9_10device_ptrIKxEEEESF_NS9_16discard_iteratorINS9_11use_defaultEEEPS5_SJ_SJ_NS9_4lessIxEEEE10hipError_tPvRmT0_T1_T2_T3_T4_T5_mmT6_P12ihipStream_tbEUlT_E0_NS1_11comp_targetILNS1_3genE4ELNS1_11target_archE910ELNS1_3gpuE8ELNS1_3repE0EEENS1_30default_config_static_selectorELNS0_4arch9wavefront6targetE1EEEvSQ_: ; @_ZN7rocprim17ROCPRIM_400000_NS6detail17trampoline_kernelINS0_14default_configENS1_21merge_config_selectorIxNS0_10empty_typeEEEZNS1_10merge_implIS3_N6thrust23THRUST_200600_302600_NS6detail15normal_iteratorINS9_10device_ptrIKxEEEESF_NS9_16discard_iteratorINS9_11use_defaultEEEPS5_SJ_SJ_NS9_4lessIxEEEE10hipError_tPvRmT0_T1_T2_T3_T4_T5_mmT6_P12ihipStream_tbEUlT_E0_NS1_11comp_targetILNS1_3genE4ELNS1_11target_archE910ELNS1_3gpuE8ELNS1_3repE0EEENS1_30default_config_static_selectorELNS0_4arch9wavefront6targetE1EEEvSQ_
; %bb.0:
	s_load_dwordx4 s[0:3], s[4:5], 0x48
	s_load_dwordx4 s[12:15], s[4:5], 0x8
	s_load_dwordx2 s[8:9], s[4:5], 0x18
	s_lshl_b32 s10, s6, 10
	s_mov_b32 s7, 0
	s_waitcnt lgkmcnt(0)
	s_add_i32 s11, s2, s0
	s_add_i32 s0, s11, 0x3ff
	s_lshr_b32 s0, s0, 10
	s_min_u32 s1, s6, s0
	s_lshl_b32 s1, s1, 2
	s_add_i32 s6, s6, 1
	s_min_u32 s0, s6, s0
	s_load_dword s6, s[12:13], s1 offset:0x0
	s_lshl_b32 s0, s0, 2
	s_load_dword s12, s[12:13], s0 offset:0x0
	s_add_i32 s0, s10, 0x400
	s_min_u32 s16, s11, s0
	s_waitcnt lgkmcnt(0)
	s_sub_i32 s2, s10, s6
	s_lshl_b64 s[0:1], s[6:7], 3
	s_add_u32 s0, s14, s0
	s_mov_b32 s3, s7
	s_addc_u32 s1, s15, s1
	s_lshl_b64 s[4:5], s[2:3], 3
	s_add_u32 s13, s8, s4
	s_addc_u32 s14, s9, s5
	s_add_i32 s2, s2, s12
	s_sub_i32 s6, s12, s6
	s_sub_i32 s12, s16, s2
	s_add_u32 s2, s12, s6
	s_addc_u32 s3, 0, 0
	v_mov_b32_e32 v1, 0
	v_cmp_le_u32_e32 vcc, s6, v0
	s_and_saveexec_b64 s[4:5], vcc
	s_xor_b64 s[4:5], exec, s[4:5]
	s_cbranch_execz .LBB418_4
; %bb.1:
	v_cmp_gt_u64_e32 vcc, s[2:3], v[0:1]
	s_and_saveexec_b64 s[8:9], vcc
	s_cbranch_execz .LBB418_3
; %bb.2:
	v_mov_b32_e32 v1, s7
	v_subrev_co_u32_e32 v2, vcc, s6, v0
	v_subb_co_u32_e32 v3, vcc, 0, v1, vcc
	v_lshlrev_b64 v[2:3], 3, v[2:3]
	v_mov_b32_e32 v1, s14
	v_add_co_u32_e32 v2, vcc, s13, v2
	v_addc_co_u32_e32 v3, vcc, v1, v3, vcc
	global_load_dwordx2 v[2:3], v[2:3], off
	v_lshlrev_b32_e32 v1, 3, v0
	s_waitcnt vmcnt(0)
	ds_write_b64 v1, v[2:3]
.LBB418_3:
	s_or_b64 exec, exec, s[8:9]
.LBB418_4:
	s_or_saveexec_b64 s[4:5], s[4:5]
	v_lshlrev_b32_e32 v1, 3, v0
	s_xor_b64 exec, exec, s[4:5]
	s_cbranch_execz .LBB418_6
; %bb.5:
	global_load_dwordx2 v[2:3], v1, s[0:1]
	s_waitcnt vmcnt(0)
	ds_write_b64 v1, v[2:3]
.LBB418_6:
	s_or_b64 exec, exec, s[4:5]
	v_or_b32_e32 v2, 0x100, v0
	v_cmp_le_u32_e32 vcc, s6, v2
	s_and_saveexec_b64 s[4:5], vcc
	s_xor_b64 s[4:5], exec, s[4:5]
	s_cbranch_execz .LBB418_10
; %bb.7:
	v_mov_b32_e32 v3, 0
	v_cmp_gt_u64_e32 vcc, s[2:3], v[2:3]
	s_and_saveexec_b64 s[8:9], vcc
	s_cbranch_execz .LBB418_9
; %bb.8:
	v_mov_b32_e32 v3, s7
	v_subrev_co_u32_e32 v2, vcc, s6, v0
	v_subb_co_u32_e32 v3, vcc, 0, v3, vcc
	v_lshlrev_b64 v[2:3], 3, v[2:3]
	v_mov_b32_e32 v4, s14
	v_add_co_u32_e32 v2, vcc, s13, v2
	v_addc_co_u32_e32 v3, vcc, v4, v3, vcc
	global_load_dwordx2 v[2:3], v[2:3], off offset:2048
	s_waitcnt vmcnt(0)
	ds_write_b64 v1, v[2:3] offset:2048
.LBB418_9:
	s_or_b64 exec, exec, s[8:9]
.LBB418_10:
	s_andn2_saveexec_b64 s[4:5], s[4:5]
	s_cbranch_execz .LBB418_12
; %bb.11:
	global_load_dwordx2 v[2:3], v1, s[0:1] offset:2048
	s_waitcnt vmcnt(0)
	ds_write_b64 v1, v[2:3] offset:2048
.LBB418_12:
	s_or_b64 exec, exec, s[4:5]
	v_or_b32_e32 v2, 0x200, v0
	v_mov_b32_e32 v3, 0
	v_cmp_le_u32_e32 vcc, s6, v2
	s_and_saveexec_b64 s[4:5], vcc
	s_xor_b64 s[4:5], exec, s[4:5]
	s_cbranch_execz .LBB418_16
; %bb.13:
	v_cmp_gt_u64_e32 vcc, s[2:3], v[2:3]
	s_and_saveexec_b64 s[8:9], vcc
	s_cbranch_execz .LBB418_15
; %bb.14:
	v_mov_b32_e32 v3, s7
	v_subrev_co_u32_e32 v2, vcc, s6, v2
	v_subb_co_u32_e32 v3, vcc, 0, v3, vcc
	v_lshlrev_b64 v[2:3], 3, v[2:3]
	v_mov_b32_e32 v4, s14
	v_add_co_u32_e32 v2, vcc, s13, v2
	v_addc_co_u32_e32 v3, vcc, v4, v3, vcc
	global_load_dwordx2 v[2:3], v[2:3], off
	s_waitcnt vmcnt(0)
	ds_write_b64 v1, v[2:3] offset:4096
.LBB418_15:
	s_or_b64 exec, exec, s[8:9]
                                        ; implicit-def: $vgpr2_vgpr3
.LBB418_16:
	s_andn2_saveexec_b64 s[4:5], s[4:5]
	s_cbranch_execz .LBB418_18
; %bb.17:
	v_lshlrev_b32_e32 v2, 3, v2
	global_load_dwordx2 v[2:3], v2, s[0:1]
	s_waitcnt vmcnt(0)
	ds_write_b64 v1, v[2:3] offset:4096
.LBB418_18:
	s_or_b64 exec, exec, s[4:5]
	v_or_b32_e32 v2, 0x300, v0
	v_mov_b32_e32 v3, 0
	v_cmp_le_u32_e32 vcc, s6, v2
	s_and_saveexec_b64 s[4:5], vcc
	s_xor_b64 s[4:5], exec, s[4:5]
	s_cbranch_execz .LBB418_22
; %bb.19:
	v_cmp_gt_u64_e32 vcc, s[2:3], v[2:3]
	s_and_saveexec_b64 s[2:3], vcc
	s_cbranch_execz .LBB418_21
; %bb.20:
	v_mov_b32_e32 v3, s7
	v_subrev_co_u32_e32 v2, vcc, s6, v2
	v_subb_co_u32_e32 v3, vcc, 0, v3, vcc
	v_lshlrev_b64 v[2:3], 3, v[2:3]
	v_mov_b32_e32 v4, s14
	v_add_co_u32_e32 v2, vcc, s13, v2
	v_addc_co_u32_e32 v3, vcc, v4, v3, vcc
	global_load_dwordx2 v[2:3], v[2:3], off
	s_waitcnt vmcnt(0)
	ds_write_b64 v1, v[2:3] offset:6144
.LBB418_21:
	s_or_b64 exec, exec, s[2:3]
                                        ; implicit-def: $vgpr2_vgpr3
                                        ; implicit-def: $vgpr1
.LBB418_22:
	s_andn2_saveexec_b64 s[2:3], s[4:5]
	s_cbranch_execz .LBB418_24
; %bb.23:
	v_lshlrev_b32_e32 v2, 3, v2
	global_load_dwordx2 v[2:3], v2, s[0:1]
	s_waitcnt vmcnt(0)
	ds_write_b64 v1, v[2:3] offset:6144
.LBB418_24:
	s_or_b64 exec, exec, s[2:3]
	v_lshlrev_b32_e32 v1, 2, v0
	v_sub_u32_e64 v14, v1, s12 clamp
	v_min_u32_e32 v2, s6, v1
	v_cmp_lt_u32_e32 vcc, v14, v2
	s_waitcnt lgkmcnt(0)
	s_barrier
	s_and_saveexec_b64 s[0:1], vcc
	s_cbranch_execz .LBB418_28
; %bb.25:
	v_lshlrev_b32_e32 v3, 3, v1
	v_lshl_add_u32 v3, s6, 3, v3
	s_mov_b64 s[2:3], 0
.LBB418_26:                             ; =>This Inner Loop Header: Depth=1
	v_add_u32_e32 v4, v2, v14
	v_lshrrev_b32_e32 v8, 1, v4
	v_not_b32_e32 v4, v8
	v_lshlrev_b32_e32 v5, 3, v8
	v_lshl_add_u32 v6, v4, 3, v3
	ds_read_b64 v[4:5], v5
	ds_read_b64 v[6:7], v6
	v_add_u32_e32 v9, 1, v8
	s_waitcnt lgkmcnt(0)
	v_cmp_lt_i64_e32 vcc, v[6:7], v[4:5]
	v_cndmask_b32_e32 v2, v2, v8, vcc
	v_cndmask_b32_e32 v14, v9, v14, vcc
	v_cmp_ge_u32_e32 vcc, v14, v2
	s_or_b64 s[2:3], vcc, s[2:3]
	s_andn2_b64 exec, exec, s[2:3]
	s_cbranch_execnz .LBB418_26
; %bb.27:
	s_or_b64 exec, exec, s[2:3]
.LBB418_28:
	s_or_b64 exec, exec, s[0:1]
	v_add_u32_e32 v2, s6, v1
	s_add_i32 s7, s12, s6
	v_sub_u32_e32 v15, v2, v14
	v_cmp_ge_u32_e32 vcc, s6, v14
	v_cmp_ge_u32_e64 s[0:1], s7, v15
	s_or_b64 s[0:1], vcc, s[0:1]
                                        ; implicit-def: $vgpr12_vgpr13
                                        ; implicit-def: $vgpr10_vgpr11
	s_and_saveexec_b64 s[8:9], s[0:1]
                                        ; implicit-def: $vgpr6_vgpr7_vgpr8_vgpr9
                                        ; implicit-def: $vgpr2_vgpr3_vgpr4_vgpr5
	s_cbranch_execz .LBB418_34
; %bb.29:
	v_cmp_gt_u32_e32 vcc, s6, v14
                                        ; implicit-def: $vgpr2_vgpr3
	s_and_saveexec_b64 s[0:1], vcc
	s_cbranch_execz .LBB418_31
; %bb.30:
	v_lshlrev_b32_e32 v2, 3, v14
	ds_read_b64 v[2:3], v2
.LBB418_31:
	s_or_b64 exec, exec, s[0:1]
	v_cmp_le_u32_e64 s[0:1], s7, v15
	v_cmp_gt_u32_e64 s[2:3], s7, v15
                                        ; implicit-def: $vgpr4_vgpr5
	s_and_saveexec_b64 s[4:5], s[2:3]
	s_cbranch_execz .LBB418_33
; %bb.32:
	v_lshlrev_b32_e32 v4, 3, v15
	ds_read_b64 v[4:5], v4
.LBB418_33:
	s_or_b64 exec, exec, s[4:5]
	s_waitcnt lgkmcnt(0)
	v_cmp_ge_i64_e64 s[2:3], v[4:5], v[2:3]
	s_and_b64 s[2:3], vcc, s[2:3]
	s_or_b64 vcc, s[0:1], s[2:3]
	v_mov_b32_e32 v16, s7
	v_mov_b32_e32 v17, s6
	v_cndmask_b32_e32 v6, v15, v14, vcc
	v_cndmask_b32_e32 v7, v16, v17, vcc
	v_add_u32_e32 v10, 1, v6
	v_add_u32_e32 v6, -1, v7
	v_min_u32_e32 v6, v10, v6
	v_lshlrev_b32_e32 v6, 3, v6
	ds_read_b64 v[6:7], v6
	v_cndmask_b32_e32 v14, v14, v10, vcc
	v_cndmask_b32_e32 v15, v10, v15, vcc
	v_cmp_gt_u32_e64 s[2:3], s6, v14
	v_cmp_le_u32_e64 s[0:1], s7, v15
	s_waitcnt lgkmcnt(0)
	v_cndmask_b32_e32 v9, v7, v5, vcc
	v_cndmask_b32_e32 v8, v6, v4, vcc
	v_cndmask_b32_e32 v7, v3, v7, vcc
	v_cndmask_b32_e32 v6, v2, v6, vcc
	v_cmp_ge_i64_e64 s[4:5], v[8:9], v[6:7]
	s_and_b64 s[2:3], s[2:3], s[4:5]
	s_or_b64 s[0:1], s[0:1], s[2:3]
	v_cndmask_b32_e64 v10, v15, v14, s[0:1]
	v_cndmask_b32_e64 v11, v16, v17, s[0:1]
	v_add_u32_e32 v18, 1, v10
	v_add_u32_e32 v10, -1, v11
	v_min_u32_e32 v10, v18, v10
	v_lshlrev_b32_e32 v10, 3, v10
	ds_read_b64 v[10:11], v10
	v_cndmask_b32_e32 v3, v5, v3, vcc
	v_cndmask_b32_e32 v2, v4, v2, vcc
	v_cndmask_b32_e64 v19, v18, v15, s[0:1]
	v_cndmask_b32_e64 v18, v14, v18, s[0:1]
	s_waitcnt lgkmcnt(0)
	v_cndmask_b32_e64 v5, v11, v9, s[0:1]
	v_cndmask_b32_e64 v4, v10, v8, s[0:1]
	v_cndmask_b32_e64 v13, v7, v11, s[0:1]
	v_cndmask_b32_e64 v12, v6, v10, s[0:1]
	v_cmp_gt_u32_e64 s[2:3], s6, v18
	v_cmp_ge_i64_e64 s[4:5], v[4:5], v[12:13]
	v_cmp_le_u32_e32 vcc, s7, v19
	s_and_b64 s[2:3], s[2:3], s[4:5]
	s_or_b64 vcc, vcc, s[2:3]
	v_cndmask_b32_e32 v10, v19, v18, vcc
	v_cndmask_b32_e32 v11, v16, v17, vcc
	v_add_u32_e32 v16, 1, v10
	v_add_u32_e32 v10, -1, v11
	v_min_u32_e32 v10, v16, v10
	v_lshlrev_b32_e32 v10, 3, v10
	ds_read_b64 v[14:15], v10
	v_cndmask_b32_e64 v11, v9, v7, s[0:1]
	v_cndmask_b32_e64 v10, v8, v6, s[0:1]
	v_cndmask_b32_e32 v7, v5, v13, vcc
	v_cndmask_b32_e32 v6, v4, v12, vcc
	s_waitcnt lgkmcnt(0)
	v_cndmask_b32_e32 v5, v15, v5, vcc
	v_cndmask_b32_e32 v4, v14, v4, vcc
	v_cndmask_b32_e32 v9, v13, v15, vcc
	v_cndmask_b32_e32 v8, v12, v14, vcc
	v_cndmask_b32_e32 v13, v18, v16, vcc
	v_cndmask_b32_e32 v12, v16, v19, vcc
	v_cmp_gt_u32_e64 s[0:1], s6, v13
	v_cmp_ge_i64_e64 s[2:3], v[4:5], v[8:9]
	v_cmp_le_u32_e32 vcc, s7, v12
	s_and_b64 s[0:1], s[0:1], s[2:3]
	s_or_b64 vcc, vcc, s[0:1]
	v_cndmask_b32_e32 v13, v5, v9, vcc
	v_cndmask_b32_e32 v12, v4, v8, vcc
.LBB418_34:
	s_or_b64 exec, exec, s[8:9]
	s_sub_i32 s0, s11, s10
	v_and_b32_e32 v0, 0xf8, v0
	s_cmpk_gt_u32 s0, 0x3ff
	v_lshl_add_u32 v0, v1, 3, v0
	s_mov_b64 s[0:1], -1
	s_barrier
	ds_write2_b64 v0, v[2:3], v[10:11] offset1:1
	ds_write2_b64 v0, v[6:7], v[12:13] offset0:2 offset1:3
	s_waitcnt lgkmcnt(0)
	s_cbranch_scc1 .LBB418_37
; %bb.35:
	s_andn2_b64 vcc, exec, s[0:1]
	s_cbranch_vccz .LBB418_38
.LBB418_36:
	s_endpgm
.LBB418_37:
	s_barrier
	s_cbranch_execnz .LBB418_36
.LBB418_38:
	s_barrier
	s_endpgm
	.section	.rodata,"a",@progbits
	.p2align	6, 0x0
	.amdhsa_kernel _ZN7rocprim17ROCPRIM_400000_NS6detail17trampoline_kernelINS0_14default_configENS1_21merge_config_selectorIxNS0_10empty_typeEEEZNS1_10merge_implIS3_N6thrust23THRUST_200600_302600_NS6detail15normal_iteratorINS9_10device_ptrIKxEEEESF_NS9_16discard_iteratorINS9_11use_defaultEEEPS5_SJ_SJ_NS9_4lessIxEEEE10hipError_tPvRmT0_T1_T2_T3_T4_T5_mmT6_P12ihipStream_tbEUlT_E0_NS1_11comp_targetILNS1_3genE4ELNS1_11target_archE910ELNS1_3gpuE8ELNS1_3repE0EEENS1_30default_config_static_selectorELNS0_4arch9wavefront6targetE1EEEvSQ_
		.amdhsa_group_segment_fixed_size 8448
		.amdhsa_private_segment_fixed_size 0
		.amdhsa_kernarg_size 96
		.amdhsa_user_sgpr_count 6
		.amdhsa_user_sgpr_private_segment_buffer 1
		.amdhsa_user_sgpr_dispatch_ptr 0
		.amdhsa_user_sgpr_queue_ptr 0
		.amdhsa_user_sgpr_kernarg_segment_ptr 1
		.amdhsa_user_sgpr_dispatch_id 0
		.amdhsa_user_sgpr_flat_scratch_init 0
		.amdhsa_user_sgpr_kernarg_preload_length 0
		.amdhsa_user_sgpr_kernarg_preload_offset 0
		.amdhsa_user_sgpr_private_segment_size 0
		.amdhsa_uses_dynamic_stack 0
		.amdhsa_system_sgpr_private_segment_wavefront_offset 0
		.amdhsa_system_sgpr_workgroup_id_x 1
		.amdhsa_system_sgpr_workgroup_id_y 0
		.amdhsa_system_sgpr_workgroup_id_z 0
		.amdhsa_system_sgpr_workgroup_info 0
		.amdhsa_system_vgpr_workitem_id 0
		.amdhsa_next_free_vgpr 20
		.amdhsa_next_free_sgpr 17
		.amdhsa_accum_offset 20
		.amdhsa_reserve_vcc 1
		.amdhsa_reserve_flat_scratch 0
		.amdhsa_float_round_mode_32 0
		.amdhsa_float_round_mode_16_64 0
		.amdhsa_float_denorm_mode_32 3
		.amdhsa_float_denorm_mode_16_64 3
		.amdhsa_dx10_clamp 1
		.amdhsa_ieee_mode 1
		.amdhsa_fp16_overflow 0
		.amdhsa_tg_split 0
		.amdhsa_exception_fp_ieee_invalid_op 0
		.amdhsa_exception_fp_denorm_src 0
		.amdhsa_exception_fp_ieee_div_zero 0
		.amdhsa_exception_fp_ieee_overflow 0
		.amdhsa_exception_fp_ieee_underflow 0
		.amdhsa_exception_fp_ieee_inexact 0
		.amdhsa_exception_int_div_zero 0
	.end_amdhsa_kernel
	.section	.text._ZN7rocprim17ROCPRIM_400000_NS6detail17trampoline_kernelINS0_14default_configENS1_21merge_config_selectorIxNS0_10empty_typeEEEZNS1_10merge_implIS3_N6thrust23THRUST_200600_302600_NS6detail15normal_iteratorINS9_10device_ptrIKxEEEESF_NS9_16discard_iteratorINS9_11use_defaultEEEPS5_SJ_SJ_NS9_4lessIxEEEE10hipError_tPvRmT0_T1_T2_T3_T4_T5_mmT6_P12ihipStream_tbEUlT_E0_NS1_11comp_targetILNS1_3genE4ELNS1_11target_archE910ELNS1_3gpuE8ELNS1_3repE0EEENS1_30default_config_static_selectorELNS0_4arch9wavefront6targetE1EEEvSQ_,"axG",@progbits,_ZN7rocprim17ROCPRIM_400000_NS6detail17trampoline_kernelINS0_14default_configENS1_21merge_config_selectorIxNS0_10empty_typeEEEZNS1_10merge_implIS3_N6thrust23THRUST_200600_302600_NS6detail15normal_iteratorINS9_10device_ptrIKxEEEESF_NS9_16discard_iteratorINS9_11use_defaultEEEPS5_SJ_SJ_NS9_4lessIxEEEE10hipError_tPvRmT0_T1_T2_T3_T4_T5_mmT6_P12ihipStream_tbEUlT_E0_NS1_11comp_targetILNS1_3genE4ELNS1_11target_archE910ELNS1_3gpuE8ELNS1_3repE0EEENS1_30default_config_static_selectorELNS0_4arch9wavefront6targetE1EEEvSQ_,comdat
.Lfunc_end418:
	.size	_ZN7rocprim17ROCPRIM_400000_NS6detail17trampoline_kernelINS0_14default_configENS1_21merge_config_selectorIxNS0_10empty_typeEEEZNS1_10merge_implIS3_N6thrust23THRUST_200600_302600_NS6detail15normal_iteratorINS9_10device_ptrIKxEEEESF_NS9_16discard_iteratorINS9_11use_defaultEEEPS5_SJ_SJ_NS9_4lessIxEEEE10hipError_tPvRmT0_T1_T2_T3_T4_T5_mmT6_P12ihipStream_tbEUlT_E0_NS1_11comp_targetILNS1_3genE4ELNS1_11target_archE910ELNS1_3gpuE8ELNS1_3repE0EEENS1_30default_config_static_selectorELNS0_4arch9wavefront6targetE1EEEvSQ_, .Lfunc_end418-_ZN7rocprim17ROCPRIM_400000_NS6detail17trampoline_kernelINS0_14default_configENS1_21merge_config_selectorIxNS0_10empty_typeEEEZNS1_10merge_implIS3_N6thrust23THRUST_200600_302600_NS6detail15normal_iteratorINS9_10device_ptrIKxEEEESF_NS9_16discard_iteratorINS9_11use_defaultEEEPS5_SJ_SJ_NS9_4lessIxEEEE10hipError_tPvRmT0_T1_T2_T3_T4_T5_mmT6_P12ihipStream_tbEUlT_E0_NS1_11comp_targetILNS1_3genE4ELNS1_11target_archE910ELNS1_3gpuE8ELNS1_3repE0EEENS1_30default_config_static_selectorELNS0_4arch9wavefront6targetE1EEEvSQ_
                                        ; -- End function
	.section	.AMDGPU.csdata,"",@progbits
; Kernel info:
; codeLenInByte = 1376
; NumSgprs: 21
; NumVgprs: 20
; NumAgprs: 0
; TotalNumVgprs: 20
; ScratchSize: 0
; MemoryBound: 0
; FloatMode: 240
; IeeeMode: 1
; LDSByteSize: 8448 bytes/workgroup (compile time only)
; SGPRBlocks: 2
; VGPRBlocks: 2
; NumSGPRsForWavesPerEU: 21
; NumVGPRsForWavesPerEU: 20
; AccumOffset: 20
; Occupancy: 7
; WaveLimiterHint : 1
; COMPUTE_PGM_RSRC2:SCRATCH_EN: 0
; COMPUTE_PGM_RSRC2:USER_SGPR: 6
; COMPUTE_PGM_RSRC2:TRAP_HANDLER: 0
; COMPUTE_PGM_RSRC2:TGID_X_EN: 1
; COMPUTE_PGM_RSRC2:TGID_Y_EN: 0
; COMPUTE_PGM_RSRC2:TGID_Z_EN: 0
; COMPUTE_PGM_RSRC2:TIDIG_COMP_CNT: 0
; COMPUTE_PGM_RSRC3_GFX90A:ACCUM_OFFSET: 4
; COMPUTE_PGM_RSRC3_GFX90A:TG_SPLIT: 0
	.section	.text._ZN7rocprim17ROCPRIM_400000_NS6detail17trampoline_kernelINS0_14default_configENS1_21merge_config_selectorIxNS0_10empty_typeEEEZNS1_10merge_implIS3_N6thrust23THRUST_200600_302600_NS6detail15normal_iteratorINS9_10device_ptrIKxEEEESF_NS9_16discard_iteratorINS9_11use_defaultEEEPS5_SJ_SJ_NS9_4lessIxEEEE10hipError_tPvRmT0_T1_T2_T3_T4_T5_mmT6_P12ihipStream_tbEUlT_E0_NS1_11comp_targetILNS1_3genE3ELNS1_11target_archE908ELNS1_3gpuE7ELNS1_3repE0EEENS1_30default_config_static_selectorELNS0_4arch9wavefront6targetE1EEEvSQ_,"axG",@progbits,_ZN7rocprim17ROCPRIM_400000_NS6detail17trampoline_kernelINS0_14default_configENS1_21merge_config_selectorIxNS0_10empty_typeEEEZNS1_10merge_implIS3_N6thrust23THRUST_200600_302600_NS6detail15normal_iteratorINS9_10device_ptrIKxEEEESF_NS9_16discard_iteratorINS9_11use_defaultEEEPS5_SJ_SJ_NS9_4lessIxEEEE10hipError_tPvRmT0_T1_T2_T3_T4_T5_mmT6_P12ihipStream_tbEUlT_E0_NS1_11comp_targetILNS1_3genE3ELNS1_11target_archE908ELNS1_3gpuE7ELNS1_3repE0EEENS1_30default_config_static_selectorELNS0_4arch9wavefront6targetE1EEEvSQ_,comdat
	.protected	_ZN7rocprim17ROCPRIM_400000_NS6detail17trampoline_kernelINS0_14default_configENS1_21merge_config_selectorIxNS0_10empty_typeEEEZNS1_10merge_implIS3_N6thrust23THRUST_200600_302600_NS6detail15normal_iteratorINS9_10device_ptrIKxEEEESF_NS9_16discard_iteratorINS9_11use_defaultEEEPS5_SJ_SJ_NS9_4lessIxEEEE10hipError_tPvRmT0_T1_T2_T3_T4_T5_mmT6_P12ihipStream_tbEUlT_E0_NS1_11comp_targetILNS1_3genE3ELNS1_11target_archE908ELNS1_3gpuE7ELNS1_3repE0EEENS1_30default_config_static_selectorELNS0_4arch9wavefront6targetE1EEEvSQ_ ; -- Begin function _ZN7rocprim17ROCPRIM_400000_NS6detail17trampoline_kernelINS0_14default_configENS1_21merge_config_selectorIxNS0_10empty_typeEEEZNS1_10merge_implIS3_N6thrust23THRUST_200600_302600_NS6detail15normal_iteratorINS9_10device_ptrIKxEEEESF_NS9_16discard_iteratorINS9_11use_defaultEEEPS5_SJ_SJ_NS9_4lessIxEEEE10hipError_tPvRmT0_T1_T2_T3_T4_T5_mmT6_P12ihipStream_tbEUlT_E0_NS1_11comp_targetILNS1_3genE3ELNS1_11target_archE908ELNS1_3gpuE7ELNS1_3repE0EEENS1_30default_config_static_selectorELNS0_4arch9wavefront6targetE1EEEvSQ_
	.globl	_ZN7rocprim17ROCPRIM_400000_NS6detail17trampoline_kernelINS0_14default_configENS1_21merge_config_selectorIxNS0_10empty_typeEEEZNS1_10merge_implIS3_N6thrust23THRUST_200600_302600_NS6detail15normal_iteratorINS9_10device_ptrIKxEEEESF_NS9_16discard_iteratorINS9_11use_defaultEEEPS5_SJ_SJ_NS9_4lessIxEEEE10hipError_tPvRmT0_T1_T2_T3_T4_T5_mmT6_P12ihipStream_tbEUlT_E0_NS1_11comp_targetILNS1_3genE3ELNS1_11target_archE908ELNS1_3gpuE7ELNS1_3repE0EEENS1_30default_config_static_selectorELNS0_4arch9wavefront6targetE1EEEvSQ_
	.p2align	8
	.type	_ZN7rocprim17ROCPRIM_400000_NS6detail17trampoline_kernelINS0_14default_configENS1_21merge_config_selectorIxNS0_10empty_typeEEEZNS1_10merge_implIS3_N6thrust23THRUST_200600_302600_NS6detail15normal_iteratorINS9_10device_ptrIKxEEEESF_NS9_16discard_iteratorINS9_11use_defaultEEEPS5_SJ_SJ_NS9_4lessIxEEEE10hipError_tPvRmT0_T1_T2_T3_T4_T5_mmT6_P12ihipStream_tbEUlT_E0_NS1_11comp_targetILNS1_3genE3ELNS1_11target_archE908ELNS1_3gpuE7ELNS1_3repE0EEENS1_30default_config_static_selectorELNS0_4arch9wavefront6targetE1EEEvSQ_,@function
_ZN7rocprim17ROCPRIM_400000_NS6detail17trampoline_kernelINS0_14default_configENS1_21merge_config_selectorIxNS0_10empty_typeEEEZNS1_10merge_implIS3_N6thrust23THRUST_200600_302600_NS6detail15normal_iteratorINS9_10device_ptrIKxEEEESF_NS9_16discard_iteratorINS9_11use_defaultEEEPS5_SJ_SJ_NS9_4lessIxEEEE10hipError_tPvRmT0_T1_T2_T3_T4_T5_mmT6_P12ihipStream_tbEUlT_E0_NS1_11comp_targetILNS1_3genE3ELNS1_11target_archE908ELNS1_3gpuE7ELNS1_3repE0EEENS1_30default_config_static_selectorELNS0_4arch9wavefront6targetE1EEEvSQ_: ; @_ZN7rocprim17ROCPRIM_400000_NS6detail17trampoline_kernelINS0_14default_configENS1_21merge_config_selectorIxNS0_10empty_typeEEEZNS1_10merge_implIS3_N6thrust23THRUST_200600_302600_NS6detail15normal_iteratorINS9_10device_ptrIKxEEEESF_NS9_16discard_iteratorINS9_11use_defaultEEEPS5_SJ_SJ_NS9_4lessIxEEEE10hipError_tPvRmT0_T1_T2_T3_T4_T5_mmT6_P12ihipStream_tbEUlT_E0_NS1_11comp_targetILNS1_3genE3ELNS1_11target_archE908ELNS1_3gpuE7ELNS1_3repE0EEENS1_30default_config_static_selectorELNS0_4arch9wavefront6targetE1EEEvSQ_
; %bb.0:
	.section	.rodata,"a",@progbits
	.p2align	6, 0x0
	.amdhsa_kernel _ZN7rocprim17ROCPRIM_400000_NS6detail17trampoline_kernelINS0_14default_configENS1_21merge_config_selectorIxNS0_10empty_typeEEEZNS1_10merge_implIS3_N6thrust23THRUST_200600_302600_NS6detail15normal_iteratorINS9_10device_ptrIKxEEEESF_NS9_16discard_iteratorINS9_11use_defaultEEEPS5_SJ_SJ_NS9_4lessIxEEEE10hipError_tPvRmT0_T1_T2_T3_T4_T5_mmT6_P12ihipStream_tbEUlT_E0_NS1_11comp_targetILNS1_3genE3ELNS1_11target_archE908ELNS1_3gpuE7ELNS1_3repE0EEENS1_30default_config_static_selectorELNS0_4arch9wavefront6targetE1EEEvSQ_
		.amdhsa_group_segment_fixed_size 0
		.amdhsa_private_segment_fixed_size 0
		.amdhsa_kernarg_size 96
		.amdhsa_user_sgpr_count 6
		.amdhsa_user_sgpr_private_segment_buffer 1
		.amdhsa_user_sgpr_dispatch_ptr 0
		.amdhsa_user_sgpr_queue_ptr 0
		.amdhsa_user_sgpr_kernarg_segment_ptr 1
		.amdhsa_user_sgpr_dispatch_id 0
		.amdhsa_user_sgpr_flat_scratch_init 0
		.amdhsa_user_sgpr_kernarg_preload_length 0
		.amdhsa_user_sgpr_kernarg_preload_offset 0
		.amdhsa_user_sgpr_private_segment_size 0
		.amdhsa_uses_dynamic_stack 0
		.amdhsa_system_sgpr_private_segment_wavefront_offset 0
		.amdhsa_system_sgpr_workgroup_id_x 1
		.amdhsa_system_sgpr_workgroup_id_y 0
		.amdhsa_system_sgpr_workgroup_id_z 0
		.amdhsa_system_sgpr_workgroup_info 0
		.amdhsa_system_vgpr_workitem_id 0
		.amdhsa_next_free_vgpr 1
		.amdhsa_next_free_sgpr 0
		.amdhsa_accum_offset 4
		.amdhsa_reserve_vcc 0
		.amdhsa_reserve_flat_scratch 0
		.amdhsa_float_round_mode_32 0
		.amdhsa_float_round_mode_16_64 0
		.amdhsa_float_denorm_mode_32 3
		.amdhsa_float_denorm_mode_16_64 3
		.amdhsa_dx10_clamp 1
		.amdhsa_ieee_mode 1
		.amdhsa_fp16_overflow 0
		.amdhsa_tg_split 0
		.amdhsa_exception_fp_ieee_invalid_op 0
		.amdhsa_exception_fp_denorm_src 0
		.amdhsa_exception_fp_ieee_div_zero 0
		.amdhsa_exception_fp_ieee_overflow 0
		.amdhsa_exception_fp_ieee_underflow 0
		.amdhsa_exception_fp_ieee_inexact 0
		.amdhsa_exception_int_div_zero 0
	.end_amdhsa_kernel
	.section	.text._ZN7rocprim17ROCPRIM_400000_NS6detail17trampoline_kernelINS0_14default_configENS1_21merge_config_selectorIxNS0_10empty_typeEEEZNS1_10merge_implIS3_N6thrust23THRUST_200600_302600_NS6detail15normal_iteratorINS9_10device_ptrIKxEEEESF_NS9_16discard_iteratorINS9_11use_defaultEEEPS5_SJ_SJ_NS9_4lessIxEEEE10hipError_tPvRmT0_T1_T2_T3_T4_T5_mmT6_P12ihipStream_tbEUlT_E0_NS1_11comp_targetILNS1_3genE3ELNS1_11target_archE908ELNS1_3gpuE7ELNS1_3repE0EEENS1_30default_config_static_selectorELNS0_4arch9wavefront6targetE1EEEvSQ_,"axG",@progbits,_ZN7rocprim17ROCPRIM_400000_NS6detail17trampoline_kernelINS0_14default_configENS1_21merge_config_selectorIxNS0_10empty_typeEEEZNS1_10merge_implIS3_N6thrust23THRUST_200600_302600_NS6detail15normal_iteratorINS9_10device_ptrIKxEEEESF_NS9_16discard_iteratorINS9_11use_defaultEEEPS5_SJ_SJ_NS9_4lessIxEEEE10hipError_tPvRmT0_T1_T2_T3_T4_T5_mmT6_P12ihipStream_tbEUlT_E0_NS1_11comp_targetILNS1_3genE3ELNS1_11target_archE908ELNS1_3gpuE7ELNS1_3repE0EEENS1_30default_config_static_selectorELNS0_4arch9wavefront6targetE1EEEvSQ_,comdat
.Lfunc_end419:
	.size	_ZN7rocprim17ROCPRIM_400000_NS6detail17trampoline_kernelINS0_14default_configENS1_21merge_config_selectorIxNS0_10empty_typeEEEZNS1_10merge_implIS3_N6thrust23THRUST_200600_302600_NS6detail15normal_iteratorINS9_10device_ptrIKxEEEESF_NS9_16discard_iteratorINS9_11use_defaultEEEPS5_SJ_SJ_NS9_4lessIxEEEE10hipError_tPvRmT0_T1_T2_T3_T4_T5_mmT6_P12ihipStream_tbEUlT_E0_NS1_11comp_targetILNS1_3genE3ELNS1_11target_archE908ELNS1_3gpuE7ELNS1_3repE0EEENS1_30default_config_static_selectorELNS0_4arch9wavefront6targetE1EEEvSQ_, .Lfunc_end419-_ZN7rocprim17ROCPRIM_400000_NS6detail17trampoline_kernelINS0_14default_configENS1_21merge_config_selectorIxNS0_10empty_typeEEEZNS1_10merge_implIS3_N6thrust23THRUST_200600_302600_NS6detail15normal_iteratorINS9_10device_ptrIKxEEEESF_NS9_16discard_iteratorINS9_11use_defaultEEEPS5_SJ_SJ_NS9_4lessIxEEEE10hipError_tPvRmT0_T1_T2_T3_T4_T5_mmT6_P12ihipStream_tbEUlT_E0_NS1_11comp_targetILNS1_3genE3ELNS1_11target_archE908ELNS1_3gpuE7ELNS1_3repE0EEENS1_30default_config_static_selectorELNS0_4arch9wavefront6targetE1EEEvSQ_
                                        ; -- End function
	.section	.AMDGPU.csdata,"",@progbits
; Kernel info:
; codeLenInByte = 0
; NumSgprs: 4
; NumVgprs: 0
; NumAgprs: 0
; TotalNumVgprs: 0
; ScratchSize: 0
; MemoryBound: 0
; FloatMode: 240
; IeeeMode: 1
; LDSByteSize: 0 bytes/workgroup (compile time only)
; SGPRBlocks: 0
; VGPRBlocks: 0
; NumSGPRsForWavesPerEU: 4
; NumVGPRsForWavesPerEU: 1
; AccumOffset: 4
; Occupancy: 8
; WaveLimiterHint : 0
; COMPUTE_PGM_RSRC2:SCRATCH_EN: 0
; COMPUTE_PGM_RSRC2:USER_SGPR: 6
; COMPUTE_PGM_RSRC2:TRAP_HANDLER: 0
; COMPUTE_PGM_RSRC2:TGID_X_EN: 1
; COMPUTE_PGM_RSRC2:TGID_Y_EN: 0
; COMPUTE_PGM_RSRC2:TGID_Z_EN: 0
; COMPUTE_PGM_RSRC2:TIDIG_COMP_CNT: 0
; COMPUTE_PGM_RSRC3_GFX90A:ACCUM_OFFSET: 0
; COMPUTE_PGM_RSRC3_GFX90A:TG_SPLIT: 0
	.section	.text._ZN7rocprim17ROCPRIM_400000_NS6detail17trampoline_kernelINS0_14default_configENS1_21merge_config_selectorIxNS0_10empty_typeEEEZNS1_10merge_implIS3_N6thrust23THRUST_200600_302600_NS6detail15normal_iteratorINS9_10device_ptrIKxEEEESF_NS9_16discard_iteratorINS9_11use_defaultEEEPS5_SJ_SJ_NS9_4lessIxEEEE10hipError_tPvRmT0_T1_T2_T3_T4_T5_mmT6_P12ihipStream_tbEUlT_E0_NS1_11comp_targetILNS1_3genE2ELNS1_11target_archE906ELNS1_3gpuE6ELNS1_3repE0EEENS1_30default_config_static_selectorELNS0_4arch9wavefront6targetE1EEEvSQ_,"axG",@progbits,_ZN7rocprim17ROCPRIM_400000_NS6detail17trampoline_kernelINS0_14default_configENS1_21merge_config_selectorIxNS0_10empty_typeEEEZNS1_10merge_implIS3_N6thrust23THRUST_200600_302600_NS6detail15normal_iteratorINS9_10device_ptrIKxEEEESF_NS9_16discard_iteratorINS9_11use_defaultEEEPS5_SJ_SJ_NS9_4lessIxEEEE10hipError_tPvRmT0_T1_T2_T3_T4_T5_mmT6_P12ihipStream_tbEUlT_E0_NS1_11comp_targetILNS1_3genE2ELNS1_11target_archE906ELNS1_3gpuE6ELNS1_3repE0EEENS1_30default_config_static_selectorELNS0_4arch9wavefront6targetE1EEEvSQ_,comdat
	.protected	_ZN7rocprim17ROCPRIM_400000_NS6detail17trampoline_kernelINS0_14default_configENS1_21merge_config_selectorIxNS0_10empty_typeEEEZNS1_10merge_implIS3_N6thrust23THRUST_200600_302600_NS6detail15normal_iteratorINS9_10device_ptrIKxEEEESF_NS9_16discard_iteratorINS9_11use_defaultEEEPS5_SJ_SJ_NS9_4lessIxEEEE10hipError_tPvRmT0_T1_T2_T3_T4_T5_mmT6_P12ihipStream_tbEUlT_E0_NS1_11comp_targetILNS1_3genE2ELNS1_11target_archE906ELNS1_3gpuE6ELNS1_3repE0EEENS1_30default_config_static_selectorELNS0_4arch9wavefront6targetE1EEEvSQ_ ; -- Begin function _ZN7rocprim17ROCPRIM_400000_NS6detail17trampoline_kernelINS0_14default_configENS1_21merge_config_selectorIxNS0_10empty_typeEEEZNS1_10merge_implIS3_N6thrust23THRUST_200600_302600_NS6detail15normal_iteratorINS9_10device_ptrIKxEEEESF_NS9_16discard_iteratorINS9_11use_defaultEEEPS5_SJ_SJ_NS9_4lessIxEEEE10hipError_tPvRmT0_T1_T2_T3_T4_T5_mmT6_P12ihipStream_tbEUlT_E0_NS1_11comp_targetILNS1_3genE2ELNS1_11target_archE906ELNS1_3gpuE6ELNS1_3repE0EEENS1_30default_config_static_selectorELNS0_4arch9wavefront6targetE1EEEvSQ_
	.globl	_ZN7rocprim17ROCPRIM_400000_NS6detail17trampoline_kernelINS0_14default_configENS1_21merge_config_selectorIxNS0_10empty_typeEEEZNS1_10merge_implIS3_N6thrust23THRUST_200600_302600_NS6detail15normal_iteratorINS9_10device_ptrIKxEEEESF_NS9_16discard_iteratorINS9_11use_defaultEEEPS5_SJ_SJ_NS9_4lessIxEEEE10hipError_tPvRmT0_T1_T2_T3_T4_T5_mmT6_P12ihipStream_tbEUlT_E0_NS1_11comp_targetILNS1_3genE2ELNS1_11target_archE906ELNS1_3gpuE6ELNS1_3repE0EEENS1_30default_config_static_selectorELNS0_4arch9wavefront6targetE1EEEvSQ_
	.p2align	8
	.type	_ZN7rocprim17ROCPRIM_400000_NS6detail17trampoline_kernelINS0_14default_configENS1_21merge_config_selectorIxNS0_10empty_typeEEEZNS1_10merge_implIS3_N6thrust23THRUST_200600_302600_NS6detail15normal_iteratorINS9_10device_ptrIKxEEEESF_NS9_16discard_iteratorINS9_11use_defaultEEEPS5_SJ_SJ_NS9_4lessIxEEEE10hipError_tPvRmT0_T1_T2_T3_T4_T5_mmT6_P12ihipStream_tbEUlT_E0_NS1_11comp_targetILNS1_3genE2ELNS1_11target_archE906ELNS1_3gpuE6ELNS1_3repE0EEENS1_30default_config_static_selectorELNS0_4arch9wavefront6targetE1EEEvSQ_,@function
_ZN7rocprim17ROCPRIM_400000_NS6detail17trampoline_kernelINS0_14default_configENS1_21merge_config_selectorIxNS0_10empty_typeEEEZNS1_10merge_implIS3_N6thrust23THRUST_200600_302600_NS6detail15normal_iteratorINS9_10device_ptrIKxEEEESF_NS9_16discard_iteratorINS9_11use_defaultEEEPS5_SJ_SJ_NS9_4lessIxEEEE10hipError_tPvRmT0_T1_T2_T3_T4_T5_mmT6_P12ihipStream_tbEUlT_E0_NS1_11comp_targetILNS1_3genE2ELNS1_11target_archE906ELNS1_3gpuE6ELNS1_3repE0EEENS1_30default_config_static_selectorELNS0_4arch9wavefront6targetE1EEEvSQ_: ; @_ZN7rocprim17ROCPRIM_400000_NS6detail17trampoline_kernelINS0_14default_configENS1_21merge_config_selectorIxNS0_10empty_typeEEEZNS1_10merge_implIS3_N6thrust23THRUST_200600_302600_NS6detail15normal_iteratorINS9_10device_ptrIKxEEEESF_NS9_16discard_iteratorINS9_11use_defaultEEEPS5_SJ_SJ_NS9_4lessIxEEEE10hipError_tPvRmT0_T1_T2_T3_T4_T5_mmT6_P12ihipStream_tbEUlT_E0_NS1_11comp_targetILNS1_3genE2ELNS1_11target_archE906ELNS1_3gpuE6ELNS1_3repE0EEENS1_30default_config_static_selectorELNS0_4arch9wavefront6targetE1EEEvSQ_
; %bb.0:
	.section	.rodata,"a",@progbits
	.p2align	6, 0x0
	.amdhsa_kernel _ZN7rocprim17ROCPRIM_400000_NS6detail17trampoline_kernelINS0_14default_configENS1_21merge_config_selectorIxNS0_10empty_typeEEEZNS1_10merge_implIS3_N6thrust23THRUST_200600_302600_NS6detail15normal_iteratorINS9_10device_ptrIKxEEEESF_NS9_16discard_iteratorINS9_11use_defaultEEEPS5_SJ_SJ_NS9_4lessIxEEEE10hipError_tPvRmT0_T1_T2_T3_T4_T5_mmT6_P12ihipStream_tbEUlT_E0_NS1_11comp_targetILNS1_3genE2ELNS1_11target_archE906ELNS1_3gpuE6ELNS1_3repE0EEENS1_30default_config_static_selectorELNS0_4arch9wavefront6targetE1EEEvSQ_
		.amdhsa_group_segment_fixed_size 0
		.amdhsa_private_segment_fixed_size 0
		.amdhsa_kernarg_size 96
		.amdhsa_user_sgpr_count 6
		.amdhsa_user_sgpr_private_segment_buffer 1
		.amdhsa_user_sgpr_dispatch_ptr 0
		.amdhsa_user_sgpr_queue_ptr 0
		.amdhsa_user_sgpr_kernarg_segment_ptr 1
		.amdhsa_user_sgpr_dispatch_id 0
		.amdhsa_user_sgpr_flat_scratch_init 0
		.amdhsa_user_sgpr_kernarg_preload_length 0
		.amdhsa_user_sgpr_kernarg_preload_offset 0
		.amdhsa_user_sgpr_private_segment_size 0
		.amdhsa_uses_dynamic_stack 0
		.amdhsa_system_sgpr_private_segment_wavefront_offset 0
		.amdhsa_system_sgpr_workgroup_id_x 1
		.amdhsa_system_sgpr_workgroup_id_y 0
		.amdhsa_system_sgpr_workgroup_id_z 0
		.amdhsa_system_sgpr_workgroup_info 0
		.amdhsa_system_vgpr_workitem_id 0
		.amdhsa_next_free_vgpr 1
		.amdhsa_next_free_sgpr 0
		.amdhsa_accum_offset 4
		.amdhsa_reserve_vcc 0
		.amdhsa_reserve_flat_scratch 0
		.amdhsa_float_round_mode_32 0
		.amdhsa_float_round_mode_16_64 0
		.amdhsa_float_denorm_mode_32 3
		.amdhsa_float_denorm_mode_16_64 3
		.amdhsa_dx10_clamp 1
		.amdhsa_ieee_mode 1
		.amdhsa_fp16_overflow 0
		.amdhsa_tg_split 0
		.amdhsa_exception_fp_ieee_invalid_op 0
		.amdhsa_exception_fp_denorm_src 0
		.amdhsa_exception_fp_ieee_div_zero 0
		.amdhsa_exception_fp_ieee_overflow 0
		.amdhsa_exception_fp_ieee_underflow 0
		.amdhsa_exception_fp_ieee_inexact 0
		.amdhsa_exception_int_div_zero 0
	.end_amdhsa_kernel
	.section	.text._ZN7rocprim17ROCPRIM_400000_NS6detail17trampoline_kernelINS0_14default_configENS1_21merge_config_selectorIxNS0_10empty_typeEEEZNS1_10merge_implIS3_N6thrust23THRUST_200600_302600_NS6detail15normal_iteratorINS9_10device_ptrIKxEEEESF_NS9_16discard_iteratorINS9_11use_defaultEEEPS5_SJ_SJ_NS9_4lessIxEEEE10hipError_tPvRmT0_T1_T2_T3_T4_T5_mmT6_P12ihipStream_tbEUlT_E0_NS1_11comp_targetILNS1_3genE2ELNS1_11target_archE906ELNS1_3gpuE6ELNS1_3repE0EEENS1_30default_config_static_selectorELNS0_4arch9wavefront6targetE1EEEvSQ_,"axG",@progbits,_ZN7rocprim17ROCPRIM_400000_NS6detail17trampoline_kernelINS0_14default_configENS1_21merge_config_selectorIxNS0_10empty_typeEEEZNS1_10merge_implIS3_N6thrust23THRUST_200600_302600_NS6detail15normal_iteratorINS9_10device_ptrIKxEEEESF_NS9_16discard_iteratorINS9_11use_defaultEEEPS5_SJ_SJ_NS9_4lessIxEEEE10hipError_tPvRmT0_T1_T2_T3_T4_T5_mmT6_P12ihipStream_tbEUlT_E0_NS1_11comp_targetILNS1_3genE2ELNS1_11target_archE906ELNS1_3gpuE6ELNS1_3repE0EEENS1_30default_config_static_selectorELNS0_4arch9wavefront6targetE1EEEvSQ_,comdat
.Lfunc_end420:
	.size	_ZN7rocprim17ROCPRIM_400000_NS6detail17trampoline_kernelINS0_14default_configENS1_21merge_config_selectorIxNS0_10empty_typeEEEZNS1_10merge_implIS3_N6thrust23THRUST_200600_302600_NS6detail15normal_iteratorINS9_10device_ptrIKxEEEESF_NS9_16discard_iteratorINS9_11use_defaultEEEPS5_SJ_SJ_NS9_4lessIxEEEE10hipError_tPvRmT0_T1_T2_T3_T4_T5_mmT6_P12ihipStream_tbEUlT_E0_NS1_11comp_targetILNS1_3genE2ELNS1_11target_archE906ELNS1_3gpuE6ELNS1_3repE0EEENS1_30default_config_static_selectorELNS0_4arch9wavefront6targetE1EEEvSQ_, .Lfunc_end420-_ZN7rocprim17ROCPRIM_400000_NS6detail17trampoline_kernelINS0_14default_configENS1_21merge_config_selectorIxNS0_10empty_typeEEEZNS1_10merge_implIS3_N6thrust23THRUST_200600_302600_NS6detail15normal_iteratorINS9_10device_ptrIKxEEEESF_NS9_16discard_iteratorINS9_11use_defaultEEEPS5_SJ_SJ_NS9_4lessIxEEEE10hipError_tPvRmT0_T1_T2_T3_T4_T5_mmT6_P12ihipStream_tbEUlT_E0_NS1_11comp_targetILNS1_3genE2ELNS1_11target_archE906ELNS1_3gpuE6ELNS1_3repE0EEENS1_30default_config_static_selectorELNS0_4arch9wavefront6targetE1EEEvSQ_
                                        ; -- End function
	.section	.AMDGPU.csdata,"",@progbits
; Kernel info:
; codeLenInByte = 0
; NumSgprs: 4
; NumVgprs: 0
; NumAgprs: 0
; TotalNumVgprs: 0
; ScratchSize: 0
; MemoryBound: 0
; FloatMode: 240
; IeeeMode: 1
; LDSByteSize: 0 bytes/workgroup (compile time only)
; SGPRBlocks: 0
; VGPRBlocks: 0
; NumSGPRsForWavesPerEU: 4
; NumVGPRsForWavesPerEU: 1
; AccumOffset: 4
; Occupancy: 8
; WaveLimiterHint : 0
; COMPUTE_PGM_RSRC2:SCRATCH_EN: 0
; COMPUTE_PGM_RSRC2:USER_SGPR: 6
; COMPUTE_PGM_RSRC2:TRAP_HANDLER: 0
; COMPUTE_PGM_RSRC2:TGID_X_EN: 1
; COMPUTE_PGM_RSRC2:TGID_Y_EN: 0
; COMPUTE_PGM_RSRC2:TGID_Z_EN: 0
; COMPUTE_PGM_RSRC2:TIDIG_COMP_CNT: 0
; COMPUTE_PGM_RSRC3_GFX90A:ACCUM_OFFSET: 0
; COMPUTE_PGM_RSRC3_GFX90A:TG_SPLIT: 0
	.section	.text._ZN7rocprim17ROCPRIM_400000_NS6detail17trampoline_kernelINS0_14default_configENS1_21merge_config_selectorIxNS0_10empty_typeEEEZNS1_10merge_implIS3_N6thrust23THRUST_200600_302600_NS6detail15normal_iteratorINS9_10device_ptrIKxEEEESF_NS9_16discard_iteratorINS9_11use_defaultEEEPS5_SJ_SJ_NS9_4lessIxEEEE10hipError_tPvRmT0_T1_T2_T3_T4_T5_mmT6_P12ihipStream_tbEUlT_E0_NS1_11comp_targetILNS1_3genE10ELNS1_11target_archE1201ELNS1_3gpuE5ELNS1_3repE0EEENS1_30default_config_static_selectorELNS0_4arch9wavefront6targetE1EEEvSQ_,"axG",@progbits,_ZN7rocprim17ROCPRIM_400000_NS6detail17trampoline_kernelINS0_14default_configENS1_21merge_config_selectorIxNS0_10empty_typeEEEZNS1_10merge_implIS3_N6thrust23THRUST_200600_302600_NS6detail15normal_iteratorINS9_10device_ptrIKxEEEESF_NS9_16discard_iteratorINS9_11use_defaultEEEPS5_SJ_SJ_NS9_4lessIxEEEE10hipError_tPvRmT0_T1_T2_T3_T4_T5_mmT6_P12ihipStream_tbEUlT_E0_NS1_11comp_targetILNS1_3genE10ELNS1_11target_archE1201ELNS1_3gpuE5ELNS1_3repE0EEENS1_30default_config_static_selectorELNS0_4arch9wavefront6targetE1EEEvSQ_,comdat
	.protected	_ZN7rocprim17ROCPRIM_400000_NS6detail17trampoline_kernelINS0_14default_configENS1_21merge_config_selectorIxNS0_10empty_typeEEEZNS1_10merge_implIS3_N6thrust23THRUST_200600_302600_NS6detail15normal_iteratorINS9_10device_ptrIKxEEEESF_NS9_16discard_iteratorINS9_11use_defaultEEEPS5_SJ_SJ_NS9_4lessIxEEEE10hipError_tPvRmT0_T1_T2_T3_T4_T5_mmT6_P12ihipStream_tbEUlT_E0_NS1_11comp_targetILNS1_3genE10ELNS1_11target_archE1201ELNS1_3gpuE5ELNS1_3repE0EEENS1_30default_config_static_selectorELNS0_4arch9wavefront6targetE1EEEvSQ_ ; -- Begin function _ZN7rocprim17ROCPRIM_400000_NS6detail17trampoline_kernelINS0_14default_configENS1_21merge_config_selectorIxNS0_10empty_typeEEEZNS1_10merge_implIS3_N6thrust23THRUST_200600_302600_NS6detail15normal_iteratorINS9_10device_ptrIKxEEEESF_NS9_16discard_iteratorINS9_11use_defaultEEEPS5_SJ_SJ_NS9_4lessIxEEEE10hipError_tPvRmT0_T1_T2_T3_T4_T5_mmT6_P12ihipStream_tbEUlT_E0_NS1_11comp_targetILNS1_3genE10ELNS1_11target_archE1201ELNS1_3gpuE5ELNS1_3repE0EEENS1_30default_config_static_selectorELNS0_4arch9wavefront6targetE1EEEvSQ_
	.globl	_ZN7rocprim17ROCPRIM_400000_NS6detail17trampoline_kernelINS0_14default_configENS1_21merge_config_selectorIxNS0_10empty_typeEEEZNS1_10merge_implIS3_N6thrust23THRUST_200600_302600_NS6detail15normal_iteratorINS9_10device_ptrIKxEEEESF_NS9_16discard_iteratorINS9_11use_defaultEEEPS5_SJ_SJ_NS9_4lessIxEEEE10hipError_tPvRmT0_T1_T2_T3_T4_T5_mmT6_P12ihipStream_tbEUlT_E0_NS1_11comp_targetILNS1_3genE10ELNS1_11target_archE1201ELNS1_3gpuE5ELNS1_3repE0EEENS1_30default_config_static_selectorELNS0_4arch9wavefront6targetE1EEEvSQ_
	.p2align	8
	.type	_ZN7rocprim17ROCPRIM_400000_NS6detail17trampoline_kernelINS0_14default_configENS1_21merge_config_selectorIxNS0_10empty_typeEEEZNS1_10merge_implIS3_N6thrust23THRUST_200600_302600_NS6detail15normal_iteratorINS9_10device_ptrIKxEEEESF_NS9_16discard_iteratorINS9_11use_defaultEEEPS5_SJ_SJ_NS9_4lessIxEEEE10hipError_tPvRmT0_T1_T2_T3_T4_T5_mmT6_P12ihipStream_tbEUlT_E0_NS1_11comp_targetILNS1_3genE10ELNS1_11target_archE1201ELNS1_3gpuE5ELNS1_3repE0EEENS1_30default_config_static_selectorELNS0_4arch9wavefront6targetE1EEEvSQ_,@function
_ZN7rocprim17ROCPRIM_400000_NS6detail17trampoline_kernelINS0_14default_configENS1_21merge_config_selectorIxNS0_10empty_typeEEEZNS1_10merge_implIS3_N6thrust23THRUST_200600_302600_NS6detail15normal_iteratorINS9_10device_ptrIKxEEEESF_NS9_16discard_iteratorINS9_11use_defaultEEEPS5_SJ_SJ_NS9_4lessIxEEEE10hipError_tPvRmT0_T1_T2_T3_T4_T5_mmT6_P12ihipStream_tbEUlT_E0_NS1_11comp_targetILNS1_3genE10ELNS1_11target_archE1201ELNS1_3gpuE5ELNS1_3repE0EEENS1_30default_config_static_selectorELNS0_4arch9wavefront6targetE1EEEvSQ_: ; @_ZN7rocprim17ROCPRIM_400000_NS6detail17trampoline_kernelINS0_14default_configENS1_21merge_config_selectorIxNS0_10empty_typeEEEZNS1_10merge_implIS3_N6thrust23THRUST_200600_302600_NS6detail15normal_iteratorINS9_10device_ptrIKxEEEESF_NS9_16discard_iteratorINS9_11use_defaultEEEPS5_SJ_SJ_NS9_4lessIxEEEE10hipError_tPvRmT0_T1_T2_T3_T4_T5_mmT6_P12ihipStream_tbEUlT_E0_NS1_11comp_targetILNS1_3genE10ELNS1_11target_archE1201ELNS1_3gpuE5ELNS1_3repE0EEENS1_30default_config_static_selectorELNS0_4arch9wavefront6targetE1EEEvSQ_
; %bb.0:
	.section	.rodata,"a",@progbits
	.p2align	6, 0x0
	.amdhsa_kernel _ZN7rocprim17ROCPRIM_400000_NS6detail17trampoline_kernelINS0_14default_configENS1_21merge_config_selectorIxNS0_10empty_typeEEEZNS1_10merge_implIS3_N6thrust23THRUST_200600_302600_NS6detail15normal_iteratorINS9_10device_ptrIKxEEEESF_NS9_16discard_iteratorINS9_11use_defaultEEEPS5_SJ_SJ_NS9_4lessIxEEEE10hipError_tPvRmT0_T1_T2_T3_T4_T5_mmT6_P12ihipStream_tbEUlT_E0_NS1_11comp_targetILNS1_3genE10ELNS1_11target_archE1201ELNS1_3gpuE5ELNS1_3repE0EEENS1_30default_config_static_selectorELNS0_4arch9wavefront6targetE1EEEvSQ_
		.amdhsa_group_segment_fixed_size 0
		.amdhsa_private_segment_fixed_size 0
		.amdhsa_kernarg_size 96
		.amdhsa_user_sgpr_count 6
		.amdhsa_user_sgpr_private_segment_buffer 1
		.amdhsa_user_sgpr_dispatch_ptr 0
		.amdhsa_user_sgpr_queue_ptr 0
		.amdhsa_user_sgpr_kernarg_segment_ptr 1
		.amdhsa_user_sgpr_dispatch_id 0
		.amdhsa_user_sgpr_flat_scratch_init 0
		.amdhsa_user_sgpr_kernarg_preload_length 0
		.amdhsa_user_sgpr_kernarg_preload_offset 0
		.amdhsa_user_sgpr_private_segment_size 0
		.amdhsa_uses_dynamic_stack 0
		.amdhsa_system_sgpr_private_segment_wavefront_offset 0
		.amdhsa_system_sgpr_workgroup_id_x 1
		.amdhsa_system_sgpr_workgroup_id_y 0
		.amdhsa_system_sgpr_workgroup_id_z 0
		.amdhsa_system_sgpr_workgroup_info 0
		.amdhsa_system_vgpr_workitem_id 0
		.amdhsa_next_free_vgpr 1
		.amdhsa_next_free_sgpr 0
		.amdhsa_accum_offset 4
		.amdhsa_reserve_vcc 0
		.amdhsa_reserve_flat_scratch 0
		.amdhsa_float_round_mode_32 0
		.amdhsa_float_round_mode_16_64 0
		.amdhsa_float_denorm_mode_32 3
		.amdhsa_float_denorm_mode_16_64 3
		.amdhsa_dx10_clamp 1
		.amdhsa_ieee_mode 1
		.amdhsa_fp16_overflow 0
		.amdhsa_tg_split 0
		.amdhsa_exception_fp_ieee_invalid_op 0
		.amdhsa_exception_fp_denorm_src 0
		.amdhsa_exception_fp_ieee_div_zero 0
		.amdhsa_exception_fp_ieee_overflow 0
		.amdhsa_exception_fp_ieee_underflow 0
		.amdhsa_exception_fp_ieee_inexact 0
		.amdhsa_exception_int_div_zero 0
	.end_amdhsa_kernel
	.section	.text._ZN7rocprim17ROCPRIM_400000_NS6detail17trampoline_kernelINS0_14default_configENS1_21merge_config_selectorIxNS0_10empty_typeEEEZNS1_10merge_implIS3_N6thrust23THRUST_200600_302600_NS6detail15normal_iteratorINS9_10device_ptrIKxEEEESF_NS9_16discard_iteratorINS9_11use_defaultEEEPS5_SJ_SJ_NS9_4lessIxEEEE10hipError_tPvRmT0_T1_T2_T3_T4_T5_mmT6_P12ihipStream_tbEUlT_E0_NS1_11comp_targetILNS1_3genE10ELNS1_11target_archE1201ELNS1_3gpuE5ELNS1_3repE0EEENS1_30default_config_static_selectorELNS0_4arch9wavefront6targetE1EEEvSQ_,"axG",@progbits,_ZN7rocprim17ROCPRIM_400000_NS6detail17trampoline_kernelINS0_14default_configENS1_21merge_config_selectorIxNS0_10empty_typeEEEZNS1_10merge_implIS3_N6thrust23THRUST_200600_302600_NS6detail15normal_iteratorINS9_10device_ptrIKxEEEESF_NS9_16discard_iteratorINS9_11use_defaultEEEPS5_SJ_SJ_NS9_4lessIxEEEE10hipError_tPvRmT0_T1_T2_T3_T4_T5_mmT6_P12ihipStream_tbEUlT_E0_NS1_11comp_targetILNS1_3genE10ELNS1_11target_archE1201ELNS1_3gpuE5ELNS1_3repE0EEENS1_30default_config_static_selectorELNS0_4arch9wavefront6targetE1EEEvSQ_,comdat
.Lfunc_end421:
	.size	_ZN7rocprim17ROCPRIM_400000_NS6detail17trampoline_kernelINS0_14default_configENS1_21merge_config_selectorIxNS0_10empty_typeEEEZNS1_10merge_implIS3_N6thrust23THRUST_200600_302600_NS6detail15normal_iteratorINS9_10device_ptrIKxEEEESF_NS9_16discard_iteratorINS9_11use_defaultEEEPS5_SJ_SJ_NS9_4lessIxEEEE10hipError_tPvRmT0_T1_T2_T3_T4_T5_mmT6_P12ihipStream_tbEUlT_E0_NS1_11comp_targetILNS1_3genE10ELNS1_11target_archE1201ELNS1_3gpuE5ELNS1_3repE0EEENS1_30default_config_static_selectorELNS0_4arch9wavefront6targetE1EEEvSQ_, .Lfunc_end421-_ZN7rocprim17ROCPRIM_400000_NS6detail17trampoline_kernelINS0_14default_configENS1_21merge_config_selectorIxNS0_10empty_typeEEEZNS1_10merge_implIS3_N6thrust23THRUST_200600_302600_NS6detail15normal_iteratorINS9_10device_ptrIKxEEEESF_NS9_16discard_iteratorINS9_11use_defaultEEEPS5_SJ_SJ_NS9_4lessIxEEEE10hipError_tPvRmT0_T1_T2_T3_T4_T5_mmT6_P12ihipStream_tbEUlT_E0_NS1_11comp_targetILNS1_3genE10ELNS1_11target_archE1201ELNS1_3gpuE5ELNS1_3repE0EEENS1_30default_config_static_selectorELNS0_4arch9wavefront6targetE1EEEvSQ_
                                        ; -- End function
	.section	.AMDGPU.csdata,"",@progbits
; Kernel info:
; codeLenInByte = 0
; NumSgprs: 4
; NumVgprs: 0
; NumAgprs: 0
; TotalNumVgprs: 0
; ScratchSize: 0
; MemoryBound: 0
; FloatMode: 240
; IeeeMode: 1
; LDSByteSize: 0 bytes/workgroup (compile time only)
; SGPRBlocks: 0
; VGPRBlocks: 0
; NumSGPRsForWavesPerEU: 4
; NumVGPRsForWavesPerEU: 1
; AccumOffset: 4
; Occupancy: 8
; WaveLimiterHint : 0
; COMPUTE_PGM_RSRC2:SCRATCH_EN: 0
; COMPUTE_PGM_RSRC2:USER_SGPR: 6
; COMPUTE_PGM_RSRC2:TRAP_HANDLER: 0
; COMPUTE_PGM_RSRC2:TGID_X_EN: 1
; COMPUTE_PGM_RSRC2:TGID_Y_EN: 0
; COMPUTE_PGM_RSRC2:TGID_Z_EN: 0
; COMPUTE_PGM_RSRC2:TIDIG_COMP_CNT: 0
; COMPUTE_PGM_RSRC3_GFX90A:ACCUM_OFFSET: 0
; COMPUTE_PGM_RSRC3_GFX90A:TG_SPLIT: 0
	.section	.text._ZN7rocprim17ROCPRIM_400000_NS6detail17trampoline_kernelINS0_14default_configENS1_21merge_config_selectorIxNS0_10empty_typeEEEZNS1_10merge_implIS3_N6thrust23THRUST_200600_302600_NS6detail15normal_iteratorINS9_10device_ptrIKxEEEESF_NS9_16discard_iteratorINS9_11use_defaultEEEPS5_SJ_SJ_NS9_4lessIxEEEE10hipError_tPvRmT0_T1_T2_T3_T4_T5_mmT6_P12ihipStream_tbEUlT_E0_NS1_11comp_targetILNS1_3genE10ELNS1_11target_archE1200ELNS1_3gpuE4ELNS1_3repE0EEENS1_30default_config_static_selectorELNS0_4arch9wavefront6targetE1EEEvSQ_,"axG",@progbits,_ZN7rocprim17ROCPRIM_400000_NS6detail17trampoline_kernelINS0_14default_configENS1_21merge_config_selectorIxNS0_10empty_typeEEEZNS1_10merge_implIS3_N6thrust23THRUST_200600_302600_NS6detail15normal_iteratorINS9_10device_ptrIKxEEEESF_NS9_16discard_iteratorINS9_11use_defaultEEEPS5_SJ_SJ_NS9_4lessIxEEEE10hipError_tPvRmT0_T1_T2_T3_T4_T5_mmT6_P12ihipStream_tbEUlT_E0_NS1_11comp_targetILNS1_3genE10ELNS1_11target_archE1200ELNS1_3gpuE4ELNS1_3repE0EEENS1_30default_config_static_selectorELNS0_4arch9wavefront6targetE1EEEvSQ_,comdat
	.protected	_ZN7rocprim17ROCPRIM_400000_NS6detail17trampoline_kernelINS0_14default_configENS1_21merge_config_selectorIxNS0_10empty_typeEEEZNS1_10merge_implIS3_N6thrust23THRUST_200600_302600_NS6detail15normal_iteratorINS9_10device_ptrIKxEEEESF_NS9_16discard_iteratorINS9_11use_defaultEEEPS5_SJ_SJ_NS9_4lessIxEEEE10hipError_tPvRmT0_T1_T2_T3_T4_T5_mmT6_P12ihipStream_tbEUlT_E0_NS1_11comp_targetILNS1_3genE10ELNS1_11target_archE1200ELNS1_3gpuE4ELNS1_3repE0EEENS1_30default_config_static_selectorELNS0_4arch9wavefront6targetE1EEEvSQ_ ; -- Begin function _ZN7rocprim17ROCPRIM_400000_NS6detail17trampoline_kernelINS0_14default_configENS1_21merge_config_selectorIxNS0_10empty_typeEEEZNS1_10merge_implIS3_N6thrust23THRUST_200600_302600_NS6detail15normal_iteratorINS9_10device_ptrIKxEEEESF_NS9_16discard_iteratorINS9_11use_defaultEEEPS5_SJ_SJ_NS9_4lessIxEEEE10hipError_tPvRmT0_T1_T2_T3_T4_T5_mmT6_P12ihipStream_tbEUlT_E0_NS1_11comp_targetILNS1_3genE10ELNS1_11target_archE1200ELNS1_3gpuE4ELNS1_3repE0EEENS1_30default_config_static_selectorELNS0_4arch9wavefront6targetE1EEEvSQ_
	.globl	_ZN7rocprim17ROCPRIM_400000_NS6detail17trampoline_kernelINS0_14default_configENS1_21merge_config_selectorIxNS0_10empty_typeEEEZNS1_10merge_implIS3_N6thrust23THRUST_200600_302600_NS6detail15normal_iteratorINS9_10device_ptrIKxEEEESF_NS9_16discard_iteratorINS9_11use_defaultEEEPS5_SJ_SJ_NS9_4lessIxEEEE10hipError_tPvRmT0_T1_T2_T3_T4_T5_mmT6_P12ihipStream_tbEUlT_E0_NS1_11comp_targetILNS1_3genE10ELNS1_11target_archE1200ELNS1_3gpuE4ELNS1_3repE0EEENS1_30default_config_static_selectorELNS0_4arch9wavefront6targetE1EEEvSQ_
	.p2align	8
	.type	_ZN7rocprim17ROCPRIM_400000_NS6detail17trampoline_kernelINS0_14default_configENS1_21merge_config_selectorIxNS0_10empty_typeEEEZNS1_10merge_implIS3_N6thrust23THRUST_200600_302600_NS6detail15normal_iteratorINS9_10device_ptrIKxEEEESF_NS9_16discard_iteratorINS9_11use_defaultEEEPS5_SJ_SJ_NS9_4lessIxEEEE10hipError_tPvRmT0_T1_T2_T3_T4_T5_mmT6_P12ihipStream_tbEUlT_E0_NS1_11comp_targetILNS1_3genE10ELNS1_11target_archE1200ELNS1_3gpuE4ELNS1_3repE0EEENS1_30default_config_static_selectorELNS0_4arch9wavefront6targetE1EEEvSQ_,@function
_ZN7rocprim17ROCPRIM_400000_NS6detail17trampoline_kernelINS0_14default_configENS1_21merge_config_selectorIxNS0_10empty_typeEEEZNS1_10merge_implIS3_N6thrust23THRUST_200600_302600_NS6detail15normal_iteratorINS9_10device_ptrIKxEEEESF_NS9_16discard_iteratorINS9_11use_defaultEEEPS5_SJ_SJ_NS9_4lessIxEEEE10hipError_tPvRmT0_T1_T2_T3_T4_T5_mmT6_P12ihipStream_tbEUlT_E0_NS1_11comp_targetILNS1_3genE10ELNS1_11target_archE1200ELNS1_3gpuE4ELNS1_3repE0EEENS1_30default_config_static_selectorELNS0_4arch9wavefront6targetE1EEEvSQ_: ; @_ZN7rocprim17ROCPRIM_400000_NS6detail17trampoline_kernelINS0_14default_configENS1_21merge_config_selectorIxNS0_10empty_typeEEEZNS1_10merge_implIS3_N6thrust23THRUST_200600_302600_NS6detail15normal_iteratorINS9_10device_ptrIKxEEEESF_NS9_16discard_iteratorINS9_11use_defaultEEEPS5_SJ_SJ_NS9_4lessIxEEEE10hipError_tPvRmT0_T1_T2_T3_T4_T5_mmT6_P12ihipStream_tbEUlT_E0_NS1_11comp_targetILNS1_3genE10ELNS1_11target_archE1200ELNS1_3gpuE4ELNS1_3repE0EEENS1_30default_config_static_selectorELNS0_4arch9wavefront6targetE1EEEvSQ_
; %bb.0:
	.section	.rodata,"a",@progbits
	.p2align	6, 0x0
	.amdhsa_kernel _ZN7rocprim17ROCPRIM_400000_NS6detail17trampoline_kernelINS0_14default_configENS1_21merge_config_selectorIxNS0_10empty_typeEEEZNS1_10merge_implIS3_N6thrust23THRUST_200600_302600_NS6detail15normal_iteratorINS9_10device_ptrIKxEEEESF_NS9_16discard_iteratorINS9_11use_defaultEEEPS5_SJ_SJ_NS9_4lessIxEEEE10hipError_tPvRmT0_T1_T2_T3_T4_T5_mmT6_P12ihipStream_tbEUlT_E0_NS1_11comp_targetILNS1_3genE10ELNS1_11target_archE1200ELNS1_3gpuE4ELNS1_3repE0EEENS1_30default_config_static_selectorELNS0_4arch9wavefront6targetE1EEEvSQ_
		.amdhsa_group_segment_fixed_size 0
		.amdhsa_private_segment_fixed_size 0
		.amdhsa_kernarg_size 96
		.amdhsa_user_sgpr_count 6
		.amdhsa_user_sgpr_private_segment_buffer 1
		.amdhsa_user_sgpr_dispatch_ptr 0
		.amdhsa_user_sgpr_queue_ptr 0
		.amdhsa_user_sgpr_kernarg_segment_ptr 1
		.amdhsa_user_sgpr_dispatch_id 0
		.amdhsa_user_sgpr_flat_scratch_init 0
		.amdhsa_user_sgpr_kernarg_preload_length 0
		.amdhsa_user_sgpr_kernarg_preload_offset 0
		.amdhsa_user_sgpr_private_segment_size 0
		.amdhsa_uses_dynamic_stack 0
		.amdhsa_system_sgpr_private_segment_wavefront_offset 0
		.amdhsa_system_sgpr_workgroup_id_x 1
		.amdhsa_system_sgpr_workgroup_id_y 0
		.amdhsa_system_sgpr_workgroup_id_z 0
		.amdhsa_system_sgpr_workgroup_info 0
		.amdhsa_system_vgpr_workitem_id 0
		.amdhsa_next_free_vgpr 1
		.amdhsa_next_free_sgpr 0
		.amdhsa_accum_offset 4
		.amdhsa_reserve_vcc 0
		.amdhsa_reserve_flat_scratch 0
		.amdhsa_float_round_mode_32 0
		.amdhsa_float_round_mode_16_64 0
		.amdhsa_float_denorm_mode_32 3
		.amdhsa_float_denorm_mode_16_64 3
		.amdhsa_dx10_clamp 1
		.amdhsa_ieee_mode 1
		.amdhsa_fp16_overflow 0
		.amdhsa_tg_split 0
		.amdhsa_exception_fp_ieee_invalid_op 0
		.amdhsa_exception_fp_denorm_src 0
		.amdhsa_exception_fp_ieee_div_zero 0
		.amdhsa_exception_fp_ieee_overflow 0
		.amdhsa_exception_fp_ieee_underflow 0
		.amdhsa_exception_fp_ieee_inexact 0
		.amdhsa_exception_int_div_zero 0
	.end_amdhsa_kernel
	.section	.text._ZN7rocprim17ROCPRIM_400000_NS6detail17trampoline_kernelINS0_14default_configENS1_21merge_config_selectorIxNS0_10empty_typeEEEZNS1_10merge_implIS3_N6thrust23THRUST_200600_302600_NS6detail15normal_iteratorINS9_10device_ptrIKxEEEESF_NS9_16discard_iteratorINS9_11use_defaultEEEPS5_SJ_SJ_NS9_4lessIxEEEE10hipError_tPvRmT0_T1_T2_T3_T4_T5_mmT6_P12ihipStream_tbEUlT_E0_NS1_11comp_targetILNS1_3genE10ELNS1_11target_archE1200ELNS1_3gpuE4ELNS1_3repE0EEENS1_30default_config_static_selectorELNS0_4arch9wavefront6targetE1EEEvSQ_,"axG",@progbits,_ZN7rocprim17ROCPRIM_400000_NS6detail17trampoline_kernelINS0_14default_configENS1_21merge_config_selectorIxNS0_10empty_typeEEEZNS1_10merge_implIS3_N6thrust23THRUST_200600_302600_NS6detail15normal_iteratorINS9_10device_ptrIKxEEEESF_NS9_16discard_iteratorINS9_11use_defaultEEEPS5_SJ_SJ_NS9_4lessIxEEEE10hipError_tPvRmT0_T1_T2_T3_T4_T5_mmT6_P12ihipStream_tbEUlT_E0_NS1_11comp_targetILNS1_3genE10ELNS1_11target_archE1200ELNS1_3gpuE4ELNS1_3repE0EEENS1_30default_config_static_selectorELNS0_4arch9wavefront6targetE1EEEvSQ_,comdat
.Lfunc_end422:
	.size	_ZN7rocprim17ROCPRIM_400000_NS6detail17trampoline_kernelINS0_14default_configENS1_21merge_config_selectorIxNS0_10empty_typeEEEZNS1_10merge_implIS3_N6thrust23THRUST_200600_302600_NS6detail15normal_iteratorINS9_10device_ptrIKxEEEESF_NS9_16discard_iteratorINS9_11use_defaultEEEPS5_SJ_SJ_NS9_4lessIxEEEE10hipError_tPvRmT0_T1_T2_T3_T4_T5_mmT6_P12ihipStream_tbEUlT_E0_NS1_11comp_targetILNS1_3genE10ELNS1_11target_archE1200ELNS1_3gpuE4ELNS1_3repE0EEENS1_30default_config_static_selectorELNS0_4arch9wavefront6targetE1EEEvSQ_, .Lfunc_end422-_ZN7rocprim17ROCPRIM_400000_NS6detail17trampoline_kernelINS0_14default_configENS1_21merge_config_selectorIxNS0_10empty_typeEEEZNS1_10merge_implIS3_N6thrust23THRUST_200600_302600_NS6detail15normal_iteratorINS9_10device_ptrIKxEEEESF_NS9_16discard_iteratorINS9_11use_defaultEEEPS5_SJ_SJ_NS9_4lessIxEEEE10hipError_tPvRmT0_T1_T2_T3_T4_T5_mmT6_P12ihipStream_tbEUlT_E0_NS1_11comp_targetILNS1_3genE10ELNS1_11target_archE1200ELNS1_3gpuE4ELNS1_3repE0EEENS1_30default_config_static_selectorELNS0_4arch9wavefront6targetE1EEEvSQ_
                                        ; -- End function
	.section	.AMDGPU.csdata,"",@progbits
; Kernel info:
; codeLenInByte = 0
; NumSgprs: 4
; NumVgprs: 0
; NumAgprs: 0
; TotalNumVgprs: 0
; ScratchSize: 0
; MemoryBound: 0
; FloatMode: 240
; IeeeMode: 1
; LDSByteSize: 0 bytes/workgroup (compile time only)
; SGPRBlocks: 0
; VGPRBlocks: 0
; NumSGPRsForWavesPerEU: 4
; NumVGPRsForWavesPerEU: 1
; AccumOffset: 4
; Occupancy: 8
; WaveLimiterHint : 0
; COMPUTE_PGM_RSRC2:SCRATCH_EN: 0
; COMPUTE_PGM_RSRC2:USER_SGPR: 6
; COMPUTE_PGM_RSRC2:TRAP_HANDLER: 0
; COMPUTE_PGM_RSRC2:TGID_X_EN: 1
; COMPUTE_PGM_RSRC2:TGID_Y_EN: 0
; COMPUTE_PGM_RSRC2:TGID_Z_EN: 0
; COMPUTE_PGM_RSRC2:TIDIG_COMP_CNT: 0
; COMPUTE_PGM_RSRC3_GFX90A:ACCUM_OFFSET: 0
; COMPUTE_PGM_RSRC3_GFX90A:TG_SPLIT: 0
	.section	.text._ZN7rocprim17ROCPRIM_400000_NS6detail17trampoline_kernelINS0_14default_configENS1_21merge_config_selectorIxNS0_10empty_typeEEEZNS1_10merge_implIS3_N6thrust23THRUST_200600_302600_NS6detail15normal_iteratorINS9_10device_ptrIKxEEEESF_NS9_16discard_iteratorINS9_11use_defaultEEEPS5_SJ_SJ_NS9_4lessIxEEEE10hipError_tPvRmT0_T1_T2_T3_T4_T5_mmT6_P12ihipStream_tbEUlT_E0_NS1_11comp_targetILNS1_3genE9ELNS1_11target_archE1100ELNS1_3gpuE3ELNS1_3repE0EEENS1_30default_config_static_selectorELNS0_4arch9wavefront6targetE1EEEvSQ_,"axG",@progbits,_ZN7rocprim17ROCPRIM_400000_NS6detail17trampoline_kernelINS0_14default_configENS1_21merge_config_selectorIxNS0_10empty_typeEEEZNS1_10merge_implIS3_N6thrust23THRUST_200600_302600_NS6detail15normal_iteratorINS9_10device_ptrIKxEEEESF_NS9_16discard_iteratorINS9_11use_defaultEEEPS5_SJ_SJ_NS9_4lessIxEEEE10hipError_tPvRmT0_T1_T2_T3_T4_T5_mmT6_P12ihipStream_tbEUlT_E0_NS1_11comp_targetILNS1_3genE9ELNS1_11target_archE1100ELNS1_3gpuE3ELNS1_3repE0EEENS1_30default_config_static_selectorELNS0_4arch9wavefront6targetE1EEEvSQ_,comdat
	.protected	_ZN7rocprim17ROCPRIM_400000_NS6detail17trampoline_kernelINS0_14default_configENS1_21merge_config_selectorIxNS0_10empty_typeEEEZNS1_10merge_implIS3_N6thrust23THRUST_200600_302600_NS6detail15normal_iteratorINS9_10device_ptrIKxEEEESF_NS9_16discard_iteratorINS9_11use_defaultEEEPS5_SJ_SJ_NS9_4lessIxEEEE10hipError_tPvRmT0_T1_T2_T3_T4_T5_mmT6_P12ihipStream_tbEUlT_E0_NS1_11comp_targetILNS1_3genE9ELNS1_11target_archE1100ELNS1_3gpuE3ELNS1_3repE0EEENS1_30default_config_static_selectorELNS0_4arch9wavefront6targetE1EEEvSQ_ ; -- Begin function _ZN7rocprim17ROCPRIM_400000_NS6detail17trampoline_kernelINS0_14default_configENS1_21merge_config_selectorIxNS0_10empty_typeEEEZNS1_10merge_implIS3_N6thrust23THRUST_200600_302600_NS6detail15normal_iteratorINS9_10device_ptrIKxEEEESF_NS9_16discard_iteratorINS9_11use_defaultEEEPS5_SJ_SJ_NS9_4lessIxEEEE10hipError_tPvRmT0_T1_T2_T3_T4_T5_mmT6_P12ihipStream_tbEUlT_E0_NS1_11comp_targetILNS1_3genE9ELNS1_11target_archE1100ELNS1_3gpuE3ELNS1_3repE0EEENS1_30default_config_static_selectorELNS0_4arch9wavefront6targetE1EEEvSQ_
	.globl	_ZN7rocprim17ROCPRIM_400000_NS6detail17trampoline_kernelINS0_14default_configENS1_21merge_config_selectorIxNS0_10empty_typeEEEZNS1_10merge_implIS3_N6thrust23THRUST_200600_302600_NS6detail15normal_iteratorINS9_10device_ptrIKxEEEESF_NS9_16discard_iteratorINS9_11use_defaultEEEPS5_SJ_SJ_NS9_4lessIxEEEE10hipError_tPvRmT0_T1_T2_T3_T4_T5_mmT6_P12ihipStream_tbEUlT_E0_NS1_11comp_targetILNS1_3genE9ELNS1_11target_archE1100ELNS1_3gpuE3ELNS1_3repE0EEENS1_30default_config_static_selectorELNS0_4arch9wavefront6targetE1EEEvSQ_
	.p2align	8
	.type	_ZN7rocprim17ROCPRIM_400000_NS6detail17trampoline_kernelINS0_14default_configENS1_21merge_config_selectorIxNS0_10empty_typeEEEZNS1_10merge_implIS3_N6thrust23THRUST_200600_302600_NS6detail15normal_iteratorINS9_10device_ptrIKxEEEESF_NS9_16discard_iteratorINS9_11use_defaultEEEPS5_SJ_SJ_NS9_4lessIxEEEE10hipError_tPvRmT0_T1_T2_T3_T4_T5_mmT6_P12ihipStream_tbEUlT_E0_NS1_11comp_targetILNS1_3genE9ELNS1_11target_archE1100ELNS1_3gpuE3ELNS1_3repE0EEENS1_30default_config_static_selectorELNS0_4arch9wavefront6targetE1EEEvSQ_,@function
_ZN7rocprim17ROCPRIM_400000_NS6detail17trampoline_kernelINS0_14default_configENS1_21merge_config_selectorIxNS0_10empty_typeEEEZNS1_10merge_implIS3_N6thrust23THRUST_200600_302600_NS6detail15normal_iteratorINS9_10device_ptrIKxEEEESF_NS9_16discard_iteratorINS9_11use_defaultEEEPS5_SJ_SJ_NS9_4lessIxEEEE10hipError_tPvRmT0_T1_T2_T3_T4_T5_mmT6_P12ihipStream_tbEUlT_E0_NS1_11comp_targetILNS1_3genE9ELNS1_11target_archE1100ELNS1_3gpuE3ELNS1_3repE0EEENS1_30default_config_static_selectorELNS0_4arch9wavefront6targetE1EEEvSQ_: ; @_ZN7rocprim17ROCPRIM_400000_NS6detail17trampoline_kernelINS0_14default_configENS1_21merge_config_selectorIxNS0_10empty_typeEEEZNS1_10merge_implIS3_N6thrust23THRUST_200600_302600_NS6detail15normal_iteratorINS9_10device_ptrIKxEEEESF_NS9_16discard_iteratorINS9_11use_defaultEEEPS5_SJ_SJ_NS9_4lessIxEEEE10hipError_tPvRmT0_T1_T2_T3_T4_T5_mmT6_P12ihipStream_tbEUlT_E0_NS1_11comp_targetILNS1_3genE9ELNS1_11target_archE1100ELNS1_3gpuE3ELNS1_3repE0EEENS1_30default_config_static_selectorELNS0_4arch9wavefront6targetE1EEEvSQ_
; %bb.0:
	.section	.rodata,"a",@progbits
	.p2align	6, 0x0
	.amdhsa_kernel _ZN7rocprim17ROCPRIM_400000_NS6detail17trampoline_kernelINS0_14default_configENS1_21merge_config_selectorIxNS0_10empty_typeEEEZNS1_10merge_implIS3_N6thrust23THRUST_200600_302600_NS6detail15normal_iteratorINS9_10device_ptrIKxEEEESF_NS9_16discard_iteratorINS9_11use_defaultEEEPS5_SJ_SJ_NS9_4lessIxEEEE10hipError_tPvRmT0_T1_T2_T3_T4_T5_mmT6_P12ihipStream_tbEUlT_E0_NS1_11comp_targetILNS1_3genE9ELNS1_11target_archE1100ELNS1_3gpuE3ELNS1_3repE0EEENS1_30default_config_static_selectorELNS0_4arch9wavefront6targetE1EEEvSQ_
		.amdhsa_group_segment_fixed_size 0
		.amdhsa_private_segment_fixed_size 0
		.amdhsa_kernarg_size 96
		.amdhsa_user_sgpr_count 6
		.amdhsa_user_sgpr_private_segment_buffer 1
		.amdhsa_user_sgpr_dispatch_ptr 0
		.amdhsa_user_sgpr_queue_ptr 0
		.amdhsa_user_sgpr_kernarg_segment_ptr 1
		.amdhsa_user_sgpr_dispatch_id 0
		.amdhsa_user_sgpr_flat_scratch_init 0
		.amdhsa_user_sgpr_kernarg_preload_length 0
		.amdhsa_user_sgpr_kernarg_preload_offset 0
		.amdhsa_user_sgpr_private_segment_size 0
		.amdhsa_uses_dynamic_stack 0
		.amdhsa_system_sgpr_private_segment_wavefront_offset 0
		.amdhsa_system_sgpr_workgroup_id_x 1
		.amdhsa_system_sgpr_workgroup_id_y 0
		.amdhsa_system_sgpr_workgroup_id_z 0
		.amdhsa_system_sgpr_workgroup_info 0
		.amdhsa_system_vgpr_workitem_id 0
		.amdhsa_next_free_vgpr 1
		.amdhsa_next_free_sgpr 0
		.amdhsa_accum_offset 4
		.amdhsa_reserve_vcc 0
		.amdhsa_reserve_flat_scratch 0
		.amdhsa_float_round_mode_32 0
		.amdhsa_float_round_mode_16_64 0
		.amdhsa_float_denorm_mode_32 3
		.amdhsa_float_denorm_mode_16_64 3
		.amdhsa_dx10_clamp 1
		.amdhsa_ieee_mode 1
		.amdhsa_fp16_overflow 0
		.amdhsa_tg_split 0
		.amdhsa_exception_fp_ieee_invalid_op 0
		.amdhsa_exception_fp_denorm_src 0
		.amdhsa_exception_fp_ieee_div_zero 0
		.amdhsa_exception_fp_ieee_overflow 0
		.amdhsa_exception_fp_ieee_underflow 0
		.amdhsa_exception_fp_ieee_inexact 0
		.amdhsa_exception_int_div_zero 0
	.end_amdhsa_kernel
	.section	.text._ZN7rocprim17ROCPRIM_400000_NS6detail17trampoline_kernelINS0_14default_configENS1_21merge_config_selectorIxNS0_10empty_typeEEEZNS1_10merge_implIS3_N6thrust23THRUST_200600_302600_NS6detail15normal_iteratorINS9_10device_ptrIKxEEEESF_NS9_16discard_iteratorINS9_11use_defaultEEEPS5_SJ_SJ_NS9_4lessIxEEEE10hipError_tPvRmT0_T1_T2_T3_T4_T5_mmT6_P12ihipStream_tbEUlT_E0_NS1_11comp_targetILNS1_3genE9ELNS1_11target_archE1100ELNS1_3gpuE3ELNS1_3repE0EEENS1_30default_config_static_selectorELNS0_4arch9wavefront6targetE1EEEvSQ_,"axG",@progbits,_ZN7rocprim17ROCPRIM_400000_NS6detail17trampoline_kernelINS0_14default_configENS1_21merge_config_selectorIxNS0_10empty_typeEEEZNS1_10merge_implIS3_N6thrust23THRUST_200600_302600_NS6detail15normal_iteratorINS9_10device_ptrIKxEEEESF_NS9_16discard_iteratorINS9_11use_defaultEEEPS5_SJ_SJ_NS9_4lessIxEEEE10hipError_tPvRmT0_T1_T2_T3_T4_T5_mmT6_P12ihipStream_tbEUlT_E0_NS1_11comp_targetILNS1_3genE9ELNS1_11target_archE1100ELNS1_3gpuE3ELNS1_3repE0EEENS1_30default_config_static_selectorELNS0_4arch9wavefront6targetE1EEEvSQ_,comdat
.Lfunc_end423:
	.size	_ZN7rocprim17ROCPRIM_400000_NS6detail17trampoline_kernelINS0_14default_configENS1_21merge_config_selectorIxNS0_10empty_typeEEEZNS1_10merge_implIS3_N6thrust23THRUST_200600_302600_NS6detail15normal_iteratorINS9_10device_ptrIKxEEEESF_NS9_16discard_iteratorINS9_11use_defaultEEEPS5_SJ_SJ_NS9_4lessIxEEEE10hipError_tPvRmT0_T1_T2_T3_T4_T5_mmT6_P12ihipStream_tbEUlT_E0_NS1_11comp_targetILNS1_3genE9ELNS1_11target_archE1100ELNS1_3gpuE3ELNS1_3repE0EEENS1_30default_config_static_selectorELNS0_4arch9wavefront6targetE1EEEvSQ_, .Lfunc_end423-_ZN7rocprim17ROCPRIM_400000_NS6detail17trampoline_kernelINS0_14default_configENS1_21merge_config_selectorIxNS0_10empty_typeEEEZNS1_10merge_implIS3_N6thrust23THRUST_200600_302600_NS6detail15normal_iteratorINS9_10device_ptrIKxEEEESF_NS9_16discard_iteratorINS9_11use_defaultEEEPS5_SJ_SJ_NS9_4lessIxEEEE10hipError_tPvRmT0_T1_T2_T3_T4_T5_mmT6_P12ihipStream_tbEUlT_E0_NS1_11comp_targetILNS1_3genE9ELNS1_11target_archE1100ELNS1_3gpuE3ELNS1_3repE0EEENS1_30default_config_static_selectorELNS0_4arch9wavefront6targetE1EEEvSQ_
                                        ; -- End function
	.section	.AMDGPU.csdata,"",@progbits
; Kernel info:
; codeLenInByte = 0
; NumSgprs: 4
; NumVgprs: 0
; NumAgprs: 0
; TotalNumVgprs: 0
; ScratchSize: 0
; MemoryBound: 0
; FloatMode: 240
; IeeeMode: 1
; LDSByteSize: 0 bytes/workgroup (compile time only)
; SGPRBlocks: 0
; VGPRBlocks: 0
; NumSGPRsForWavesPerEU: 4
; NumVGPRsForWavesPerEU: 1
; AccumOffset: 4
; Occupancy: 8
; WaveLimiterHint : 0
; COMPUTE_PGM_RSRC2:SCRATCH_EN: 0
; COMPUTE_PGM_RSRC2:USER_SGPR: 6
; COMPUTE_PGM_RSRC2:TRAP_HANDLER: 0
; COMPUTE_PGM_RSRC2:TGID_X_EN: 1
; COMPUTE_PGM_RSRC2:TGID_Y_EN: 0
; COMPUTE_PGM_RSRC2:TGID_Z_EN: 0
; COMPUTE_PGM_RSRC2:TIDIG_COMP_CNT: 0
; COMPUTE_PGM_RSRC3_GFX90A:ACCUM_OFFSET: 0
; COMPUTE_PGM_RSRC3_GFX90A:TG_SPLIT: 0
	.section	.text._ZN7rocprim17ROCPRIM_400000_NS6detail17trampoline_kernelINS0_14default_configENS1_21merge_config_selectorIxNS0_10empty_typeEEEZNS1_10merge_implIS3_N6thrust23THRUST_200600_302600_NS6detail15normal_iteratorINS9_10device_ptrIKxEEEESF_NS9_16discard_iteratorINS9_11use_defaultEEEPS5_SJ_SJ_NS9_4lessIxEEEE10hipError_tPvRmT0_T1_T2_T3_T4_T5_mmT6_P12ihipStream_tbEUlT_E0_NS1_11comp_targetILNS1_3genE8ELNS1_11target_archE1030ELNS1_3gpuE2ELNS1_3repE0EEENS1_30default_config_static_selectorELNS0_4arch9wavefront6targetE1EEEvSQ_,"axG",@progbits,_ZN7rocprim17ROCPRIM_400000_NS6detail17trampoline_kernelINS0_14default_configENS1_21merge_config_selectorIxNS0_10empty_typeEEEZNS1_10merge_implIS3_N6thrust23THRUST_200600_302600_NS6detail15normal_iteratorINS9_10device_ptrIKxEEEESF_NS9_16discard_iteratorINS9_11use_defaultEEEPS5_SJ_SJ_NS9_4lessIxEEEE10hipError_tPvRmT0_T1_T2_T3_T4_T5_mmT6_P12ihipStream_tbEUlT_E0_NS1_11comp_targetILNS1_3genE8ELNS1_11target_archE1030ELNS1_3gpuE2ELNS1_3repE0EEENS1_30default_config_static_selectorELNS0_4arch9wavefront6targetE1EEEvSQ_,comdat
	.protected	_ZN7rocprim17ROCPRIM_400000_NS6detail17trampoline_kernelINS0_14default_configENS1_21merge_config_selectorIxNS0_10empty_typeEEEZNS1_10merge_implIS3_N6thrust23THRUST_200600_302600_NS6detail15normal_iteratorINS9_10device_ptrIKxEEEESF_NS9_16discard_iteratorINS9_11use_defaultEEEPS5_SJ_SJ_NS9_4lessIxEEEE10hipError_tPvRmT0_T1_T2_T3_T4_T5_mmT6_P12ihipStream_tbEUlT_E0_NS1_11comp_targetILNS1_3genE8ELNS1_11target_archE1030ELNS1_3gpuE2ELNS1_3repE0EEENS1_30default_config_static_selectorELNS0_4arch9wavefront6targetE1EEEvSQ_ ; -- Begin function _ZN7rocprim17ROCPRIM_400000_NS6detail17trampoline_kernelINS0_14default_configENS1_21merge_config_selectorIxNS0_10empty_typeEEEZNS1_10merge_implIS3_N6thrust23THRUST_200600_302600_NS6detail15normal_iteratorINS9_10device_ptrIKxEEEESF_NS9_16discard_iteratorINS9_11use_defaultEEEPS5_SJ_SJ_NS9_4lessIxEEEE10hipError_tPvRmT0_T1_T2_T3_T4_T5_mmT6_P12ihipStream_tbEUlT_E0_NS1_11comp_targetILNS1_3genE8ELNS1_11target_archE1030ELNS1_3gpuE2ELNS1_3repE0EEENS1_30default_config_static_selectorELNS0_4arch9wavefront6targetE1EEEvSQ_
	.globl	_ZN7rocprim17ROCPRIM_400000_NS6detail17trampoline_kernelINS0_14default_configENS1_21merge_config_selectorIxNS0_10empty_typeEEEZNS1_10merge_implIS3_N6thrust23THRUST_200600_302600_NS6detail15normal_iteratorINS9_10device_ptrIKxEEEESF_NS9_16discard_iteratorINS9_11use_defaultEEEPS5_SJ_SJ_NS9_4lessIxEEEE10hipError_tPvRmT0_T1_T2_T3_T4_T5_mmT6_P12ihipStream_tbEUlT_E0_NS1_11comp_targetILNS1_3genE8ELNS1_11target_archE1030ELNS1_3gpuE2ELNS1_3repE0EEENS1_30default_config_static_selectorELNS0_4arch9wavefront6targetE1EEEvSQ_
	.p2align	8
	.type	_ZN7rocprim17ROCPRIM_400000_NS6detail17trampoline_kernelINS0_14default_configENS1_21merge_config_selectorIxNS0_10empty_typeEEEZNS1_10merge_implIS3_N6thrust23THRUST_200600_302600_NS6detail15normal_iteratorINS9_10device_ptrIKxEEEESF_NS9_16discard_iteratorINS9_11use_defaultEEEPS5_SJ_SJ_NS9_4lessIxEEEE10hipError_tPvRmT0_T1_T2_T3_T4_T5_mmT6_P12ihipStream_tbEUlT_E0_NS1_11comp_targetILNS1_3genE8ELNS1_11target_archE1030ELNS1_3gpuE2ELNS1_3repE0EEENS1_30default_config_static_selectorELNS0_4arch9wavefront6targetE1EEEvSQ_,@function
_ZN7rocprim17ROCPRIM_400000_NS6detail17trampoline_kernelINS0_14default_configENS1_21merge_config_selectorIxNS0_10empty_typeEEEZNS1_10merge_implIS3_N6thrust23THRUST_200600_302600_NS6detail15normal_iteratorINS9_10device_ptrIKxEEEESF_NS9_16discard_iteratorINS9_11use_defaultEEEPS5_SJ_SJ_NS9_4lessIxEEEE10hipError_tPvRmT0_T1_T2_T3_T4_T5_mmT6_P12ihipStream_tbEUlT_E0_NS1_11comp_targetILNS1_3genE8ELNS1_11target_archE1030ELNS1_3gpuE2ELNS1_3repE0EEENS1_30default_config_static_selectorELNS0_4arch9wavefront6targetE1EEEvSQ_: ; @_ZN7rocprim17ROCPRIM_400000_NS6detail17trampoline_kernelINS0_14default_configENS1_21merge_config_selectorIxNS0_10empty_typeEEEZNS1_10merge_implIS3_N6thrust23THRUST_200600_302600_NS6detail15normal_iteratorINS9_10device_ptrIKxEEEESF_NS9_16discard_iteratorINS9_11use_defaultEEEPS5_SJ_SJ_NS9_4lessIxEEEE10hipError_tPvRmT0_T1_T2_T3_T4_T5_mmT6_P12ihipStream_tbEUlT_E0_NS1_11comp_targetILNS1_3genE8ELNS1_11target_archE1030ELNS1_3gpuE2ELNS1_3repE0EEENS1_30default_config_static_selectorELNS0_4arch9wavefront6targetE1EEEvSQ_
; %bb.0:
	.section	.rodata,"a",@progbits
	.p2align	6, 0x0
	.amdhsa_kernel _ZN7rocprim17ROCPRIM_400000_NS6detail17trampoline_kernelINS0_14default_configENS1_21merge_config_selectorIxNS0_10empty_typeEEEZNS1_10merge_implIS3_N6thrust23THRUST_200600_302600_NS6detail15normal_iteratorINS9_10device_ptrIKxEEEESF_NS9_16discard_iteratorINS9_11use_defaultEEEPS5_SJ_SJ_NS9_4lessIxEEEE10hipError_tPvRmT0_T1_T2_T3_T4_T5_mmT6_P12ihipStream_tbEUlT_E0_NS1_11comp_targetILNS1_3genE8ELNS1_11target_archE1030ELNS1_3gpuE2ELNS1_3repE0EEENS1_30default_config_static_selectorELNS0_4arch9wavefront6targetE1EEEvSQ_
		.amdhsa_group_segment_fixed_size 0
		.amdhsa_private_segment_fixed_size 0
		.amdhsa_kernarg_size 96
		.amdhsa_user_sgpr_count 6
		.amdhsa_user_sgpr_private_segment_buffer 1
		.amdhsa_user_sgpr_dispatch_ptr 0
		.amdhsa_user_sgpr_queue_ptr 0
		.amdhsa_user_sgpr_kernarg_segment_ptr 1
		.amdhsa_user_sgpr_dispatch_id 0
		.amdhsa_user_sgpr_flat_scratch_init 0
		.amdhsa_user_sgpr_kernarg_preload_length 0
		.amdhsa_user_sgpr_kernarg_preload_offset 0
		.amdhsa_user_sgpr_private_segment_size 0
		.amdhsa_uses_dynamic_stack 0
		.amdhsa_system_sgpr_private_segment_wavefront_offset 0
		.amdhsa_system_sgpr_workgroup_id_x 1
		.amdhsa_system_sgpr_workgroup_id_y 0
		.amdhsa_system_sgpr_workgroup_id_z 0
		.amdhsa_system_sgpr_workgroup_info 0
		.amdhsa_system_vgpr_workitem_id 0
		.amdhsa_next_free_vgpr 1
		.amdhsa_next_free_sgpr 0
		.amdhsa_accum_offset 4
		.amdhsa_reserve_vcc 0
		.amdhsa_reserve_flat_scratch 0
		.amdhsa_float_round_mode_32 0
		.amdhsa_float_round_mode_16_64 0
		.amdhsa_float_denorm_mode_32 3
		.amdhsa_float_denorm_mode_16_64 3
		.amdhsa_dx10_clamp 1
		.amdhsa_ieee_mode 1
		.amdhsa_fp16_overflow 0
		.amdhsa_tg_split 0
		.amdhsa_exception_fp_ieee_invalid_op 0
		.amdhsa_exception_fp_denorm_src 0
		.amdhsa_exception_fp_ieee_div_zero 0
		.amdhsa_exception_fp_ieee_overflow 0
		.amdhsa_exception_fp_ieee_underflow 0
		.amdhsa_exception_fp_ieee_inexact 0
		.amdhsa_exception_int_div_zero 0
	.end_amdhsa_kernel
	.section	.text._ZN7rocprim17ROCPRIM_400000_NS6detail17trampoline_kernelINS0_14default_configENS1_21merge_config_selectorIxNS0_10empty_typeEEEZNS1_10merge_implIS3_N6thrust23THRUST_200600_302600_NS6detail15normal_iteratorINS9_10device_ptrIKxEEEESF_NS9_16discard_iteratorINS9_11use_defaultEEEPS5_SJ_SJ_NS9_4lessIxEEEE10hipError_tPvRmT0_T1_T2_T3_T4_T5_mmT6_P12ihipStream_tbEUlT_E0_NS1_11comp_targetILNS1_3genE8ELNS1_11target_archE1030ELNS1_3gpuE2ELNS1_3repE0EEENS1_30default_config_static_selectorELNS0_4arch9wavefront6targetE1EEEvSQ_,"axG",@progbits,_ZN7rocprim17ROCPRIM_400000_NS6detail17trampoline_kernelINS0_14default_configENS1_21merge_config_selectorIxNS0_10empty_typeEEEZNS1_10merge_implIS3_N6thrust23THRUST_200600_302600_NS6detail15normal_iteratorINS9_10device_ptrIKxEEEESF_NS9_16discard_iteratorINS9_11use_defaultEEEPS5_SJ_SJ_NS9_4lessIxEEEE10hipError_tPvRmT0_T1_T2_T3_T4_T5_mmT6_P12ihipStream_tbEUlT_E0_NS1_11comp_targetILNS1_3genE8ELNS1_11target_archE1030ELNS1_3gpuE2ELNS1_3repE0EEENS1_30default_config_static_selectorELNS0_4arch9wavefront6targetE1EEEvSQ_,comdat
.Lfunc_end424:
	.size	_ZN7rocprim17ROCPRIM_400000_NS6detail17trampoline_kernelINS0_14default_configENS1_21merge_config_selectorIxNS0_10empty_typeEEEZNS1_10merge_implIS3_N6thrust23THRUST_200600_302600_NS6detail15normal_iteratorINS9_10device_ptrIKxEEEESF_NS9_16discard_iteratorINS9_11use_defaultEEEPS5_SJ_SJ_NS9_4lessIxEEEE10hipError_tPvRmT0_T1_T2_T3_T4_T5_mmT6_P12ihipStream_tbEUlT_E0_NS1_11comp_targetILNS1_3genE8ELNS1_11target_archE1030ELNS1_3gpuE2ELNS1_3repE0EEENS1_30default_config_static_selectorELNS0_4arch9wavefront6targetE1EEEvSQ_, .Lfunc_end424-_ZN7rocprim17ROCPRIM_400000_NS6detail17trampoline_kernelINS0_14default_configENS1_21merge_config_selectorIxNS0_10empty_typeEEEZNS1_10merge_implIS3_N6thrust23THRUST_200600_302600_NS6detail15normal_iteratorINS9_10device_ptrIKxEEEESF_NS9_16discard_iteratorINS9_11use_defaultEEEPS5_SJ_SJ_NS9_4lessIxEEEE10hipError_tPvRmT0_T1_T2_T3_T4_T5_mmT6_P12ihipStream_tbEUlT_E0_NS1_11comp_targetILNS1_3genE8ELNS1_11target_archE1030ELNS1_3gpuE2ELNS1_3repE0EEENS1_30default_config_static_selectorELNS0_4arch9wavefront6targetE1EEEvSQ_
                                        ; -- End function
	.section	.AMDGPU.csdata,"",@progbits
; Kernel info:
; codeLenInByte = 0
; NumSgprs: 4
; NumVgprs: 0
; NumAgprs: 0
; TotalNumVgprs: 0
; ScratchSize: 0
; MemoryBound: 0
; FloatMode: 240
; IeeeMode: 1
; LDSByteSize: 0 bytes/workgroup (compile time only)
; SGPRBlocks: 0
; VGPRBlocks: 0
; NumSGPRsForWavesPerEU: 4
; NumVGPRsForWavesPerEU: 1
; AccumOffset: 4
; Occupancy: 8
; WaveLimiterHint : 0
; COMPUTE_PGM_RSRC2:SCRATCH_EN: 0
; COMPUTE_PGM_RSRC2:USER_SGPR: 6
; COMPUTE_PGM_RSRC2:TRAP_HANDLER: 0
; COMPUTE_PGM_RSRC2:TGID_X_EN: 1
; COMPUTE_PGM_RSRC2:TGID_Y_EN: 0
; COMPUTE_PGM_RSRC2:TGID_Z_EN: 0
; COMPUTE_PGM_RSRC2:TIDIG_COMP_CNT: 0
; COMPUTE_PGM_RSRC3_GFX90A:ACCUM_OFFSET: 0
; COMPUTE_PGM_RSRC3_GFX90A:TG_SPLIT: 0
	.section	.text._ZN7rocprim17ROCPRIM_400000_NS6detail17trampoline_kernelINS0_14default_configENS1_21merge_config_selectorIiNS0_10empty_typeEEEZNS1_10merge_implIS3_N6thrust23THRUST_200600_302600_NS6detail15normal_iteratorINS9_10device_ptrIKiEEEESF_NS9_16discard_iteratorINS9_11use_defaultEEEPS5_SJ_SJ_NS9_4lessIiEEEE10hipError_tPvRmT0_T1_T2_T3_T4_T5_mmT6_P12ihipStream_tbEUlT_E_NS1_11comp_targetILNS1_3genE0ELNS1_11target_archE4294967295ELNS1_3gpuE0ELNS1_3repE0EEENS1_30default_config_static_selectorELNS0_4arch9wavefront6targetE1EEEvSQ_,"axG",@progbits,_ZN7rocprim17ROCPRIM_400000_NS6detail17trampoline_kernelINS0_14default_configENS1_21merge_config_selectorIiNS0_10empty_typeEEEZNS1_10merge_implIS3_N6thrust23THRUST_200600_302600_NS6detail15normal_iteratorINS9_10device_ptrIKiEEEESF_NS9_16discard_iteratorINS9_11use_defaultEEEPS5_SJ_SJ_NS9_4lessIiEEEE10hipError_tPvRmT0_T1_T2_T3_T4_T5_mmT6_P12ihipStream_tbEUlT_E_NS1_11comp_targetILNS1_3genE0ELNS1_11target_archE4294967295ELNS1_3gpuE0ELNS1_3repE0EEENS1_30default_config_static_selectorELNS0_4arch9wavefront6targetE1EEEvSQ_,comdat
	.protected	_ZN7rocprim17ROCPRIM_400000_NS6detail17trampoline_kernelINS0_14default_configENS1_21merge_config_selectorIiNS0_10empty_typeEEEZNS1_10merge_implIS3_N6thrust23THRUST_200600_302600_NS6detail15normal_iteratorINS9_10device_ptrIKiEEEESF_NS9_16discard_iteratorINS9_11use_defaultEEEPS5_SJ_SJ_NS9_4lessIiEEEE10hipError_tPvRmT0_T1_T2_T3_T4_T5_mmT6_P12ihipStream_tbEUlT_E_NS1_11comp_targetILNS1_3genE0ELNS1_11target_archE4294967295ELNS1_3gpuE0ELNS1_3repE0EEENS1_30default_config_static_selectorELNS0_4arch9wavefront6targetE1EEEvSQ_ ; -- Begin function _ZN7rocprim17ROCPRIM_400000_NS6detail17trampoline_kernelINS0_14default_configENS1_21merge_config_selectorIiNS0_10empty_typeEEEZNS1_10merge_implIS3_N6thrust23THRUST_200600_302600_NS6detail15normal_iteratorINS9_10device_ptrIKiEEEESF_NS9_16discard_iteratorINS9_11use_defaultEEEPS5_SJ_SJ_NS9_4lessIiEEEE10hipError_tPvRmT0_T1_T2_T3_T4_T5_mmT6_P12ihipStream_tbEUlT_E_NS1_11comp_targetILNS1_3genE0ELNS1_11target_archE4294967295ELNS1_3gpuE0ELNS1_3repE0EEENS1_30default_config_static_selectorELNS0_4arch9wavefront6targetE1EEEvSQ_
	.globl	_ZN7rocprim17ROCPRIM_400000_NS6detail17trampoline_kernelINS0_14default_configENS1_21merge_config_selectorIiNS0_10empty_typeEEEZNS1_10merge_implIS3_N6thrust23THRUST_200600_302600_NS6detail15normal_iteratorINS9_10device_ptrIKiEEEESF_NS9_16discard_iteratorINS9_11use_defaultEEEPS5_SJ_SJ_NS9_4lessIiEEEE10hipError_tPvRmT0_T1_T2_T3_T4_T5_mmT6_P12ihipStream_tbEUlT_E_NS1_11comp_targetILNS1_3genE0ELNS1_11target_archE4294967295ELNS1_3gpuE0ELNS1_3repE0EEENS1_30default_config_static_selectorELNS0_4arch9wavefront6targetE1EEEvSQ_
	.p2align	8
	.type	_ZN7rocprim17ROCPRIM_400000_NS6detail17trampoline_kernelINS0_14default_configENS1_21merge_config_selectorIiNS0_10empty_typeEEEZNS1_10merge_implIS3_N6thrust23THRUST_200600_302600_NS6detail15normal_iteratorINS9_10device_ptrIKiEEEESF_NS9_16discard_iteratorINS9_11use_defaultEEEPS5_SJ_SJ_NS9_4lessIiEEEE10hipError_tPvRmT0_T1_T2_T3_T4_T5_mmT6_P12ihipStream_tbEUlT_E_NS1_11comp_targetILNS1_3genE0ELNS1_11target_archE4294967295ELNS1_3gpuE0ELNS1_3repE0EEENS1_30default_config_static_selectorELNS0_4arch9wavefront6targetE1EEEvSQ_,@function
_ZN7rocprim17ROCPRIM_400000_NS6detail17trampoline_kernelINS0_14default_configENS1_21merge_config_selectorIiNS0_10empty_typeEEEZNS1_10merge_implIS3_N6thrust23THRUST_200600_302600_NS6detail15normal_iteratorINS9_10device_ptrIKiEEEESF_NS9_16discard_iteratorINS9_11use_defaultEEEPS5_SJ_SJ_NS9_4lessIiEEEE10hipError_tPvRmT0_T1_T2_T3_T4_T5_mmT6_P12ihipStream_tbEUlT_E_NS1_11comp_targetILNS1_3genE0ELNS1_11target_archE4294967295ELNS1_3gpuE0ELNS1_3repE0EEENS1_30default_config_static_selectorELNS0_4arch9wavefront6targetE1EEEvSQ_: ; @_ZN7rocprim17ROCPRIM_400000_NS6detail17trampoline_kernelINS0_14default_configENS1_21merge_config_selectorIiNS0_10empty_typeEEEZNS1_10merge_implIS3_N6thrust23THRUST_200600_302600_NS6detail15normal_iteratorINS9_10device_ptrIKiEEEESF_NS9_16discard_iteratorINS9_11use_defaultEEEPS5_SJ_SJ_NS9_4lessIiEEEE10hipError_tPvRmT0_T1_T2_T3_T4_T5_mmT6_P12ihipStream_tbEUlT_E_NS1_11comp_targetILNS1_3genE0ELNS1_11target_archE4294967295ELNS1_3gpuE0ELNS1_3repE0EEENS1_30default_config_static_selectorELNS0_4arch9wavefront6targetE1EEEvSQ_
; %bb.0:
	.section	.rodata,"a",@progbits
	.p2align	6, 0x0
	.amdhsa_kernel _ZN7rocprim17ROCPRIM_400000_NS6detail17trampoline_kernelINS0_14default_configENS1_21merge_config_selectorIiNS0_10empty_typeEEEZNS1_10merge_implIS3_N6thrust23THRUST_200600_302600_NS6detail15normal_iteratorINS9_10device_ptrIKiEEEESF_NS9_16discard_iteratorINS9_11use_defaultEEEPS5_SJ_SJ_NS9_4lessIiEEEE10hipError_tPvRmT0_T1_T2_T3_T4_T5_mmT6_P12ihipStream_tbEUlT_E_NS1_11comp_targetILNS1_3genE0ELNS1_11target_archE4294967295ELNS1_3gpuE0ELNS1_3repE0EEENS1_30default_config_static_selectorELNS0_4arch9wavefront6targetE1EEEvSQ_
		.amdhsa_group_segment_fixed_size 0
		.amdhsa_private_segment_fixed_size 0
		.amdhsa_kernarg_size 48
		.amdhsa_user_sgpr_count 6
		.amdhsa_user_sgpr_private_segment_buffer 1
		.amdhsa_user_sgpr_dispatch_ptr 0
		.amdhsa_user_sgpr_queue_ptr 0
		.amdhsa_user_sgpr_kernarg_segment_ptr 1
		.amdhsa_user_sgpr_dispatch_id 0
		.amdhsa_user_sgpr_flat_scratch_init 0
		.amdhsa_user_sgpr_kernarg_preload_length 0
		.amdhsa_user_sgpr_kernarg_preload_offset 0
		.amdhsa_user_sgpr_private_segment_size 0
		.amdhsa_uses_dynamic_stack 0
		.amdhsa_system_sgpr_private_segment_wavefront_offset 0
		.amdhsa_system_sgpr_workgroup_id_x 1
		.amdhsa_system_sgpr_workgroup_id_y 0
		.amdhsa_system_sgpr_workgroup_id_z 0
		.amdhsa_system_sgpr_workgroup_info 0
		.amdhsa_system_vgpr_workitem_id 0
		.amdhsa_next_free_vgpr 1
		.amdhsa_next_free_sgpr 0
		.amdhsa_accum_offset 4
		.amdhsa_reserve_vcc 0
		.amdhsa_reserve_flat_scratch 0
		.amdhsa_float_round_mode_32 0
		.amdhsa_float_round_mode_16_64 0
		.amdhsa_float_denorm_mode_32 3
		.amdhsa_float_denorm_mode_16_64 3
		.amdhsa_dx10_clamp 1
		.amdhsa_ieee_mode 1
		.amdhsa_fp16_overflow 0
		.amdhsa_tg_split 0
		.amdhsa_exception_fp_ieee_invalid_op 0
		.amdhsa_exception_fp_denorm_src 0
		.amdhsa_exception_fp_ieee_div_zero 0
		.amdhsa_exception_fp_ieee_overflow 0
		.amdhsa_exception_fp_ieee_underflow 0
		.amdhsa_exception_fp_ieee_inexact 0
		.amdhsa_exception_int_div_zero 0
	.end_amdhsa_kernel
	.section	.text._ZN7rocprim17ROCPRIM_400000_NS6detail17trampoline_kernelINS0_14default_configENS1_21merge_config_selectorIiNS0_10empty_typeEEEZNS1_10merge_implIS3_N6thrust23THRUST_200600_302600_NS6detail15normal_iteratorINS9_10device_ptrIKiEEEESF_NS9_16discard_iteratorINS9_11use_defaultEEEPS5_SJ_SJ_NS9_4lessIiEEEE10hipError_tPvRmT0_T1_T2_T3_T4_T5_mmT6_P12ihipStream_tbEUlT_E_NS1_11comp_targetILNS1_3genE0ELNS1_11target_archE4294967295ELNS1_3gpuE0ELNS1_3repE0EEENS1_30default_config_static_selectorELNS0_4arch9wavefront6targetE1EEEvSQ_,"axG",@progbits,_ZN7rocprim17ROCPRIM_400000_NS6detail17trampoline_kernelINS0_14default_configENS1_21merge_config_selectorIiNS0_10empty_typeEEEZNS1_10merge_implIS3_N6thrust23THRUST_200600_302600_NS6detail15normal_iteratorINS9_10device_ptrIKiEEEESF_NS9_16discard_iteratorINS9_11use_defaultEEEPS5_SJ_SJ_NS9_4lessIiEEEE10hipError_tPvRmT0_T1_T2_T3_T4_T5_mmT6_P12ihipStream_tbEUlT_E_NS1_11comp_targetILNS1_3genE0ELNS1_11target_archE4294967295ELNS1_3gpuE0ELNS1_3repE0EEENS1_30default_config_static_selectorELNS0_4arch9wavefront6targetE1EEEvSQ_,comdat
.Lfunc_end425:
	.size	_ZN7rocprim17ROCPRIM_400000_NS6detail17trampoline_kernelINS0_14default_configENS1_21merge_config_selectorIiNS0_10empty_typeEEEZNS1_10merge_implIS3_N6thrust23THRUST_200600_302600_NS6detail15normal_iteratorINS9_10device_ptrIKiEEEESF_NS9_16discard_iteratorINS9_11use_defaultEEEPS5_SJ_SJ_NS9_4lessIiEEEE10hipError_tPvRmT0_T1_T2_T3_T4_T5_mmT6_P12ihipStream_tbEUlT_E_NS1_11comp_targetILNS1_3genE0ELNS1_11target_archE4294967295ELNS1_3gpuE0ELNS1_3repE0EEENS1_30default_config_static_selectorELNS0_4arch9wavefront6targetE1EEEvSQ_, .Lfunc_end425-_ZN7rocprim17ROCPRIM_400000_NS6detail17trampoline_kernelINS0_14default_configENS1_21merge_config_selectorIiNS0_10empty_typeEEEZNS1_10merge_implIS3_N6thrust23THRUST_200600_302600_NS6detail15normal_iteratorINS9_10device_ptrIKiEEEESF_NS9_16discard_iteratorINS9_11use_defaultEEEPS5_SJ_SJ_NS9_4lessIiEEEE10hipError_tPvRmT0_T1_T2_T3_T4_T5_mmT6_P12ihipStream_tbEUlT_E_NS1_11comp_targetILNS1_3genE0ELNS1_11target_archE4294967295ELNS1_3gpuE0ELNS1_3repE0EEENS1_30default_config_static_selectorELNS0_4arch9wavefront6targetE1EEEvSQ_
                                        ; -- End function
	.section	.AMDGPU.csdata,"",@progbits
; Kernel info:
; codeLenInByte = 0
; NumSgprs: 4
; NumVgprs: 0
; NumAgprs: 0
; TotalNumVgprs: 0
; ScratchSize: 0
; MemoryBound: 0
; FloatMode: 240
; IeeeMode: 1
; LDSByteSize: 0 bytes/workgroup (compile time only)
; SGPRBlocks: 0
; VGPRBlocks: 0
; NumSGPRsForWavesPerEU: 4
; NumVGPRsForWavesPerEU: 1
; AccumOffset: 4
; Occupancy: 8
; WaveLimiterHint : 0
; COMPUTE_PGM_RSRC2:SCRATCH_EN: 0
; COMPUTE_PGM_RSRC2:USER_SGPR: 6
; COMPUTE_PGM_RSRC2:TRAP_HANDLER: 0
; COMPUTE_PGM_RSRC2:TGID_X_EN: 1
; COMPUTE_PGM_RSRC2:TGID_Y_EN: 0
; COMPUTE_PGM_RSRC2:TGID_Z_EN: 0
; COMPUTE_PGM_RSRC2:TIDIG_COMP_CNT: 0
; COMPUTE_PGM_RSRC3_GFX90A:ACCUM_OFFSET: 0
; COMPUTE_PGM_RSRC3_GFX90A:TG_SPLIT: 0
	.section	.text._ZN7rocprim17ROCPRIM_400000_NS6detail17trampoline_kernelINS0_14default_configENS1_21merge_config_selectorIiNS0_10empty_typeEEEZNS1_10merge_implIS3_N6thrust23THRUST_200600_302600_NS6detail15normal_iteratorINS9_10device_ptrIKiEEEESF_NS9_16discard_iteratorINS9_11use_defaultEEEPS5_SJ_SJ_NS9_4lessIiEEEE10hipError_tPvRmT0_T1_T2_T3_T4_T5_mmT6_P12ihipStream_tbEUlT_E_NS1_11comp_targetILNS1_3genE5ELNS1_11target_archE942ELNS1_3gpuE9ELNS1_3repE0EEENS1_30default_config_static_selectorELNS0_4arch9wavefront6targetE1EEEvSQ_,"axG",@progbits,_ZN7rocprim17ROCPRIM_400000_NS6detail17trampoline_kernelINS0_14default_configENS1_21merge_config_selectorIiNS0_10empty_typeEEEZNS1_10merge_implIS3_N6thrust23THRUST_200600_302600_NS6detail15normal_iteratorINS9_10device_ptrIKiEEEESF_NS9_16discard_iteratorINS9_11use_defaultEEEPS5_SJ_SJ_NS9_4lessIiEEEE10hipError_tPvRmT0_T1_T2_T3_T4_T5_mmT6_P12ihipStream_tbEUlT_E_NS1_11comp_targetILNS1_3genE5ELNS1_11target_archE942ELNS1_3gpuE9ELNS1_3repE0EEENS1_30default_config_static_selectorELNS0_4arch9wavefront6targetE1EEEvSQ_,comdat
	.protected	_ZN7rocprim17ROCPRIM_400000_NS6detail17trampoline_kernelINS0_14default_configENS1_21merge_config_selectorIiNS0_10empty_typeEEEZNS1_10merge_implIS3_N6thrust23THRUST_200600_302600_NS6detail15normal_iteratorINS9_10device_ptrIKiEEEESF_NS9_16discard_iteratorINS9_11use_defaultEEEPS5_SJ_SJ_NS9_4lessIiEEEE10hipError_tPvRmT0_T1_T2_T3_T4_T5_mmT6_P12ihipStream_tbEUlT_E_NS1_11comp_targetILNS1_3genE5ELNS1_11target_archE942ELNS1_3gpuE9ELNS1_3repE0EEENS1_30default_config_static_selectorELNS0_4arch9wavefront6targetE1EEEvSQ_ ; -- Begin function _ZN7rocprim17ROCPRIM_400000_NS6detail17trampoline_kernelINS0_14default_configENS1_21merge_config_selectorIiNS0_10empty_typeEEEZNS1_10merge_implIS3_N6thrust23THRUST_200600_302600_NS6detail15normal_iteratorINS9_10device_ptrIKiEEEESF_NS9_16discard_iteratorINS9_11use_defaultEEEPS5_SJ_SJ_NS9_4lessIiEEEE10hipError_tPvRmT0_T1_T2_T3_T4_T5_mmT6_P12ihipStream_tbEUlT_E_NS1_11comp_targetILNS1_3genE5ELNS1_11target_archE942ELNS1_3gpuE9ELNS1_3repE0EEENS1_30default_config_static_selectorELNS0_4arch9wavefront6targetE1EEEvSQ_
	.globl	_ZN7rocprim17ROCPRIM_400000_NS6detail17trampoline_kernelINS0_14default_configENS1_21merge_config_selectorIiNS0_10empty_typeEEEZNS1_10merge_implIS3_N6thrust23THRUST_200600_302600_NS6detail15normal_iteratorINS9_10device_ptrIKiEEEESF_NS9_16discard_iteratorINS9_11use_defaultEEEPS5_SJ_SJ_NS9_4lessIiEEEE10hipError_tPvRmT0_T1_T2_T3_T4_T5_mmT6_P12ihipStream_tbEUlT_E_NS1_11comp_targetILNS1_3genE5ELNS1_11target_archE942ELNS1_3gpuE9ELNS1_3repE0EEENS1_30default_config_static_selectorELNS0_4arch9wavefront6targetE1EEEvSQ_
	.p2align	8
	.type	_ZN7rocprim17ROCPRIM_400000_NS6detail17trampoline_kernelINS0_14default_configENS1_21merge_config_selectorIiNS0_10empty_typeEEEZNS1_10merge_implIS3_N6thrust23THRUST_200600_302600_NS6detail15normal_iteratorINS9_10device_ptrIKiEEEESF_NS9_16discard_iteratorINS9_11use_defaultEEEPS5_SJ_SJ_NS9_4lessIiEEEE10hipError_tPvRmT0_T1_T2_T3_T4_T5_mmT6_P12ihipStream_tbEUlT_E_NS1_11comp_targetILNS1_3genE5ELNS1_11target_archE942ELNS1_3gpuE9ELNS1_3repE0EEENS1_30default_config_static_selectorELNS0_4arch9wavefront6targetE1EEEvSQ_,@function
_ZN7rocprim17ROCPRIM_400000_NS6detail17trampoline_kernelINS0_14default_configENS1_21merge_config_selectorIiNS0_10empty_typeEEEZNS1_10merge_implIS3_N6thrust23THRUST_200600_302600_NS6detail15normal_iteratorINS9_10device_ptrIKiEEEESF_NS9_16discard_iteratorINS9_11use_defaultEEEPS5_SJ_SJ_NS9_4lessIiEEEE10hipError_tPvRmT0_T1_T2_T3_T4_T5_mmT6_P12ihipStream_tbEUlT_E_NS1_11comp_targetILNS1_3genE5ELNS1_11target_archE942ELNS1_3gpuE9ELNS1_3repE0EEENS1_30default_config_static_selectorELNS0_4arch9wavefront6targetE1EEEvSQ_: ; @_ZN7rocprim17ROCPRIM_400000_NS6detail17trampoline_kernelINS0_14default_configENS1_21merge_config_selectorIiNS0_10empty_typeEEEZNS1_10merge_implIS3_N6thrust23THRUST_200600_302600_NS6detail15normal_iteratorINS9_10device_ptrIKiEEEESF_NS9_16discard_iteratorINS9_11use_defaultEEEPS5_SJ_SJ_NS9_4lessIiEEEE10hipError_tPvRmT0_T1_T2_T3_T4_T5_mmT6_P12ihipStream_tbEUlT_E_NS1_11comp_targetILNS1_3genE5ELNS1_11target_archE942ELNS1_3gpuE9ELNS1_3repE0EEENS1_30default_config_static_selectorELNS0_4arch9wavefront6targetE1EEEvSQ_
; %bb.0:
	.section	.rodata,"a",@progbits
	.p2align	6, 0x0
	.amdhsa_kernel _ZN7rocprim17ROCPRIM_400000_NS6detail17trampoline_kernelINS0_14default_configENS1_21merge_config_selectorIiNS0_10empty_typeEEEZNS1_10merge_implIS3_N6thrust23THRUST_200600_302600_NS6detail15normal_iteratorINS9_10device_ptrIKiEEEESF_NS9_16discard_iteratorINS9_11use_defaultEEEPS5_SJ_SJ_NS9_4lessIiEEEE10hipError_tPvRmT0_T1_T2_T3_T4_T5_mmT6_P12ihipStream_tbEUlT_E_NS1_11comp_targetILNS1_3genE5ELNS1_11target_archE942ELNS1_3gpuE9ELNS1_3repE0EEENS1_30default_config_static_selectorELNS0_4arch9wavefront6targetE1EEEvSQ_
		.amdhsa_group_segment_fixed_size 0
		.amdhsa_private_segment_fixed_size 0
		.amdhsa_kernarg_size 48
		.amdhsa_user_sgpr_count 6
		.amdhsa_user_sgpr_private_segment_buffer 1
		.amdhsa_user_sgpr_dispatch_ptr 0
		.amdhsa_user_sgpr_queue_ptr 0
		.amdhsa_user_sgpr_kernarg_segment_ptr 1
		.amdhsa_user_sgpr_dispatch_id 0
		.amdhsa_user_sgpr_flat_scratch_init 0
		.amdhsa_user_sgpr_kernarg_preload_length 0
		.amdhsa_user_sgpr_kernarg_preload_offset 0
		.amdhsa_user_sgpr_private_segment_size 0
		.amdhsa_uses_dynamic_stack 0
		.amdhsa_system_sgpr_private_segment_wavefront_offset 0
		.amdhsa_system_sgpr_workgroup_id_x 1
		.amdhsa_system_sgpr_workgroup_id_y 0
		.amdhsa_system_sgpr_workgroup_id_z 0
		.amdhsa_system_sgpr_workgroup_info 0
		.amdhsa_system_vgpr_workitem_id 0
		.amdhsa_next_free_vgpr 1
		.amdhsa_next_free_sgpr 0
		.amdhsa_accum_offset 4
		.amdhsa_reserve_vcc 0
		.amdhsa_reserve_flat_scratch 0
		.amdhsa_float_round_mode_32 0
		.amdhsa_float_round_mode_16_64 0
		.amdhsa_float_denorm_mode_32 3
		.amdhsa_float_denorm_mode_16_64 3
		.amdhsa_dx10_clamp 1
		.amdhsa_ieee_mode 1
		.amdhsa_fp16_overflow 0
		.amdhsa_tg_split 0
		.amdhsa_exception_fp_ieee_invalid_op 0
		.amdhsa_exception_fp_denorm_src 0
		.amdhsa_exception_fp_ieee_div_zero 0
		.amdhsa_exception_fp_ieee_overflow 0
		.amdhsa_exception_fp_ieee_underflow 0
		.amdhsa_exception_fp_ieee_inexact 0
		.amdhsa_exception_int_div_zero 0
	.end_amdhsa_kernel
	.section	.text._ZN7rocprim17ROCPRIM_400000_NS6detail17trampoline_kernelINS0_14default_configENS1_21merge_config_selectorIiNS0_10empty_typeEEEZNS1_10merge_implIS3_N6thrust23THRUST_200600_302600_NS6detail15normal_iteratorINS9_10device_ptrIKiEEEESF_NS9_16discard_iteratorINS9_11use_defaultEEEPS5_SJ_SJ_NS9_4lessIiEEEE10hipError_tPvRmT0_T1_T2_T3_T4_T5_mmT6_P12ihipStream_tbEUlT_E_NS1_11comp_targetILNS1_3genE5ELNS1_11target_archE942ELNS1_3gpuE9ELNS1_3repE0EEENS1_30default_config_static_selectorELNS0_4arch9wavefront6targetE1EEEvSQ_,"axG",@progbits,_ZN7rocprim17ROCPRIM_400000_NS6detail17trampoline_kernelINS0_14default_configENS1_21merge_config_selectorIiNS0_10empty_typeEEEZNS1_10merge_implIS3_N6thrust23THRUST_200600_302600_NS6detail15normal_iteratorINS9_10device_ptrIKiEEEESF_NS9_16discard_iteratorINS9_11use_defaultEEEPS5_SJ_SJ_NS9_4lessIiEEEE10hipError_tPvRmT0_T1_T2_T3_T4_T5_mmT6_P12ihipStream_tbEUlT_E_NS1_11comp_targetILNS1_3genE5ELNS1_11target_archE942ELNS1_3gpuE9ELNS1_3repE0EEENS1_30default_config_static_selectorELNS0_4arch9wavefront6targetE1EEEvSQ_,comdat
.Lfunc_end426:
	.size	_ZN7rocprim17ROCPRIM_400000_NS6detail17trampoline_kernelINS0_14default_configENS1_21merge_config_selectorIiNS0_10empty_typeEEEZNS1_10merge_implIS3_N6thrust23THRUST_200600_302600_NS6detail15normal_iteratorINS9_10device_ptrIKiEEEESF_NS9_16discard_iteratorINS9_11use_defaultEEEPS5_SJ_SJ_NS9_4lessIiEEEE10hipError_tPvRmT0_T1_T2_T3_T4_T5_mmT6_P12ihipStream_tbEUlT_E_NS1_11comp_targetILNS1_3genE5ELNS1_11target_archE942ELNS1_3gpuE9ELNS1_3repE0EEENS1_30default_config_static_selectorELNS0_4arch9wavefront6targetE1EEEvSQ_, .Lfunc_end426-_ZN7rocprim17ROCPRIM_400000_NS6detail17trampoline_kernelINS0_14default_configENS1_21merge_config_selectorIiNS0_10empty_typeEEEZNS1_10merge_implIS3_N6thrust23THRUST_200600_302600_NS6detail15normal_iteratorINS9_10device_ptrIKiEEEESF_NS9_16discard_iteratorINS9_11use_defaultEEEPS5_SJ_SJ_NS9_4lessIiEEEE10hipError_tPvRmT0_T1_T2_T3_T4_T5_mmT6_P12ihipStream_tbEUlT_E_NS1_11comp_targetILNS1_3genE5ELNS1_11target_archE942ELNS1_3gpuE9ELNS1_3repE0EEENS1_30default_config_static_selectorELNS0_4arch9wavefront6targetE1EEEvSQ_
                                        ; -- End function
	.section	.AMDGPU.csdata,"",@progbits
; Kernel info:
; codeLenInByte = 0
; NumSgprs: 4
; NumVgprs: 0
; NumAgprs: 0
; TotalNumVgprs: 0
; ScratchSize: 0
; MemoryBound: 0
; FloatMode: 240
; IeeeMode: 1
; LDSByteSize: 0 bytes/workgroup (compile time only)
; SGPRBlocks: 0
; VGPRBlocks: 0
; NumSGPRsForWavesPerEU: 4
; NumVGPRsForWavesPerEU: 1
; AccumOffset: 4
; Occupancy: 8
; WaveLimiterHint : 0
; COMPUTE_PGM_RSRC2:SCRATCH_EN: 0
; COMPUTE_PGM_RSRC2:USER_SGPR: 6
; COMPUTE_PGM_RSRC2:TRAP_HANDLER: 0
; COMPUTE_PGM_RSRC2:TGID_X_EN: 1
; COMPUTE_PGM_RSRC2:TGID_Y_EN: 0
; COMPUTE_PGM_RSRC2:TGID_Z_EN: 0
; COMPUTE_PGM_RSRC2:TIDIG_COMP_CNT: 0
; COMPUTE_PGM_RSRC3_GFX90A:ACCUM_OFFSET: 0
; COMPUTE_PGM_RSRC3_GFX90A:TG_SPLIT: 0
	.section	.text._ZN7rocprim17ROCPRIM_400000_NS6detail17trampoline_kernelINS0_14default_configENS1_21merge_config_selectorIiNS0_10empty_typeEEEZNS1_10merge_implIS3_N6thrust23THRUST_200600_302600_NS6detail15normal_iteratorINS9_10device_ptrIKiEEEESF_NS9_16discard_iteratorINS9_11use_defaultEEEPS5_SJ_SJ_NS9_4lessIiEEEE10hipError_tPvRmT0_T1_T2_T3_T4_T5_mmT6_P12ihipStream_tbEUlT_E_NS1_11comp_targetILNS1_3genE4ELNS1_11target_archE910ELNS1_3gpuE8ELNS1_3repE0EEENS1_30default_config_static_selectorELNS0_4arch9wavefront6targetE1EEEvSQ_,"axG",@progbits,_ZN7rocprim17ROCPRIM_400000_NS6detail17trampoline_kernelINS0_14default_configENS1_21merge_config_selectorIiNS0_10empty_typeEEEZNS1_10merge_implIS3_N6thrust23THRUST_200600_302600_NS6detail15normal_iteratorINS9_10device_ptrIKiEEEESF_NS9_16discard_iteratorINS9_11use_defaultEEEPS5_SJ_SJ_NS9_4lessIiEEEE10hipError_tPvRmT0_T1_T2_T3_T4_T5_mmT6_P12ihipStream_tbEUlT_E_NS1_11comp_targetILNS1_3genE4ELNS1_11target_archE910ELNS1_3gpuE8ELNS1_3repE0EEENS1_30default_config_static_selectorELNS0_4arch9wavefront6targetE1EEEvSQ_,comdat
	.protected	_ZN7rocprim17ROCPRIM_400000_NS6detail17trampoline_kernelINS0_14default_configENS1_21merge_config_selectorIiNS0_10empty_typeEEEZNS1_10merge_implIS3_N6thrust23THRUST_200600_302600_NS6detail15normal_iteratorINS9_10device_ptrIKiEEEESF_NS9_16discard_iteratorINS9_11use_defaultEEEPS5_SJ_SJ_NS9_4lessIiEEEE10hipError_tPvRmT0_T1_T2_T3_T4_T5_mmT6_P12ihipStream_tbEUlT_E_NS1_11comp_targetILNS1_3genE4ELNS1_11target_archE910ELNS1_3gpuE8ELNS1_3repE0EEENS1_30default_config_static_selectorELNS0_4arch9wavefront6targetE1EEEvSQ_ ; -- Begin function _ZN7rocprim17ROCPRIM_400000_NS6detail17trampoline_kernelINS0_14default_configENS1_21merge_config_selectorIiNS0_10empty_typeEEEZNS1_10merge_implIS3_N6thrust23THRUST_200600_302600_NS6detail15normal_iteratorINS9_10device_ptrIKiEEEESF_NS9_16discard_iteratorINS9_11use_defaultEEEPS5_SJ_SJ_NS9_4lessIiEEEE10hipError_tPvRmT0_T1_T2_T3_T4_T5_mmT6_P12ihipStream_tbEUlT_E_NS1_11comp_targetILNS1_3genE4ELNS1_11target_archE910ELNS1_3gpuE8ELNS1_3repE0EEENS1_30default_config_static_selectorELNS0_4arch9wavefront6targetE1EEEvSQ_
	.globl	_ZN7rocprim17ROCPRIM_400000_NS6detail17trampoline_kernelINS0_14default_configENS1_21merge_config_selectorIiNS0_10empty_typeEEEZNS1_10merge_implIS3_N6thrust23THRUST_200600_302600_NS6detail15normal_iteratorINS9_10device_ptrIKiEEEESF_NS9_16discard_iteratorINS9_11use_defaultEEEPS5_SJ_SJ_NS9_4lessIiEEEE10hipError_tPvRmT0_T1_T2_T3_T4_T5_mmT6_P12ihipStream_tbEUlT_E_NS1_11comp_targetILNS1_3genE4ELNS1_11target_archE910ELNS1_3gpuE8ELNS1_3repE0EEENS1_30default_config_static_selectorELNS0_4arch9wavefront6targetE1EEEvSQ_
	.p2align	8
	.type	_ZN7rocprim17ROCPRIM_400000_NS6detail17trampoline_kernelINS0_14default_configENS1_21merge_config_selectorIiNS0_10empty_typeEEEZNS1_10merge_implIS3_N6thrust23THRUST_200600_302600_NS6detail15normal_iteratorINS9_10device_ptrIKiEEEESF_NS9_16discard_iteratorINS9_11use_defaultEEEPS5_SJ_SJ_NS9_4lessIiEEEE10hipError_tPvRmT0_T1_T2_T3_T4_T5_mmT6_P12ihipStream_tbEUlT_E_NS1_11comp_targetILNS1_3genE4ELNS1_11target_archE910ELNS1_3gpuE8ELNS1_3repE0EEENS1_30default_config_static_selectorELNS0_4arch9wavefront6targetE1EEEvSQ_,@function
_ZN7rocprim17ROCPRIM_400000_NS6detail17trampoline_kernelINS0_14default_configENS1_21merge_config_selectorIiNS0_10empty_typeEEEZNS1_10merge_implIS3_N6thrust23THRUST_200600_302600_NS6detail15normal_iteratorINS9_10device_ptrIKiEEEESF_NS9_16discard_iteratorINS9_11use_defaultEEEPS5_SJ_SJ_NS9_4lessIiEEEE10hipError_tPvRmT0_T1_T2_T3_T4_T5_mmT6_P12ihipStream_tbEUlT_E_NS1_11comp_targetILNS1_3genE4ELNS1_11target_archE910ELNS1_3gpuE8ELNS1_3repE0EEENS1_30default_config_static_selectorELNS0_4arch9wavefront6targetE1EEEvSQ_: ; @_ZN7rocprim17ROCPRIM_400000_NS6detail17trampoline_kernelINS0_14default_configENS1_21merge_config_selectorIiNS0_10empty_typeEEEZNS1_10merge_implIS3_N6thrust23THRUST_200600_302600_NS6detail15normal_iteratorINS9_10device_ptrIKiEEEESF_NS9_16discard_iteratorINS9_11use_defaultEEEPS5_SJ_SJ_NS9_4lessIiEEEE10hipError_tPvRmT0_T1_T2_T3_T4_T5_mmT6_P12ihipStream_tbEUlT_E_NS1_11comp_targetILNS1_3genE4ELNS1_11target_archE910ELNS1_3gpuE8ELNS1_3repE0EEENS1_30default_config_static_selectorELNS0_4arch9wavefront6targetE1EEEvSQ_
; %bb.0:
	s_load_dword s7, s[4:5], 0x28
	s_load_dword s0, s[4:5], 0x3c
	s_load_dwordx4 s[8:11], s[4:5], 0x18
	s_waitcnt lgkmcnt(0)
	v_cvt_f32_u32_e32 v1, s7
	s_and_b32 s0, s0, 0xffff
	s_add_u32 s12, s10, s8
	s_addc_u32 s13, s11, s9
	v_rcp_iflag_f32_e32 v1, v1
	s_sub_i32 s1, 0, s7
	s_mul_i32 s6, s6, s0
	s_add_i32 s0, s7, s12
	v_mul_f32_e32 v1, 0x4f7ffffe, v1
	v_cvt_u32_f32_e32 v1, v1
	s_add_i32 s0, s0, -1
	v_add_u32_e32 v0, s6, v0
	v_readfirstlane_b32 s2, v1
	s_mul_i32 s1, s1, s2
	s_mul_hi_u32 s1, s2, s1
	s_add_i32 s2, s2, s1
	s_mul_hi_u32 s1, s0, s2
	s_mul_i32 s2, s1, s7
	s_sub_i32 s0, s0, s2
	s_add_i32 s3, s1, 1
	s_sub_i32 s2, s0, s7
	s_cmp_ge_u32 s0, s7
	s_cselect_b32 s1, s3, s1
	s_cselect_b32 s0, s2, s0
	s_add_i32 s2, s1, 1
	s_cmp_ge_u32 s0, s7
	s_cselect_b32 s0, s2, s1
	v_cmp_ge_u32_e32 vcc, s0, v0
	s_and_saveexec_b64 s[0:1], vcc
	s_cbranch_execz .LBB427_6
; %bb.1:
	v_mul_lo_u32 v2, v0, s7
	v_mov_b32_e32 v3, 0
	v_mov_b32_e32 v1, s13
	v_cmp_gt_u64_e32 vcc, s[12:13], v[2:3]
	v_cndmask_b32_e64 v7, v1, 0, vcc
	v_mov_b32_e32 v1, s12
	v_cndmask_b32_e32 v6, v1, v2, vcc
	v_mov_b32_e32 v1, s11
	v_subrev_co_u32_e32 v2, vcc, s10, v6
	v_subb_co_u32_e32 v3, vcc, v7, v1, vcc
	s_load_dwordx4 s[0:3], s[4:5], 0x0
	v_cmp_gt_u64_e32 vcc, v[2:3], v[6:7]
	v_cndmask_b32_e64 v3, v3, 0, vcc
	v_cndmask_b32_e64 v2, v2, 0, vcc
	v_mov_b32_e32 v1, s9
	v_cmp_gt_u64_e32 vcc, s[8:9], v[6:7]
	v_cndmask_b32_e32 v5, v1, v7, vcc
	v_mov_b32_e32 v1, s8
	v_cndmask_b32_e32 v4, v1, v6, vcc
	v_cmp_lt_u64_e32 vcc, v[2:3], v[4:5]
	s_and_saveexec_b64 s[6:7], vcc
	s_cbranch_execz .LBB427_5
; %bb.2:
	s_load_dwordx2 s[4:5], s[4:5], 0x10
	v_lshlrev_b64 v[6:7], 2, v[6:7]
	s_waitcnt lgkmcnt(0)
	v_mov_b32_e32 v8, s5
	v_add_co_u32_e32 v1, vcc, s4, v6
	v_addc_co_u32_e32 v6, vcc, v8, v7, vcc
	s_mov_b64 s[4:5], 0
	v_mov_b32_e32 v7, s3
.LBB427_3:                              ; =>This Inner Loop Header: Depth=1
	v_add_co_u32_e32 v8, vcc, v4, v2
	v_addc_co_u32_e32 v9, vcc, v5, v3, vcc
	v_lshrrev_b64 v[8:9], 1, v[8:9]
	v_lshlrev_b64 v[12:13], 2, v[8:9]
	v_not_b32_e32 v11, v9
	v_not_b32_e32 v10, v8
	v_add_co_u32_e32 v12, vcc, s2, v12
	v_addc_co_u32_e32 v13, vcc, v7, v13, vcc
	v_lshlrev_b64 v[10:11], 2, v[10:11]
	v_add_co_u32_e32 v10, vcc, v1, v10
	v_addc_co_u32_e32 v11, vcc, v6, v11, vcc
	global_load_dword v12, v[12:13], off
	s_nop 0
	global_load_dword v10, v[10:11], off
	v_add_co_u32_e32 v11, vcc, 1, v8
	v_addc_co_u32_e32 v13, vcc, 0, v9, vcc
	s_waitcnt vmcnt(0)
	v_cmp_lt_i32_e32 vcc, v10, v12
	v_cndmask_b32_e32 v5, v5, v9, vcc
	v_cndmask_b32_e32 v4, v4, v8, vcc
	;; [unrolled: 1-line block ×4, first 2 shown]
	v_cmp_ge_u64_e32 vcc, v[2:3], v[4:5]
	s_or_b64 s[4:5], vcc, s[4:5]
	s_andn2_b64 exec, exec, s[4:5]
	s_cbranch_execnz .LBB427_3
; %bb.4:
	s_or_b64 exec, exec, s[4:5]
.LBB427_5:
	s_or_b64 exec, exec, s[6:7]
	v_mov_b32_e32 v1, 0
	v_lshlrev_b64 v[0:1], 2, v[0:1]
	s_waitcnt lgkmcnt(0)
	v_mov_b32_e32 v3, s1
	v_add_co_u32_e32 v0, vcc, s0, v0
	v_addc_co_u32_e32 v1, vcc, v3, v1, vcc
	global_store_dword v[0:1], v2, off
.LBB427_6:
	s_endpgm
	.section	.rodata,"a",@progbits
	.p2align	6, 0x0
	.amdhsa_kernel _ZN7rocprim17ROCPRIM_400000_NS6detail17trampoline_kernelINS0_14default_configENS1_21merge_config_selectorIiNS0_10empty_typeEEEZNS1_10merge_implIS3_N6thrust23THRUST_200600_302600_NS6detail15normal_iteratorINS9_10device_ptrIKiEEEESF_NS9_16discard_iteratorINS9_11use_defaultEEEPS5_SJ_SJ_NS9_4lessIiEEEE10hipError_tPvRmT0_T1_T2_T3_T4_T5_mmT6_P12ihipStream_tbEUlT_E_NS1_11comp_targetILNS1_3genE4ELNS1_11target_archE910ELNS1_3gpuE8ELNS1_3repE0EEENS1_30default_config_static_selectorELNS0_4arch9wavefront6targetE1EEEvSQ_
		.amdhsa_group_segment_fixed_size 0
		.amdhsa_private_segment_fixed_size 0
		.amdhsa_kernarg_size 304
		.amdhsa_user_sgpr_count 6
		.amdhsa_user_sgpr_private_segment_buffer 1
		.amdhsa_user_sgpr_dispatch_ptr 0
		.amdhsa_user_sgpr_queue_ptr 0
		.amdhsa_user_sgpr_kernarg_segment_ptr 1
		.amdhsa_user_sgpr_dispatch_id 0
		.amdhsa_user_sgpr_flat_scratch_init 0
		.amdhsa_user_sgpr_kernarg_preload_length 0
		.amdhsa_user_sgpr_kernarg_preload_offset 0
		.amdhsa_user_sgpr_private_segment_size 0
		.amdhsa_uses_dynamic_stack 0
		.amdhsa_system_sgpr_private_segment_wavefront_offset 0
		.amdhsa_system_sgpr_workgroup_id_x 1
		.amdhsa_system_sgpr_workgroup_id_y 0
		.amdhsa_system_sgpr_workgroup_id_z 0
		.amdhsa_system_sgpr_workgroup_info 0
		.amdhsa_system_vgpr_workitem_id 0
		.amdhsa_next_free_vgpr 14
		.amdhsa_next_free_sgpr 14
		.amdhsa_accum_offset 16
		.amdhsa_reserve_vcc 1
		.amdhsa_reserve_flat_scratch 0
		.amdhsa_float_round_mode_32 0
		.amdhsa_float_round_mode_16_64 0
		.amdhsa_float_denorm_mode_32 3
		.amdhsa_float_denorm_mode_16_64 3
		.amdhsa_dx10_clamp 1
		.amdhsa_ieee_mode 1
		.amdhsa_fp16_overflow 0
		.amdhsa_tg_split 0
		.amdhsa_exception_fp_ieee_invalid_op 0
		.amdhsa_exception_fp_denorm_src 0
		.amdhsa_exception_fp_ieee_div_zero 0
		.amdhsa_exception_fp_ieee_overflow 0
		.amdhsa_exception_fp_ieee_underflow 0
		.amdhsa_exception_fp_ieee_inexact 0
		.amdhsa_exception_int_div_zero 0
	.end_amdhsa_kernel
	.section	.text._ZN7rocprim17ROCPRIM_400000_NS6detail17trampoline_kernelINS0_14default_configENS1_21merge_config_selectorIiNS0_10empty_typeEEEZNS1_10merge_implIS3_N6thrust23THRUST_200600_302600_NS6detail15normal_iteratorINS9_10device_ptrIKiEEEESF_NS9_16discard_iteratorINS9_11use_defaultEEEPS5_SJ_SJ_NS9_4lessIiEEEE10hipError_tPvRmT0_T1_T2_T3_T4_T5_mmT6_P12ihipStream_tbEUlT_E_NS1_11comp_targetILNS1_3genE4ELNS1_11target_archE910ELNS1_3gpuE8ELNS1_3repE0EEENS1_30default_config_static_selectorELNS0_4arch9wavefront6targetE1EEEvSQ_,"axG",@progbits,_ZN7rocprim17ROCPRIM_400000_NS6detail17trampoline_kernelINS0_14default_configENS1_21merge_config_selectorIiNS0_10empty_typeEEEZNS1_10merge_implIS3_N6thrust23THRUST_200600_302600_NS6detail15normal_iteratorINS9_10device_ptrIKiEEEESF_NS9_16discard_iteratorINS9_11use_defaultEEEPS5_SJ_SJ_NS9_4lessIiEEEE10hipError_tPvRmT0_T1_T2_T3_T4_T5_mmT6_P12ihipStream_tbEUlT_E_NS1_11comp_targetILNS1_3genE4ELNS1_11target_archE910ELNS1_3gpuE8ELNS1_3repE0EEENS1_30default_config_static_selectorELNS0_4arch9wavefront6targetE1EEEvSQ_,comdat
.Lfunc_end427:
	.size	_ZN7rocprim17ROCPRIM_400000_NS6detail17trampoline_kernelINS0_14default_configENS1_21merge_config_selectorIiNS0_10empty_typeEEEZNS1_10merge_implIS3_N6thrust23THRUST_200600_302600_NS6detail15normal_iteratorINS9_10device_ptrIKiEEEESF_NS9_16discard_iteratorINS9_11use_defaultEEEPS5_SJ_SJ_NS9_4lessIiEEEE10hipError_tPvRmT0_T1_T2_T3_T4_T5_mmT6_P12ihipStream_tbEUlT_E_NS1_11comp_targetILNS1_3genE4ELNS1_11target_archE910ELNS1_3gpuE8ELNS1_3repE0EEENS1_30default_config_static_selectorELNS0_4arch9wavefront6targetE1EEEvSQ_, .Lfunc_end427-_ZN7rocprim17ROCPRIM_400000_NS6detail17trampoline_kernelINS0_14default_configENS1_21merge_config_selectorIiNS0_10empty_typeEEEZNS1_10merge_implIS3_N6thrust23THRUST_200600_302600_NS6detail15normal_iteratorINS9_10device_ptrIKiEEEESF_NS9_16discard_iteratorINS9_11use_defaultEEEPS5_SJ_SJ_NS9_4lessIiEEEE10hipError_tPvRmT0_T1_T2_T3_T4_T5_mmT6_P12ihipStream_tbEUlT_E_NS1_11comp_targetILNS1_3genE4ELNS1_11target_archE910ELNS1_3gpuE8ELNS1_3repE0EEENS1_30default_config_static_selectorELNS0_4arch9wavefront6targetE1EEEvSQ_
                                        ; -- End function
	.section	.AMDGPU.csdata,"",@progbits
; Kernel info:
; codeLenInByte = 476
; NumSgprs: 18
; NumVgprs: 14
; NumAgprs: 0
; TotalNumVgprs: 14
; ScratchSize: 0
; MemoryBound: 0
; FloatMode: 240
; IeeeMode: 1
; LDSByteSize: 0 bytes/workgroup (compile time only)
; SGPRBlocks: 2
; VGPRBlocks: 1
; NumSGPRsForWavesPerEU: 18
; NumVGPRsForWavesPerEU: 14
; AccumOffset: 16
; Occupancy: 8
; WaveLimiterHint : 0
; COMPUTE_PGM_RSRC2:SCRATCH_EN: 0
; COMPUTE_PGM_RSRC2:USER_SGPR: 6
; COMPUTE_PGM_RSRC2:TRAP_HANDLER: 0
; COMPUTE_PGM_RSRC2:TGID_X_EN: 1
; COMPUTE_PGM_RSRC2:TGID_Y_EN: 0
; COMPUTE_PGM_RSRC2:TGID_Z_EN: 0
; COMPUTE_PGM_RSRC2:TIDIG_COMP_CNT: 0
; COMPUTE_PGM_RSRC3_GFX90A:ACCUM_OFFSET: 3
; COMPUTE_PGM_RSRC3_GFX90A:TG_SPLIT: 0
	.section	.text._ZN7rocprim17ROCPRIM_400000_NS6detail17trampoline_kernelINS0_14default_configENS1_21merge_config_selectorIiNS0_10empty_typeEEEZNS1_10merge_implIS3_N6thrust23THRUST_200600_302600_NS6detail15normal_iteratorINS9_10device_ptrIKiEEEESF_NS9_16discard_iteratorINS9_11use_defaultEEEPS5_SJ_SJ_NS9_4lessIiEEEE10hipError_tPvRmT0_T1_T2_T3_T4_T5_mmT6_P12ihipStream_tbEUlT_E_NS1_11comp_targetILNS1_3genE3ELNS1_11target_archE908ELNS1_3gpuE7ELNS1_3repE0EEENS1_30default_config_static_selectorELNS0_4arch9wavefront6targetE1EEEvSQ_,"axG",@progbits,_ZN7rocprim17ROCPRIM_400000_NS6detail17trampoline_kernelINS0_14default_configENS1_21merge_config_selectorIiNS0_10empty_typeEEEZNS1_10merge_implIS3_N6thrust23THRUST_200600_302600_NS6detail15normal_iteratorINS9_10device_ptrIKiEEEESF_NS9_16discard_iteratorINS9_11use_defaultEEEPS5_SJ_SJ_NS9_4lessIiEEEE10hipError_tPvRmT0_T1_T2_T3_T4_T5_mmT6_P12ihipStream_tbEUlT_E_NS1_11comp_targetILNS1_3genE3ELNS1_11target_archE908ELNS1_3gpuE7ELNS1_3repE0EEENS1_30default_config_static_selectorELNS0_4arch9wavefront6targetE1EEEvSQ_,comdat
	.protected	_ZN7rocprim17ROCPRIM_400000_NS6detail17trampoline_kernelINS0_14default_configENS1_21merge_config_selectorIiNS0_10empty_typeEEEZNS1_10merge_implIS3_N6thrust23THRUST_200600_302600_NS6detail15normal_iteratorINS9_10device_ptrIKiEEEESF_NS9_16discard_iteratorINS9_11use_defaultEEEPS5_SJ_SJ_NS9_4lessIiEEEE10hipError_tPvRmT0_T1_T2_T3_T4_T5_mmT6_P12ihipStream_tbEUlT_E_NS1_11comp_targetILNS1_3genE3ELNS1_11target_archE908ELNS1_3gpuE7ELNS1_3repE0EEENS1_30default_config_static_selectorELNS0_4arch9wavefront6targetE1EEEvSQ_ ; -- Begin function _ZN7rocprim17ROCPRIM_400000_NS6detail17trampoline_kernelINS0_14default_configENS1_21merge_config_selectorIiNS0_10empty_typeEEEZNS1_10merge_implIS3_N6thrust23THRUST_200600_302600_NS6detail15normal_iteratorINS9_10device_ptrIKiEEEESF_NS9_16discard_iteratorINS9_11use_defaultEEEPS5_SJ_SJ_NS9_4lessIiEEEE10hipError_tPvRmT0_T1_T2_T3_T4_T5_mmT6_P12ihipStream_tbEUlT_E_NS1_11comp_targetILNS1_3genE3ELNS1_11target_archE908ELNS1_3gpuE7ELNS1_3repE0EEENS1_30default_config_static_selectorELNS0_4arch9wavefront6targetE1EEEvSQ_
	.globl	_ZN7rocprim17ROCPRIM_400000_NS6detail17trampoline_kernelINS0_14default_configENS1_21merge_config_selectorIiNS0_10empty_typeEEEZNS1_10merge_implIS3_N6thrust23THRUST_200600_302600_NS6detail15normal_iteratorINS9_10device_ptrIKiEEEESF_NS9_16discard_iteratorINS9_11use_defaultEEEPS5_SJ_SJ_NS9_4lessIiEEEE10hipError_tPvRmT0_T1_T2_T3_T4_T5_mmT6_P12ihipStream_tbEUlT_E_NS1_11comp_targetILNS1_3genE3ELNS1_11target_archE908ELNS1_3gpuE7ELNS1_3repE0EEENS1_30default_config_static_selectorELNS0_4arch9wavefront6targetE1EEEvSQ_
	.p2align	8
	.type	_ZN7rocprim17ROCPRIM_400000_NS6detail17trampoline_kernelINS0_14default_configENS1_21merge_config_selectorIiNS0_10empty_typeEEEZNS1_10merge_implIS3_N6thrust23THRUST_200600_302600_NS6detail15normal_iteratorINS9_10device_ptrIKiEEEESF_NS9_16discard_iteratorINS9_11use_defaultEEEPS5_SJ_SJ_NS9_4lessIiEEEE10hipError_tPvRmT0_T1_T2_T3_T4_T5_mmT6_P12ihipStream_tbEUlT_E_NS1_11comp_targetILNS1_3genE3ELNS1_11target_archE908ELNS1_3gpuE7ELNS1_3repE0EEENS1_30default_config_static_selectorELNS0_4arch9wavefront6targetE1EEEvSQ_,@function
_ZN7rocprim17ROCPRIM_400000_NS6detail17trampoline_kernelINS0_14default_configENS1_21merge_config_selectorIiNS0_10empty_typeEEEZNS1_10merge_implIS3_N6thrust23THRUST_200600_302600_NS6detail15normal_iteratorINS9_10device_ptrIKiEEEESF_NS9_16discard_iteratorINS9_11use_defaultEEEPS5_SJ_SJ_NS9_4lessIiEEEE10hipError_tPvRmT0_T1_T2_T3_T4_T5_mmT6_P12ihipStream_tbEUlT_E_NS1_11comp_targetILNS1_3genE3ELNS1_11target_archE908ELNS1_3gpuE7ELNS1_3repE0EEENS1_30default_config_static_selectorELNS0_4arch9wavefront6targetE1EEEvSQ_: ; @_ZN7rocprim17ROCPRIM_400000_NS6detail17trampoline_kernelINS0_14default_configENS1_21merge_config_selectorIiNS0_10empty_typeEEEZNS1_10merge_implIS3_N6thrust23THRUST_200600_302600_NS6detail15normal_iteratorINS9_10device_ptrIKiEEEESF_NS9_16discard_iteratorINS9_11use_defaultEEEPS5_SJ_SJ_NS9_4lessIiEEEE10hipError_tPvRmT0_T1_T2_T3_T4_T5_mmT6_P12ihipStream_tbEUlT_E_NS1_11comp_targetILNS1_3genE3ELNS1_11target_archE908ELNS1_3gpuE7ELNS1_3repE0EEENS1_30default_config_static_selectorELNS0_4arch9wavefront6targetE1EEEvSQ_
; %bb.0:
	.section	.rodata,"a",@progbits
	.p2align	6, 0x0
	.amdhsa_kernel _ZN7rocprim17ROCPRIM_400000_NS6detail17trampoline_kernelINS0_14default_configENS1_21merge_config_selectorIiNS0_10empty_typeEEEZNS1_10merge_implIS3_N6thrust23THRUST_200600_302600_NS6detail15normal_iteratorINS9_10device_ptrIKiEEEESF_NS9_16discard_iteratorINS9_11use_defaultEEEPS5_SJ_SJ_NS9_4lessIiEEEE10hipError_tPvRmT0_T1_T2_T3_T4_T5_mmT6_P12ihipStream_tbEUlT_E_NS1_11comp_targetILNS1_3genE3ELNS1_11target_archE908ELNS1_3gpuE7ELNS1_3repE0EEENS1_30default_config_static_selectorELNS0_4arch9wavefront6targetE1EEEvSQ_
		.amdhsa_group_segment_fixed_size 0
		.amdhsa_private_segment_fixed_size 0
		.amdhsa_kernarg_size 48
		.amdhsa_user_sgpr_count 6
		.amdhsa_user_sgpr_private_segment_buffer 1
		.amdhsa_user_sgpr_dispatch_ptr 0
		.amdhsa_user_sgpr_queue_ptr 0
		.amdhsa_user_sgpr_kernarg_segment_ptr 1
		.amdhsa_user_sgpr_dispatch_id 0
		.amdhsa_user_sgpr_flat_scratch_init 0
		.amdhsa_user_sgpr_kernarg_preload_length 0
		.amdhsa_user_sgpr_kernarg_preload_offset 0
		.amdhsa_user_sgpr_private_segment_size 0
		.amdhsa_uses_dynamic_stack 0
		.amdhsa_system_sgpr_private_segment_wavefront_offset 0
		.amdhsa_system_sgpr_workgroup_id_x 1
		.amdhsa_system_sgpr_workgroup_id_y 0
		.amdhsa_system_sgpr_workgroup_id_z 0
		.amdhsa_system_sgpr_workgroup_info 0
		.amdhsa_system_vgpr_workitem_id 0
		.amdhsa_next_free_vgpr 1
		.amdhsa_next_free_sgpr 0
		.amdhsa_accum_offset 4
		.amdhsa_reserve_vcc 0
		.amdhsa_reserve_flat_scratch 0
		.amdhsa_float_round_mode_32 0
		.amdhsa_float_round_mode_16_64 0
		.amdhsa_float_denorm_mode_32 3
		.amdhsa_float_denorm_mode_16_64 3
		.amdhsa_dx10_clamp 1
		.amdhsa_ieee_mode 1
		.amdhsa_fp16_overflow 0
		.amdhsa_tg_split 0
		.amdhsa_exception_fp_ieee_invalid_op 0
		.amdhsa_exception_fp_denorm_src 0
		.amdhsa_exception_fp_ieee_div_zero 0
		.amdhsa_exception_fp_ieee_overflow 0
		.amdhsa_exception_fp_ieee_underflow 0
		.amdhsa_exception_fp_ieee_inexact 0
		.amdhsa_exception_int_div_zero 0
	.end_amdhsa_kernel
	.section	.text._ZN7rocprim17ROCPRIM_400000_NS6detail17trampoline_kernelINS0_14default_configENS1_21merge_config_selectorIiNS0_10empty_typeEEEZNS1_10merge_implIS3_N6thrust23THRUST_200600_302600_NS6detail15normal_iteratorINS9_10device_ptrIKiEEEESF_NS9_16discard_iteratorINS9_11use_defaultEEEPS5_SJ_SJ_NS9_4lessIiEEEE10hipError_tPvRmT0_T1_T2_T3_T4_T5_mmT6_P12ihipStream_tbEUlT_E_NS1_11comp_targetILNS1_3genE3ELNS1_11target_archE908ELNS1_3gpuE7ELNS1_3repE0EEENS1_30default_config_static_selectorELNS0_4arch9wavefront6targetE1EEEvSQ_,"axG",@progbits,_ZN7rocprim17ROCPRIM_400000_NS6detail17trampoline_kernelINS0_14default_configENS1_21merge_config_selectorIiNS0_10empty_typeEEEZNS1_10merge_implIS3_N6thrust23THRUST_200600_302600_NS6detail15normal_iteratorINS9_10device_ptrIKiEEEESF_NS9_16discard_iteratorINS9_11use_defaultEEEPS5_SJ_SJ_NS9_4lessIiEEEE10hipError_tPvRmT0_T1_T2_T3_T4_T5_mmT6_P12ihipStream_tbEUlT_E_NS1_11comp_targetILNS1_3genE3ELNS1_11target_archE908ELNS1_3gpuE7ELNS1_3repE0EEENS1_30default_config_static_selectorELNS0_4arch9wavefront6targetE1EEEvSQ_,comdat
.Lfunc_end428:
	.size	_ZN7rocprim17ROCPRIM_400000_NS6detail17trampoline_kernelINS0_14default_configENS1_21merge_config_selectorIiNS0_10empty_typeEEEZNS1_10merge_implIS3_N6thrust23THRUST_200600_302600_NS6detail15normal_iteratorINS9_10device_ptrIKiEEEESF_NS9_16discard_iteratorINS9_11use_defaultEEEPS5_SJ_SJ_NS9_4lessIiEEEE10hipError_tPvRmT0_T1_T2_T3_T4_T5_mmT6_P12ihipStream_tbEUlT_E_NS1_11comp_targetILNS1_3genE3ELNS1_11target_archE908ELNS1_3gpuE7ELNS1_3repE0EEENS1_30default_config_static_selectorELNS0_4arch9wavefront6targetE1EEEvSQ_, .Lfunc_end428-_ZN7rocprim17ROCPRIM_400000_NS6detail17trampoline_kernelINS0_14default_configENS1_21merge_config_selectorIiNS0_10empty_typeEEEZNS1_10merge_implIS3_N6thrust23THRUST_200600_302600_NS6detail15normal_iteratorINS9_10device_ptrIKiEEEESF_NS9_16discard_iteratorINS9_11use_defaultEEEPS5_SJ_SJ_NS9_4lessIiEEEE10hipError_tPvRmT0_T1_T2_T3_T4_T5_mmT6_P12ihipStream_tbEUlT_E_NS1_11comp_targetILNS1_3genE3ELNS1_11target_archE908ELNS1_3gpuE7ELNS1_3repE0EEENS1_30default_config_static_selectorELNS0_4arch9wavefront6targetE1EEEvSQ_
                                        ; -- End function
	.section	.AMDGPU.csdata,"",@progbits
; Kernel info:
; codeLenInByte = 0
; NumSgprs: 4
; NumVgprs: 0
; NumAgprs: 0
; TotalNumVgprs: 0
; ScratchSize: 0
; MemoryBound: 0
; FloatMode: 240
; IeeeMode: 1
; LDSByteSize: 0 bytes/workgroup (compile time only)
; SGPRBlocks: 0
; VGPRBlocks: 0
; NumSGPRsForWavesPerEU: 4
; NumVGPRsForWavesPerEU: 1
; AccumOffset: 4
; Occupancy: 8
; WaveLimiterHint : 0
; COMPUTE_PGM_RSRC2:SCRATCH_EN: 0
; COMPUTE_PGM_RSRC2:USER_SGPR: 6
; COMPUTE_PGM_RSRC2:TRAP_HANDLER: 0
; COMPUTE_PGM_RSRC2:TGID_X_EN: 1
; COMPUTE_PGM_RSRC2:TGID_Y_EN: 0
; COMPUTE_PGM_RSRC2:TGID_Z_EN: 0
; COMPUTE_PGM_RSRC2:TIDIG_COMP_CNT: 0
; COMPUTE_PGM_RSRC3_GFX90A:ACCUM_OFFSET: 0
; COMPUTE_PGM_RSRC3_GFX90A:TG_SPLIT: 0
	.section	.text._ZN7rocprim17ROCPRIM_400000_NS6detail17trampoline_kernelINS0_14default_configENS1_21merge_config_selectorIiNS0_10empty_typeEEEZNS1_10merge_implIS3_N6thrust23THRUST_200600_302600_NS6detail15normal_iteratorINS9_10device_ptrIKiEEEESF_NS9_16discard_iteratorINS9_11use_defaultEEEPS5_SJ_SJ_NS9_4lessIiEEEE10hipError_tPvRmT0_T1_T2_T3_T4_T5_mmT6_P12ihipStream_tbEUlT_E_NS1_11comp_targetILNS1_3genE2ELNS1_11target_archE906ELNS1_3gpuE6ELNS1_3repE0EEENS1_30default_config_static_selectorELNS0_4arch9wavefront6targetE1EEEvSQ_,"axG",@progbits,_ZN7rocprim17ROCPRIM_400000_NS6detail17trampoline_kernelINS0_14default_configENS1_21merge_config_selectorIiNS0_10empty_typeEEEZNS1_10merge_implIS3_N6thrust23THRUST_200600_302600_NS6detail15normal_iteratorINS9_10device_ptrIKiEEEESF_NS9_16discard_iteratorINS9_11use_defaultEEEPS5_SJ_SJ_NS9_4lessIiEEEE10hipError_tPvRmT0_T1_T2_T3_T4_T5_mmT6_P12ihipStream_tbEUlT_E_NS1_11comp_targetILNS1_3genE2ELNS1_11target_archE906ELNS1_3gpuE6ELNS1_3repE0EEENS1_30default_config_static_selectorELNS0_4arch9wavefront6targetE1EEEvSQ_,comdat
	.protected	_ZN7rocprim17ROCPRIM_400000_NS6detail17trampoline_kernelINS0_14default_configENS1_21merge_config_selectorIiNS0_10empty_typeEEEZNS1_10merge_implIS3_N6thrust23THRUST_200600_302600_NS6detail15normal_iteratorINS9_10device_ptrIKiEEEESF_NS9_16discard_iteratorINS9_11use_defaultEEEPS5_SJ_SJ_NS9_4lessIiEEEE10hipError_tPvRmT0_T1_T2_T3_T4_T5_mmT6_P12ihipStream_tbEUlT_E_NS1_11comp_targetILNS1_3genE2ELNS1_11target_archE906ELNS1_3gpuE6ELNS1_3repE0EEENS1_30default_config_static_selectorELNS0_4arch9wavefront6targetE1EEEvSQ_ ; -- Begin function _ZN7rocprim17ROCPRIM_400000_NS6detail17trampoline_kernelINS0_14default_configENS1_21merge_config_selectorIiNS0_10empty_typeEEEZNS1_10merge_implIS3_N6thrust23THRUST_200600_302600_NS6detail15normal_iteratorINS9_10device_ptrIKiEEEESF_NS9_16discard_iteratorINS9_11use_defaultEEEPS5_SJ_SJ_NS9_4lessIiEEEE10hipError_tPvRmT0_T1_T2_T3_T4_T5_mmT6_P12ihipStream_tbEUlT_E_NS1_11comp_targetILNS1_3genE2ELNS1_11target_archE906ELNS1_3gpuE6ELNS1_3repE0EEENS1_30default_config_static_selectorELNS0_4arch9wavefront6targetE1EEEvSQ_
	.globl	_ZN7rocprim17ROCPRIM_400000_NS6detail17trampoline_kernelINS0_14default_configENS1_21merge_config_selectorIiNS0_10empty_typeEEEZNS1_10merge_implIS3_N6thrust23THRUST_200600_302600_NS6detail15normal_iteratorINS9_10device_ptrIKiEEEESF_NS9_16discard_iteratorINS9_11use_defaultEEEPS5_SJ_SJ_NS9_4lessIiEEEE10hipError_tPvRmT0_T1_T2_T3_T4_T5_mmT6_P12ihipStream_tbEUlT_E_NS1_11comp_targetILNS1_3genE2ELNS1_11target_archE906ELNS1_3gpuE6ELNS1_3repE0EEENS1_30default_config_static_selectorELNS0_4arch9wavefront6targetE1EEEvSQ_
	.p2align	8
	.type	_ZN7rocprim17ROCPRIM_400000_NS6detail17trampoline_kernelINS0_14default_configENS1_21merge_config_selectorIiNS0_10empty_typeEEEZNS1_10merge_implIS3_N6thrust23THRUST_200600_302600_NS6detail15normal_iteratorINS9_10device_ptrIKiEEEESF_NS9_16discard_iteratorINS9_11use_defaultEEEPS5_SJ_SJ_NS9_4lessIiEEEE10hipError_tPvRmT0_T1_T2_T3_T4_T5_mmT6_P12ihipStream_tbEUlT_E_NS1_11comp_targetILNS1_3genE2ELNS1_11target_archE906ELNS1_3gpuE6ELNS1_3repE0EEENS1_30default_config_static_selectorELNS0_4arch9wavefront6targetE1EEEvSQ_,@function
_ZN7rocprim17ROCPRIM_400000_NS6detail17trampoline_kernelINS0_14default_configENS1_21merge_config_selectorIiNS0_10empty_typeEEEZNS1_10merge_implIS3_N6thrust23THRUST_200600_302600_NS6detail15normal_iteratorINS9_10device_ptrIKiEEEESF_NS9_16discard_iteratorINS9_11use_defaultEEEPS5_SJ_SJ_NS9_4lessIiEEEE10hipError_tPvRmT0_T1_T2_T3_T4_T5_mmT6_P12ihipStream_tbEUlT_E_NS1_11comp_targetILNS1_3genE2ELNS1_11target_archE906ELNS1_3gpuE6ELNS1_3repE0EEENS1_30default_config_static_selectorELNS0_4arch9wavefront6targetE1EEEvSQ_: ; @_ZN7rocprim17ROCPRIM_400000_NS6detail17trampoline_kernelINS0_14default_configENS1_21merge_config_selectorIiNS0_10empty_typeEEEZNS1_10merge_implIS3_N6thrust23THRUST_200600_302600_NS6detail15normal_iteratorINS9_10device_ptrIKiEEEESF_NS9_16discard_iteratorINS9_11use_defaultEEEPS5_SJ_SJ_NS9_4lessIiEEEE10hipError_tPvRmT0_T1_T2_T3_T4_T5_mmT6_P12ihipStream_tbEUlT_E_NS1_11comp_targetILNS1_3genE2ELNS1_11target_archE906ELNS1_3gpuE6ELNS1_3repE0EEENS1_30default_config_static_selectorELNS0_4arch9wavefront6targetE1EEEvSQ_
; %bb.0:
	.section	.rodata,"a",@progbits
	.p2align	6, 0x0
	.amdhsa_kernel _ZN7rocprim17ROCPRIM_400000_NS6detail17trampoline_kernelINS0_14default_configENS1_21merge_config_selectorIiNS0_10empty_typeEEEZNS1_10merge_implIS3_N6thrust23THRUST_200600_302600_NS6detail15normal_iteratorINS9_10device_ptrIKiEEEESF_NS9_16discard_iteratorINS9_11use_defaultEEEPS5_SJ_SJ_NS9_4lessIiEEEE10hipError_tPvRmT0_T1_T2_T3_T4_T5_mmT6_P12ihipStream_tbEUlT_E_NS1_11comp_targetILNS1_3genE2ELNS1_11target_archE906ELNS1_3gpuE6ELNS1_3repE0EEENS1_30default_config_static_selectorELNS0_4arch9wavefront6targetE1EEEvSQ_
		.amdhsa_group_segment_fixed_size 0
		.amdhsa_private_segment_fixed_size 0
		.amdhsa_kernarg_size 48
		.amdhsa_user_sgpr_count 6
		.amdhsa_user_sgpr_private_segment_buffer 1
		.amdhsa_user_sgpr_dispatch_ptr 0
		.amdhsa_user_sgpr_queue_ptr 0
		.amdhsa_user_sgpr_kernarg_segment_ptr 1
		.amdhsa_user_sgpr_dispatch_id 0
		.amdhsa_user_sgpr_flat_scratch_init 0
		.amdhsa_user_sgpr_kernarg_preload_length 0
		.amdhsa_user_sgpr_kernarg_preload_offset 0
		.amdhsa_user_sgpr_private_segment_size 0
		.amdhsa_uses_dynamic_stack 0
		.amdhsa_system_sgpr_private_segment_wavefront_offset 0
		.amdhsa_system_sgpr_workgroup_id_x 1
		.amdhsa_system_sgpr_workgroup_id_y 0
		.amdhsa_system_sgpr_workgroup_id_z 0
		.amdhsa_system_sgpr_workgroup_info 0
		.amdhsa_system_vgpr_workitem_id 0
		.amdhsa_next_free_vgpr 1
		.amdhsa_next_free_sgpr 0
		.amdhsa_accum_offset 4
		.amdhsa_reserve_vcc 0
		.amdhsa_reserve_flat_scratch 0
		.amdhsa_float_round_mode_32 0
		.amdhsa_float_round_mode_16_64 0
		.amdhsa_float_denorm_mode_32 3
		.amdhsa_float_denorm_mode_16_64 3
		.amdhsa_dx10_clamp 1
		.amdhsa_ieee_mode 1
		.amdhsa_fp16_overflow 0
		.amdhsa_tg_split 0
		.amdhsa_exception_fp_ieee_invalid_op 0
		.amdhsa_exception_fp_denorm_src 0
		.amdhsa_exception_fp_ieee_div_zero 0
		.amdhsa_exception_fp_ieee_overflow 0
		.amdhsa_exception_fp_ieee_underflow 0
		.amdhsa_exception_fp_ieee_inexact 0
		.amdhsa_exception_int_div_zero 0
	.end_amdhsa_kernel
	.section	.text._ZN7rocprim17ROCPRIM_400000_NS6detail17trampoline_kernelINS0_14default_configENS1_21merge_config_selectorIiNS0_10empty_typeEEEZNS1_10merge_implIS3_N6thrust23THRUST_200600_302600_NS6detail15normal_iteratorINS9_10device_ptrIKiEEEESF_NS9_16discard_iteratorINS9_11use_defaultEEEPS5_SJ_SJ_NS9_4lessIiEEEE10hipError_tPvRmT0_T1_T2_T3_T4_T5_mmT6_P12ihipStream_tbEUlT_E_NS1_11comp_targetILNS1_3genE2ELNS1_11target_archE906ELNS1_3gpuE6ELNS1_3repE0EEENS1_30default_config_static_selectorELNS0_4arch9wavefront6targetE1EEEvSQ_,"axG",@progbits,_ZN7rocprim17ROCPRIM_400000_NS6detail17trampoline_kernelINS0_14default_configENS1_21merge_config_selectorIiNS0_10empty_typeEEEZNS1_10merge_implIS3_N6thrust23THRUST_200600_302600_NS6detail15normal_iteratorINS9_10device_ptrIKiEEEESF_NS9_16discard_iteratorINS9_11use_defaultEEEPS5_SJ_SJ_NS9_4lessIiEEEE10hipError_tPvRmT0_T1_T2_T3_T4_T5_mmT6_P12ihipStream_tbEUlT_E_NS1_11comp_targetILNS1_3genE2ELNS1_11target_archE906ELNS1_3gpuE6ELNS1_3repE0EEENS1_30default_config_static_selectorELNS0_4arch9wavefront6targetE1EEEvSQ_,comdat
.Lfunc_end429:
	.size	_ZN7rocprim17ROCPRIM_400000_NS6detail17trampoline_kernelINS0_14default_configENS1_21merge_config_selectorIiNS0_10empty_typeEEEZNS1_10merge_implIS3_N6thrust23THRUST_200600_302600_NS6detail15normal_iteratorINS9_10device_ptrIKiEEEESF_NS9_16discard_iteratorINS9_11use_defaultEEEPS5_SJ_SJ_NS9_4lessIiEEEE10hipError_tPvRmT0_T1_T2_T3_T4_T5_mmT6_P12ihipStream_tbEUlT_E_NS1_11comp_targetILNS1_3genE2ELNS1_11target_archE906ELNS1_3gpuE6ELNS1_3repE0EEENS1_30default_config_static_selectorELNS0_4arch9wavefront6targetE1EEEvSQ_, .Lfunc_end429-_ZN7rocprim17ROCPRIM_400000_NS6detail17trampoline_kernelINS0_14default_configENS1_21merge_config_selectorIiNS0_10empty_typeEEEZNS1_10merge_implIS3_N6thrust23THRUST_200600_302600_NS6detail15normal_iteratorINS9_10device_ptrIKiEEEESF_NS9_16discard_iteratorINS9_11use_defaultEEEPS5_SJ_SJ_NS9_4lessIiEEEE10hipError_tPvRmT0_T1_T2_T3_T4_T5_mmT6_P12ihipStream_tbEUlT_E_NS1_11comp_targetILNS1_3genE2ELNS1_11target_archE906ELNS1_3gpuE6ELNS1_3repE0EEENS1_30default_config_static_selectorELNS0_4arch9wavefront6targetE1EEEvSQ_
                                        ; -- End function
	.section	.AMDGPU.csdata,"",@progbits
; Kernel info:
; codeLenInByte = 0
; NumSgprs: 4
; NumVgprs: 0
; NumAgprs: 0
; TotalNumVgprs: 0
; ScratchSize: 0
; MemoryBound: 0
; FloatMode: 240
; IeeeMode: 1
; LDSByteSize: 0 bytes/workgroup (compile time only)
; SGPRBlocks: 0
; VGPRBlocks: 0
; NumSGPRsForWavesPerEU: 4
; NumVGPRsForWavesPerEU: 1
; AccumOffset: 4
; Occupancy: 8
; WaveLimiterHint : 0
; COMPUTE_PGM_RSRC2:SCRATCH_EN: 0
; COMPUTE_PGM_RSRC2:USER_SGPR: 6
; COMPUTE_PGM_RSRC2:TRAP_HANDLER: 0
; COMPUTE_PGM_RSRC2:TGID_X_EN: 1
; COMPUTE_PGM_RSRC2:TGID_Y_EN: 0
; COMPUTE_PGM_RSRC2:TGID_Z_EN: 0
; COMPUTE_PGM_RSRC2:TIDIG_COMP_CNT: 0
; COMPUTE_PGM_RSRC3_GFX90A:ACCUM_OFFSET: 0
; COMPUTE_PGM_RSRC3_GFX90A:TG_SPLIT: 0
	.section	.text._ZN7rocprim17ROCPRIM_400000_NS6detail17trampoline_kernelINS0_14default_configENS1_21merge_config_selectorIiNS0_10empty_typeEEEZNS1_10merge_implIS3_N6thrust23THRUST_200600_302600_NS6detail15normal_iteratorINS9_10device_ptrIKiEEEESF_NS9_16discard_iteratorINS9_11use_defaultEEEPS5_SJ_SJ_NS9_4lessIiEEEE10hipError_tPvRmT0_T1_T2_T3_T4_T5_mmT6_P12ihipStream_tbEUlT_E_NS1_11comp_targetILNS1_3genE10ELNS1_11target_archE1201ELNS1_3gpuE5ELNS1_3repE0EEENS1_30default_config_static_selectorELNS0_4arch9wavefront6targetE1EEEvSQ_,"axG",@progbits,_ZN7rocprim17ROCPRIM_400000_NS6detail17trampoline_kernelINS0_14default_configENS1_21merge_config_selectorIiNS0_10empty_typeEEEZNS1_10merge_implIS3_N6thrust23THRUST_200600_302600_NS6detail15normal_iteratorINS9_10device_ptrIKiEEEESF_NS9_16discard_iteratorINS9_11use_defaultEEEPS5_SJ_SJ_NS9_4lessIiEEEE10hipError_tPvRmT0_T1_T2_T3_T4_T5_mmT6_P12ihipStream_tbEUlT_E_NS1_11comp_targetILNS1_3genE10ELNS1_11target_archE1201ELNS1_3gpuE5ELNS1_3repE0EEENS1_30default_config_static_selectorELNS0_4arch9wavefront6targetE1EEEvSQ_,comdat
	.protected	_ZN7rocprim17ROCPRIM_400000_NS6detail17trampoline_kernelINS0_14default_configENS1_21merge_config_selectorIiNS0_10empty_typeEEEZNS1_10merge_implIS3_N6thrust23THRUST_200600_302600_NS6detail15normal_iteratorINS9_10device_ptrIKiEEEESF_NS9_16discard_iteratorINS9_11use_defaultEEEPS5_SJ_SJ_NS9_4lessIiEEEE10hipError_tPvRmT0_T1_T2_T3_T4_T5_mmT6_P12ihipStream_tbEUlT_E_NS1_11comp_targetILNS1_3genE10ELNS1_11target_archE1201ELNS1_3gpuE5ELNS1_3repE0EEENS1_30default_config_static_selectorELNS0_4arch9wavefront6targetE1EEEvSQ_ ; -- Begin function _ZN7rocprim17ROCPRIM_400000_NS6detail17trampoline_kernelINS0_14default_configENS1_21merge_config_selectorIiNS0_10empty_typeEEEZNS1_10merge_implIS3_N6thrust23THRUST_200600_302600_NS6detail15normal_iteratorINS9_10device_ptrIKiEEEESF_NS9_16discard_iteratorINS9_11use_defaultEEEPS5_SJ_SJ_NS9_4lessIiEEEE10hipError_tPvRmT0_T1_T2_T3_T4_T5_mmT6_P12ihipStream_tbEUlT_E_NS1_11comp_targetILNS1_3genE10ELNS1_11target_archE1201ELNS1_3gpuE5ELNS1_3repE0EEENS1_30default_config_static_selectorELNS0_4arch9wavefront6targetE1EEEvSQ_
	.globl	_ZN7rocprim17ROCPRIM_400000_NS6detail17trampoline_kernelINS0_14default_configENS1_21merge_config_selectorIiNS0_10empty_typeEEEZNS1_10merge_implIS3_N6thrust23THRUST_200600_302600_NS6detail15normal_iteratorINS9_10device_ptrIKiEEEESF_NS9_16discard_iteratorINS9_11use_defaultEEEPS5_SJ_SJ_NS9_4lessIiEEEE10hipError_tPvRmT0_T1_T2_T3_T4_T5_mmT6_P12ihipStream_tbEUlT_E_NS1_11comp_targetILNS1_3genE10ELNS1_11target_archE1201ELNS1_3gpuE5ELNS1_3repE0EEENS1_30default_config_static_selectorELNS0_4arch9wavefront6targetE1EEEvSQ_
	.p2align	8
	.type	_ZN7rocprim17ROCPRIM_400000_NS6detail17trampoline_kernelINS0_14default_configENS1_21merge_config_selectorIiNS0_10empty_typeEEEZNS1_10merge_implIS3_N6thrust23THRUST_200600_302600_NS6detail15normal_iteratorINS9_10device_ptrIKiEEEESF_NS9_16discard_iteratorINS9_11use_defaultEEEPS5_SJ_SJ_NS9_4lessIiEEEE10hipError_tPvRmT0_T1_T2_T3_T4_T5_mmT6_P12ihipStream_tbEUlT_E_NS1_11comp_targetILNS1_3genE10ELNS1_11target_archE1201ELNS1_3gpuE5ELNS1_3repE0EEENS1_30default_config_static_selectorELNS0_4arch9wavefront6targetE1EEEvSQ_,@function
_ZN7rocprim17ROCPRIM_400000_NS6detail17trampoline_kernelINS0_14default_configENS1_21merge_config_selectorIiNS0_10empty_typeEEEZNS1_10merge_implIS3_N6thrust23THRUST_200600_302600_NS6detail15normal_iteratorINS9_10device_ptrIKiEEEESF_NS9_16discard_iteratorINS9_11use_defaultEEEPS5_SJ_SJ_NS9_4lessIiEEEE10hipError_tPvRmT0_T1_T2_T3_T4_T5_mmT6_P12ihipStream_tbEUlT_E_NS1_11comp_targetILNS1_3genE10ELNS1_11target_archE1201ELNS1_3gpuE5ELNS1_3repE0EEENS1_30default_config_static_selectorELNS0_4arch9wavefront6targetE1EEEvSQ_: ; @_ZN7rocprim17ROCPRIM_400000_NS6detail17trampoline_kernelINS0_14default_configENS1_21merge_config_selectorIiNS0_10empty_typeEEEZNS1_10merge_implIS3_N6thrust23THRUST_200600_302600_NS6detail15normal_iteratorINS9_10device_ptrIKiEEEESF_NS9_16discard_iteratorINS9_11use_defaultEEEPS5_SJ_SJ_NS9_4lessIiEEEE10hipError_tPvRmT0_T1_T2_T3_T4_T5_mmT6_P12ihipStream_tbEUlT_E_NS1_11comp_targetILNS1_3genE10ELNS1_11target_archE1201ELNS1_3gpuE5ELNS1_3repE0EEENS1_30default_config_static_selectorELNS0_4arch9wavefront6targetE1EEEvSQ_
; %bb.0:
	.section	.rodata,"a",@progbits
	.p2align	6, 0x0
	.amdhsa_kernel _ZN7rocprim17ROCPRIM_400000_NS6detail17trampoline_kernelINS0_14default_configENS1_21merge_config_selectorIiNS0_10empty_typeEEEZNS1_10merge_implIS3_N6thrust23THRUST_200600_302600_NS6detail15normal_iteratorINS9_10device_ptrIKiEEEESF_NS9_16discard_iteratorINS9_11use_defaultEEEPS5_SJ_SJ_NS9_4lessIiEEEE10hipError_tPvRmT0_T1_T2_T3_T4_T5_mmT6_P12ihipStream_tbEUlT_E_NS1_11comp_targetILNS1_3genE10ELNS1_11target_archE1201ELNS1_3gpuE5ELNS1_3repE0EEENS1_30default_config_static_selectorELNS0_4arch9wavefront6targetE1EEEvSQ_
		.amdhsa_group_segment_fixed_size 0
		.amdhsa_private_segment_fixed_size 0
		.amdhsa_kernarg_size 48
		.amdhsa_user_sgpr_count 6
		.amdhsa_user_sgpr_private_segment_buffer 1
		.amdhsa_user_sgpr_dispatch_ptr 0
		.amdhsa_user_sgpr_queue_ptr 0
		.amdhsa_user_sgpr_kernarg_segment_ptr 1
		.amdhsa_user_sgpr_dispatch_id 0
		.amdhsa_user_sgpr_flat_scratch_init 0
		.amdhsa_user_sgpr_kernarg_preload_length 0
		.amdhsa_user_sgpr_kernarg_preload_offset 0
		.amdhsa_user_sgpr_private_segment_size 0
		.amdhsa_uses_dynamic_stack 0
		.amdhsa_system_sgpr_private_segment_wavefront_offset 0
		.amdhsa_system_sgpr_workgroup_id_x 1
		.amdhsa_system_sgpr_workgroup_id_y 0
		.amdhsa_system_sgpr_workgroup_id_z 0
		.amdhsa_system_sgpr_workgroup_info 0
		.amdhsa_system_vgpr_workitem_id 0
		.amdhsa_next_free_vgpr 1
		.amdhsa_next_free_sgpr 0
		.amdhsa_accum_offset 4
		.amdhsa_reserve_vcc 0
		.amdhsa_reserve_flat_scratch 0
		.amdhsa_float_round_mode_32 0
		.amdhsa_float_round_mode_16_64 0
		.amdhsa_float_denorm_mode_32 3
		.amdhsa_float_denorm_mode_16_64 3
		.amdhsa_dx10_clamp 1
		.amdhsa_ieee_mode 1
		.amdhsa_fp16_overflow 0
		.amdhsa_tg_split 0
		.amdhsa_exception_fp_ieee_invalid_op 0
		.amdhsa_exception_fp_denorm_src 0
		.amdhsa_exception_fp_ieee_div_zero 0
		.amdhsa_exception_fp_ieee_overflow 0
		.amdhsa_exception_fp_ieee_underflow 0
		.amdhsa_exception_fp_ieee_inexact 0
		.amdhsa_exception_int_div_zero 0
	.end_amdhsa_kernel
	.section	.text._ZN7rocprim17ROCPRIM_400000_NS6detail17trampoline_kernelINS0_14default_configENS1_21merge_config_selectorIiNS0_10empty_typeEEEZNS1_10merge_implIS3_N6thrust23THRUST_200600_302600_NS6detail15normal_iteratorINS9_10device_ptrIKiEEEESF_NS9_16discard_iteratorINS9_11use_defaultEEEPS5_SJ_SJ_NS9_4lessIiEEEE10hipError_tPvRmT0_T1_T2_T3_T4_T5_mmT6_P12ihipStream_tbEUlT_E_NS1_11comp_targetILNS1_3genE10ELNS1_11target_archE1201ELNS1_3gpuE5ELNS1_3repE0EEENS1_30default_config_static_selectorELNS0_4arch9wavefront6targetE1EEEvSQ_,"axG",@progbits,_ZN7rocprim17ROCPRIM_400000_NS6detail17trampoline_kernelINS0_14default_configENS1_21merge_config_selectorIiNS0_10empty_typeEEEZNS1_10merge_implIS3_N6thrust23THRUST_200600_302600_NS6detail15normal_iteratorINS9_10device_ptrIKiEEEESF_NS9_16discard_iteratorINS9_11use_defaultEEEPS5_SJ_SJ_NS9_4lessIiEEEE10hipError_tPvRmT0_T1_T2_T3_T4_T5_mmT6_P12ihipStream_tbEUlT_E_NS1_11comp_targetILNS1_3genE10ELNS1_11target_archE1201ELNS1_3gpuE5ELNS1_3repE0EEENS1_30default_config_static_selectorELNS0_4arch9wavefront6targetE1EEEvSQ_,comdat
.Lfunc_end430:
	.size	_ZN7rocprim17ROCPRIM_400000_NS6detail17trampoline_kernelINS0_14default_configENS1_21merge_config_selectorIiNS0_10empty_typeEEEZNS1_10merge_implIS3_N6thrust23THRUST_200600_302600_NS6detail15normal_iteratorINS9_10device_ptrIKiEEEESF_NS9_16discard_iteratorINS9_11use_defaultEEEPS5_SJ_SJ_NS9_4lessIiEEEE10hipError_tPvRmT0_T1_T2_T3_T4_T5_mmT6_P12ihipStream_tbEUlT_E_NS1_11comp_targetILNS1_3genE10ELNS1_11target_archE1201ELNS1_3gpuE5ELNS1_3repE0EEENS1_30default_config_static_selectorELNS0_4arch9wavefront6targetE1EEEvSQ_, .Lfunc_end430-_ZN7rocprim17ROCPRIM_400000_NS6detail17trampoline_kernelINS0_14default_configENS1_21merge_config_selectorIiNS0_10empty_typeEEEZNS1_10merge_implIS3_N6thrust23THRUST_200600_302600_NS6detail15normal_iteratorINS9_10device_ptrIKiEEEESF_NS9_16discard_iteratorINS9_11use_defaultEEEPS5_SJ_SJ_NS9_4lessIiEEEE10hipError_tPvRmT0_T1_T2_T3_T4_T5_mmT6_P12ihipStream_tbEUlT_E_NS1_11comp_targetILNS1_3genE10ELNS1_11target_archE1201ELNS1_3gpuE5ELNS1_3repE0EEENS1_30default_config_static_selectorELNS0_4arch9wavefront6targetE1EEEvSQ_
                                        ; -- End function
	.section	.AMDGPU.csdata,"",@progbits
; Kernel info:
; codeLenInByte = 0
; NumSgprs: 4
; NumVgprs: 0
; NumAgprs: 0
; TotalNumVgprs: 0
; ScratchSize: 0
; MemoryBound: 0
; FloatMode: 240
; IeeeMode: 1
; LDSByteSize: 0 bytes/workgroup (compile time only)
; SGPRBlocks: 0
; VGPRBlocks: 0
; NumSGPRsForWavesPerEU: 4
; NumVGPRsForWavesPerEU: 1
; AccumOffset: 4
; Occupancy: 8
; WaveLimiterHint : 0
; COMPUTE_PGM_RSRC2:SCRATCH_EN: 0
; COMPUTE_PGM_RSRC2:USER_SGPR: 6
; COMPUTE_PGM_RSRC2:TRAP_HANDLER: 0
; COMPUTE_PGM_RSRC2:TGID_X_EN: 1
; COMPUTE_PGM_RSRC2:TGID_Y_EN: 0
; COMPUTE_PGM_RSRC2:TGID_Z_EN: 0
; COMPUTE_PGM_RSRC2:TIDIG_COMP_CNT: 0
; COMPUTE_PGM_RSRC3_GFX90A:ACCUM_OFFSET: 0
; COMPUTE_PGM_RSRC3_GFX90A:TG_SPLIT: 0
	.section	.text._ZN7rocprim17ROCPRIM_400000_NS6detail17trampoline_kernelINS0_14default_configENS1_21merge_config_selectorIiNS0_10empty_typeEEEZNS1_10merge_implIS3_N6thrust23THRUST_200600_302600_NS6detail15normal_iteratorINS9_10device_ptrIKiEEEESF_NS9_16discard_iteratorINS9_11use_defaultEEEPS5_SJ_SJ_NS9_4lessIiEEEE10hipError_tPvRmT0_T1_T2_T3_T4_T5_mmT6_P12ihipStream_tbEUlT_E_NS1_11comp_targetILNS1_3genE10ELNS1_11target_archE1200ELNS1_3gpuE4ELNS1_3repE0EEENS1_30default_config_static_selectorELNS0_4arch9wavefront6targetE1EEEvSQ_,"axG",@progbits,_ZN7rocprim17ROCPRIM_400000_NS6detail17trampoline_kernelINS0_14default_configENS1_21merge_config_selectorIiNS0_10empty_typeEEEZNS1_10merge_implIS3_N6thrust23THRUST_200600_302600_NS6detail15normal_iteratorINS9_10device_ptrIKiEEEESF_NS9_16discard_iteratorINS9_11use_defaultEEEPS5_SJ_SJ_NS9_4lessIiEEEE10hipError_tPvRmT0_T1_T2_T3_T4_T5_mmT6_P12ihipStream_tbEUlT_E_NS1_11comp_targetILNS1_3genE10ELNS1_11target_archE1200ELNS1_3gpuE4ELNS1_3repE0EEENS1_30default_config_static_selectorELNS0_4arch9wavefront6targetE1EEEvSQ_,comdat
	.protected	_ZN7rocprim17ROCPRIM_400000_NS6detail17trampoline_kernelINS0_14default_configENS1_21merge_config_selectorIiNS0_10empty_typeEEEZNS1_10merge_implIS3_N6thrust23THRUST_200600_302600_NS6detail15normal_iteratorINS9_10device_ptrIKiEEEESF_NS9_16discard_iteratorINS9_11use_defaultEEEPS5_SJ_SJ_NS9_4lessIiEEEE10hipError_tPvRmT0_T1_T2_T3_T4_T5_mmT6_P12ihipStream_tbEUlT_E_NS1_11comp_targetILNS1_3genE10ELNS1_11target_archE1200ELNS1_3gpuE4ELNS1_3repE0EEENS1_30default_config_static_selectorELNS0_4arch9wavefront6targetE1EEEvSQ_ ; -- Begin function _ZN7rocprim17ROCPRIM_400000_NS6detail17trampoline_kernelINS0_14default_configENS1_21merge_config_selectorIiNS0_10empty_typeEEEZNS1_10merge_implIS3_N6thrust23THRUST_200600_302600_NS6detail15normal_iteratorINS9_10device_ptrIKiEEEESF_NS9_16discard_iteratorINS9_11use_defaultEEEPS5_SJ_SJ_NS9_4lessIiEEEE10hipError_tPvRmT0_T1_T2_T3_T4_T5_mmT6_P12ihipStream_tbEUlT_E_NS1_11comp_targetILNS1_3genE10ELNS1_11target_archE1200ELNS1_3gpuE4ELNS1_3repE0EEENS1_30default_config_static_selectorELNS0_4arch9wavefront6targetE1EEEvSQ_
	.globl	_ZN7rocprim17ROCPRIM_400000_NS6detail17trampoline_kernelINS0_14default_configENS1_21merge_config_selectorIiNS0_10empty_typeEEEZNS1_10merge_implIS3_N6thrust23THRUST_200600_302600_NS6detail15normal_iteratorINS9_10device_ptrIKiEEEESF_NS9_16discard_iteratorINS9_11use_defaultEEEPS5_SJ_SJ_NS9_4lessIiEEEE10hipError_tPvRmT0_T1_T2_T3_T4_T5_mmT6_P12ihipStream_tbEUlT_E_NS1_11comp_targetILNS1_3genE10ELNS1_11target_archE1200ELNS1_3gpuE4ELNS1_3repE0EEENS1_30default_config_static_selectorELNS0_4arch9wavefront6targetE1EEEvSQ_
	.p2align	8
	.type	_ZN7rocprim17ROCPRIM_400000_NS6detail17trampoline_kernelINS0_14default_configENS1_21merge_config_selectorIiNS0_10empty_typeEEEZNS1_10merge_implIS3_N6thrust23THRUST_200600_302600_NS6detail15normal_iteratorINS9_10device_ptrIKiEEEESF_NS9_16discard_iteratorINS9_11use_defaultEEEPS5_SJ_SJ_NS9_4lessIiEEEE10hipError_tPvRmT0_T1_T2_T3_T4_T5_mmT6_P12ihipStream_tbEUlT_E_NS1_11comp_targetILNS1_3genE10ELNS1_11target_archE1200ELNS1_3gpuE4ELNS1_3repE0EEENS1_30default_config_static_selectorELNS0_4arch9wavefront6targetE1EEEvSQ_,@function
_ZN7rocprim17ROCPRIM_400000_NS6detail17trampoline_kernelINS0_14default_configENS1_21merge_config_selectorIiNS0_10empty_typeEEEZNS1_10merge_implIS3_N6thrust23THRUST_200600_302600_NS6detail15normal_iteratorINS9_10device_ptrIKiEEEESF_NS9_16discard_iteratorINS9_11use_defaultEEEPS5_SJ_SJ_NS9_4lessIiEEEE10hipError_tPvRmT0_T1_T2_T3_T4_T5_mmT6_P12ihipStream_tbEUlT_E_NS1_11comp_targetILNS1_3genE10ELNS1_11target_archE1200ELNS1_3gpuE4ELNS1_3repE0EEENS1_30default_config_static_selectorELNS0_4arch9wavefront6targetE1EEEvSQ_: ; @_ZN7rocprim17ROCPRIM_400000_NS6detail17trampoline_kernelINS0_14default_configENS1_21merge_config_selectorIiNS0_10empty_typeEEEZNS1_10merge_implIS3_N6thrust23THRUST_200600_302600_NS6detail15normal_iteratorINS9_10device_ptrIKiEEEESF_NS9_16discard_iteratorINS9_11use_defaultEEEPS5_SJ_SJ_NS9_4lessIiEEEE10hipError_tPvRmT0_T1_T2_T3_T4_T5_mmT6_P12ihipStream_tbEUlT_E_NS1_11comp_targetILNS1_3genE10ELNS1_11target_archE1200ELNS1_3gpuE4ELNS1_3repE0EEENS1_30default_config_static_selectorELNS0_4arch9wavefront6targetE1EEEvSQ_
; %bb.0:
	.section	.rodata,"a",@progbits
	.p2align	6, 0x0
	.amdhsa_kernel _ZN7rocprim17ROCPRIM_400000_NS6detail17trampoline_kernelINS0_14default_configENS1_21merge_config_selectorIiNS0_10empty_typeEEEZNS1_10merge_implIS3_N6thrust23THRUST_200600_302600_NS6detail15normal_iteratorINS9_10device_ptrIKiEEEESF_NS9_16discard_iteratorINS9_11use_defaultEEEPS5_SJ_SJ_NS9_4lessIiEEEE10hipError_tPvRmT0_T1_T2_T3_T4_T5_mmT6_P12ihipStream_tbEUlT_E_NS1_11comp_targetILNS1_3genE10ELNS1_11target_archE1200ELNS1_3gpuE4ELNS1_3repE0EEENS1_30default_config_static_selectorELNS0_4arch9wavefront6targetE1EEEvSQ_
		.amdhsa_group_segment_fixed_size 0
		.amdhsa_private_segment_fixed_size 0
		.amdhsa_kernarg_size 48
		.amdhsa_user_sgpr_count 6
		.amdhsa_user_sgpr_private_segment_buffer 1
		.amdhsa_user_sgpr_dispatch_ptr 0
		.amdhsa_user_sgpr_queue_ptr 0
		.amdhsa_user_sgpr_kernarg_segment_ptr 1
		.amdhsa_user_sgpr_dispatch_id 0
		.amdhsa_user_sgpr_flat_scratch_init 0
		.amdhsa_user_sgpr_kernarg_preload_length 0
		.amdhsa_user_sgpr_kernarg_preload_offset 0
		.amdhsa_user_sgpr_private_segment_size 0
		.amdhsa_uses_dynamic_stack 0
		.amdhsa_system_sgpr_private_segment_wavefront_offset 0
		.amdhsa_system_sgpr_workgroup_id_x 1
		.amdhsa_system_sgpr_workgroup_id_y 0
		.amdhsa_system_sgpr_workgroup_id_z 0
		.amdhsa_system_sgpr_workgroup_info 0
		.amdhsa_system_vgpr_workitem_id 0
		.amdhsa_next_free_vgpr 1
		.amdhsa_next_free_sgpr 0
		.amdhsa_accum_offset 4
		.amdhsa_reserve_vcc 0
		.amdhsa_reserve_flat_scratch 0
		.amdhsa_float_round_mode_32 0
		.amdhsa_float_round_mode_16_64 0
		.amdhsa_float_denorm_mode_32 3
		.amdhsa_float_denorm_mode_16_64 3
		.amdhsa_dx10_clamp 1
		.amdhsa_ieee_mode 1
		.amdhsa_fp16_overflow 0
		.amdhsa_tg_split 0
		.amdhsa_exception_fp_ieee_invalid_op 0
		.amdhsa_exception_fp_denorm_src 0
		.amdhsa_exception_fp_ieee_div_zero 0
		.amdhsa_exception_fp_ieee_overflow 0
		.amdhsa_exception_fp_ieee_underflow 0
		.amdhsa_exception_fp_ieee_inexact 0
		.amdhsa_exception_int_div_zero 0
	.end_amdhsa_kernel
	.section	.text._ZN7rocprim17ROCPRIM_400000_NS6detail17trampoline_kernelINS0_14default_configENS1_21merge_config_selectorIiNS0_10empty_typeEEEZNS1_10merge_implIS3_N6thrust23THRUST_200600_302600_NS6detail15normal_iteratorINS9_10device_ptrIKiEEEESF_NS9_16discard_iteratorINS9_11use_defaultEEEPS5_SJ_SJ_NS9_4lessIiEEEE10hipError_tPvRmT0_T1_T2_T3_T4_T5_mmT6_P12ihipStream_tbEUlT_E_NS1_11comp_targetILNS1_3genE10ELNS1_11target_archE1200ELNS1_3gpuE4ELNS1_3repE0EEENS1_30default_config_static_selectorELNS0_4arch9wavefront6targetE1EEEvSQ_,"axG",@progbits,_ZN7rocprim17ROCPRIM_400000_NS6detail17trampoline_kernelINS0_14default_configENS1_21merge_config_selectorIiNS0_10empty_typeEEEZNS1_10merge_implIS3_N6thrust23THRUST_200600_302600_NS6detail15normal_iteratorINS9_10device_ptrIKiEEEESF_NS9_16discard_iteratorINS9_11use_defaultEEEPS5_SJ_SJ_NS9_4lessIiEEEE10hipError_tPvRmT0_T1_T2_T3_T4_T5_mmT6_P12ihipStream_tbEUlT_E_NS1_11comp_targetILNS1_3genE10ELNS1_11target_archE1200ELNS1_3gpuE4ELNS1_3repE0EEENS1_30default_config_static_selectorELNS0_4arch9wavefront6targetE1EEEvSQ_,comdat
.Lfunc_end431:
	.size	_ZN7rocprim17ROCPRIM_400000_NS6detail17trampoline_kernelINS0_14default_configENS1_21merge_config_selectorIiNS0_10empty_typeEEEZNS1_10merge_implIS3_N6thrust23THRUST_200600_302600_NS6detail15normal_iteratorINS9_10device_ptrIKiEEEESF_NS9_16discard_iteratorINS9_11use_defaultEEEPS5_SJ_SJ_NS9_4lessIiEEEE10hipError_tPvRmT0_T1_T2_T3_T4_T5_mmT6_P12ihipStream_tbEUlT_E_NS1_11comp_targetILNS1_3genE10ELNS1_11target_archE1200ELNS1_3gpuE4ELNS1_3repE0EEENS1_30default_config_static_selectorELNS0_4arch9wavefront6targetE1EEEvSQ_, .Lfunc_end431-_ZN7rocprim17ROCPRIM_400000_NS6detail17trampoline_kernelINS0_14default_configENS1_21merge_config_selectorIiNS0_10empty_typeEEEZNS1_10merge_implIS3_N6thrust23THRUST_200600_302600_NS6detail15normal_iteratorINS9_10device_ptrIKiEEEESF_NS9_16discard_iteratorINS9_11use_defaultEEEPS5_SJ_SJ_NS9_4lessIiEEEE10hipError_tPvRmT0_T1_T2_T3_T4_T5_mmT6_P12ihipStream_tbEUlT_E_NS1_11comp_targetILNS1_3genE10ELNS1_11target_archE1200ELNS1_3gpuE4ELNS1_3repE0EEENS1_30default_config_static_selectorELNS0_4arch9wavefront6targetE1EEEvSQ_
                                        ; -- End function
	.section	.AMDGPU.csdata,"",@progbits
; Kernel info:
; codeLenInByte = 0
; NumSgprs: 4
; NumVgprs: 0
; NumAgprs: 0
; TotalNumVgprs: 0
; ScratchSize: 0
; MemoryBound: 0
; FloatMode: 240
; IeeeMode: 1
; LDSByteSize: 0 bytes/workgroup (compile time only)
; SGPRBlocks: 0
; VGPRBlocks: 0
; NumSGPRsForWavesPerEU: 4
; NumVGPRsForWavesPerEU: 1
; AccumOffset: 4
; Occupancy: 8
; WaveLimiterHint : 0
; COMPUTE_PGM_RSRC2:SCRATCH_EN: 0
; COMPUTE_PGM_RSRC2:USER_SGPR: 6
; COMPUTE_PGM_RSRC2:TRAP_HANDLER: 0
; COMPUTE_PGM_RSRC2:TGID_X_EN: 1
; COMPUTE_PGM_RSRC2:TGID_Y_EN: 0
; COMPUTE_PGM_RSRC2:TGID_Z_EN: 0
; COMPUTE_PGM_RSRC2:TIDIG_COMP_CNT: 0
; COMPUTE_PGM_RSRC3_GFX90A:ACCUM_OFFSET: 0
; COMPUTE_PGM_RSRC3_GFX90A:TG_SPLIT: 0
	.section	.text._ZN7rocprim17ROCPRIM_400000_NS6detail17trampoline_kernelINS0_14default_configENS1_21merge_config_selectorIiNS0_10empty_typeEEEZNS1_10merge_implIS3_N6thrust23THRUST_200600_302600_NS6detail15normal_iteratorINS9_10device_ptrIKiEEEESF_NS9_16discard_iteratorINS9_11use_defaultEEEPS5_SJ_SJ_NS9_4lessIiEEEE10hipError_tPvRmT0_T1_T2_T3_T4_T5_mmT6_P12ihipStream_tbEUlT_E_NS1_11comp_targetILNS1_3genE9ELNS1_11target_archE1100ELNS1_3gpuE3ELNS1_3repE0EEENS1_30default_config_static_selectorELNS0_4arch9wavefront6targetE1EEEvSQ_,"axG",@progbits,_ZN7rocprim17ROCPRIM_400000_NS6detail17trampoline_kernelINS0_14default_configENS1_21merge_config_selectorIiNS0_10empty_typeEEEZNS1_10merge_implIS3_N6thrust23THRUST_200600_302600_NS6detail15normal_iteratorINS9_10device_ptrIKiEEEESF_NS9_16discard_iteratorINS9_11use_defaultEEEPS5_SJ_SJ_NS9_4lessIiEEEE10hipError_tPvRmT0_T1_T2_T3_T4_T5_mmT6_P12ihipStream_tbEUlT_E_NS1_11comp_targetILNS1_3genE9ELNS1_11target_archE1100ELNS1_3gpuE3ELNS1_3repE0EEENS1_30default_config_static_selectorELNS0_4arch9wavefront6targetE1EEEvSQ_,comdat
	.protected	_ZN7rocprim17ROCPRIM_400000_NS6detail17trampoline_kernelINS0_14default_configENS1_21merge_config_selectorIiNS0_10empty_typeEEEZNS1_10merge_implIS3_N6thrust23THRUST_200600_302600_NS6detail15normal_iteratorINS9_10device_ptrIKiEEEESF_NS9_16discard_iteratorINS9_11use_defaultEEEPS5_SJ_SJ_NS9_4lessIiEEEE10hipError_tPvRmT0_T1_T2_T3_T4_T5_mmT6_P12ihipStream_tbEUlT_E_NS1_11comp_targetILNS1_3genE9ELNS1_11target_archE1100ELNS1_3gpuE3ELNS1_3repE0EEENS1_30default_config_static_selectorELNS0_4arch9wavefront6targetE1EEEvSQ_ ; -- Begin function _ZN7rocprim17ROCPRIM_400000_NS6detail17trampoline_kernelINS0_14default_configENS1_21merge_config_selectorIiNS0_10empty_typeEEEZNS1_10merge_implIS3_N6thrust23THRUST_200600_302600_NS6detail15normal_iteratorINS9_10device_ptrIKiEEEESF_NS9_16discard_iteratorINS9_11use_defaultEEEPS5_SJ_SJ_NS9_4lessIiEEEE10hipError_tPvRmT0_T1_T2_T3_T4_T5_mmT6_P12ihipStream_tbEUlT_E_NS1_11comp_targetILNS1_3genE9ELNS1_11target_archE1100ELNS1_3gpuE3ELNS1_3repE0EEENS1_30default_config_static_selectorELNS0_4arch9wavefront6targetE1EEEvSQ_
	.globl	_ZN7rocprim17ROCPRIM_400000_NS6detail17trampoline_kernelINS0_14default_configENS1_21merge_config_selectorIiNS0_10empty_typeEEEZNS1_10merge_implIS3_N6thrust23THRUST_200600_302600_NS6detail15normal_iteratorINS9_10device_ptrIKiEEEESF_NS9_16discard_iteratorINS9_11use_defaultEEEPS5_SJ_SJ_NS9_4lessIiEEEE10hipError_tPvRmT0_T1_T2_T3_T4_T5_mmT6_P12ihipStream_tbEUlT_E_NS1_11comp_targetILNS1_3genE9ELNS1_11target_archE1100ELNS1_3gpuE3ELNS1_3repE0EEENS1_30default_config_static_selectorELNS0_4arch9wavefront6targetE1EEEvSQ_
	.p2align	8
	.type	_ZN7rocprim17ROCPRIM_400000_NS6detail17trampoline_kernelINS0_14default_configENS1_21merge_config_selectorIiNS0_10empty_typeEEEZNS1_10merge_implIS3_N6thrust23THRUST_200600_302600_NS6detail15normal_iteratorINS9_10device_ptrIKiEEEESF_NS9_16discard_iteratorINS9_11use_defaultEEEPS5_SJ_SJ_NS9_4lessIiEEEE10hipError_tPvRmT0_T1_T2_T3_T4_T5_mmT6_P12ihipStream_tbEUlT_E_NS1_11comp_targetILNS1_3genE9ELNS1_11target_archE1100ELNS1_3gpuE3ELNS1_3repE0EEENS1_30default_config_static_selectorELNS0_4arch9wavefront6targetE1EEEvSQ_,@function
_ZN7rocprim17ROCPRIM_400000_NS6detail17trampoline_kernelINS0_14default_configENS1_21merge_config_selectorIiNS0_10empty_typeEEEZNS1_10merge_implIS3_N6thrust23THRUST_200600_302600_NS6detail15normal_iteratorINS9_10device_ptrIKiEEEESF_NS9_16discard_iteratorINS9_11use_defaultEEEPS5_SJ_SJ_NS9_4lessIiEEEE10hipError_tPvRmT0_T1_T2_T3_T4_T5_mmT6_P12ihipStream_tbEUlT_E_NS1_11comp_targetILNS1_3genE9ELNS1_11target_archE1100ELNS1_3gpuE3ELNS1_3repE0EEENS1_30default_config_static_selectorELNS0_4arch9wavefront6targetE1EEEvSQ_: ; @_ZN7rocprim17ROCPRIM_400000_NS6detail17trampoline_kernelINS0_14default_configENS1_21merge_config_selectorIiNS0_10empty_typeEEEZNS1_10merge_implIS3_N6thrust23THRUST_200600_302600_NS6detail15normal_iteratorINS9_10device_ptrIKiEEEESF_NS9_16discard_iteratorINS9_11use_defaultEEEPS5_SJ_SJ_NS9_4lessIiEEEE10hipError_tPvRmT0_T1_T2_T3_T4_T5_mmT6_P12ihipStream_tbEUlT_E_NS1_11comp_targetILNS1_3genE9ELNS1_11target_archE1100ELNS1_3gpuE3ELNS1_3repE0EEENS1_30default_config_static_selectorELNS0_4arch9wavefront6targetE1EEEvSQ_
; %bb.0:
	.section	.rodata,"a",@progbits
	.p2align	6, 0x0
	.amdhsa_kernel _ZN7rocprim17ROCPRIM_400000_NS6detail17trampoline_kernelINS0_14default_configENS1_21merge_config_selectorIiNS0_10empty_typeEEEZNS1_10merge_implIS3_N6thrust23THRUST_200600_302600_NS6detail15normal_iteratorINS9_10device_ptrIKiEEEESF_NS9_16discard_iteratorINS9_11use_defaultEEEPS5_SJ_SJ_NS9_4lessIiEEEE10hipError_tPvRmT0_T1_T2_T3_T4_T5_mmT6_P12ihipStream_tbEUlT_E_NS1_11comp_targetILNS1_3genE9ELNS1_11target_archE1100ELNS1_3gpuE3ELNS1_3repE0EEENS1_30default_config_static_selectorELNS0_4arch9wavefront6targetE1EEEvSQ_
		.amdhsa_group_segment_fixed_size 0
		.amdhsa_private_segment_fixed_size 0
		.amdhsa_kernarg_size 48
		.amdhsa_user_sgpr_count 6
		.amdhsa_user_sgpr_private_segment_buffer 1
		.amdhsa_user_sgpr_dispatch_ptr 0
		.amdhsa_user_sgpr_queue_ptr 0
		.amdhsa_user_sgpr_kernarg_segment_ptr 1
		.amdhsa_user_sgpr_dispatch_id 0
		.amdhsa_user_sgpr_flat_scratch_init 0
		.amdhsa_user_sgpr_kernarg_preload_length 0
		.amdhsa_user_sgpr_kernarg_preload_offset 0
		.amdhsa_user_sgpr_private_segment_size 0
		.amdhsa_uses_dynamic_stack 0
		.amdhsa_system_sgpr_private_segment_wavefront_offset 0
		.amdhsa_system_sgpr_workgroup_id_x 1
		.amdhsa_system_sgpr_workgroup_id_y 0
		.amdhsa_system_sgpr_workgroup_id_z 0
		.amdhsa_system_sgpr_workgroup_info 0
		.amdhsa_system_vgpr_workitem_id 0
		.amdhsa_next_free_vgpr 1
		.amdhsa_next_free_sgpr 0
		.amdhsa_accum_offset 4
		.amdhsa_reserve_vcc 0
		.amdhsa_reserve_flat_scratch 0
		.amdhsa_float_round_mode_32 0
		.amdhsa_float_round_mode_16_64 0
		.amdhsa_float_denorm_mode_32 3
		.amdhsa_float_denorm_mode_16_64 3
		.amdhsa_dx10_clamp 1
		.amdhsa_ieee_mode 1
		.amdhsa_fp16_overflow 0
		.amdhsa_tg_split 0
		.amdhsa_exception_fp_ieee_invalid_op 0
		.amdhsa_exception_fp_denorm_src 0
		.amdhsa_exception_fp_ieee_div_zero 0
		.amdhsa_exception_fp_ieee_overflow 0
		.amdhsa_exception_fp_ieee_underflow 0
		.amdhsa_exception_fp_ieee_inexact 0
		.amdhsa_exception_int_div_zero 0
	.end_amdhsa_kernel
	.section	.text._ZN7rocprim17ROCPRIM_400000_NS6detail17trampoline_kernelINS0_14default_configENS1_21merge_config_selectorIiNS0_10empty_typeEEEZNS1_10merge_implIS3_N6thrust23THRUST_200600_302600_NS6detail15normal_iteratorINS9_10device_ptrIKiEEEESF_NS9_16discard_iteratorINS9_11use_defaultEEEPS5_SJ_SJ_NS9_4lessIiEEEE10hipError_tPvRmT0_T1_T2_T3_T4_T5_mmT6_P12ihipStream_tbEUlT_E_NS1_11comp_targetILNS1_3genE9ELNS1_11target_archE1100ELNS1_3gpuE3ELNS1_3repE0EEENS1_30default_config_static_selectorELNS0_4arch9wavefront6targetE1EEEvSQ_,"axG",@progbits,_ZN7rocprim17ROCPRIM_400000_NS6detail17trampoline_kernelINS0_14default_configENS1_21merge_config_selectorIiNS0_10empty_typeEEEZNS1_10merge_implIS3_N6thrust23THRUST_200600_302600_NS6detail15normal_iteratorINS9_10device_ptrIKiEEEESF_NS9_16discard_iteratorINS9_11use_defaultEEEPS5_SJ_SJ_NS9_4lessIiEEEE10hipError_tPvRmT0_T1_T2_T3_T4_T5_mmT6_P12ihipStream_tbEUlT_E_NS1_11comp_targetILNS1_3genE9ELNS1_11target_archE1100ELNS1_3gpuE3ELNS1_3repE0EEENS1_30default_config_static_selectorELNS0_4arch9wavefront6targetE1EEEvSQ_,comdat
.Lfunc_end432:
	.size	_ZN7rocprim17ROCPRIM_400000_NS6detail17trampoline_kernelINS0_14default_configENS1_21merge_config_selectorIiNS0_10empty_typeEEEZNS1_10merge_implIS3_N6thrust23THRUST_200600_302600_NS6detail15normal_iteratorINS9_10device_ptrIKiEEEESF_NS9_16discard_iteratorINS9_11use_defaultEEEPS5_SJ_SJ_NS9_4lessIiEEEE10hipError_tPvRmT0_T1_T2_T3_T4_T5_mmT6_P12ihipStream_tbEUlT_E_NS1_11comp_targetILNS1_3genE9ELNS1_11target_archE1100ELNS1_3gpuE3ELNS1_3repE0EEENS1_30default_config_static_selectorELNS0_4arch9wavefront6targetE1EEEvSQ_, .Lfunc_end432-_ZN7rocprim17ROCPRIM_400000_NS6detail17trampoline_kernelINS0_14default_configENS1_21merge_config_selectorIiNS0_10empty_typeEEEZNS1_10merge_implIS3_N6thrust23THRUST_200600_302600_NS6detail15normal_iteratorINS9_10device_ptrIKiEEEESF_NS9_16discard_iteratorINS9_11use_defaultEEEPS5_SJ_SJ_NS9_4lessIiEEEE10hipError_tPvRmT0_T1_T2_T3_T4_T5_mmT6_P12ihipStream_tbEUlT_E_NS1_11comp_targetILNS1_3genE9ELNS1_11target_archE1100ELNS1_3gpuE3ELNS1_3repE0EEENS1_30default_config_static_selectorELNS0_4arch9wavefront6targetE1EEEvSQ_
                                        ; -- End function
	.section	.AMDGPU.csdata,"",@progbits
; Kernel info:
; codeLenInByte = 0
; NumSgprs: 4
; NumVgprs: 0
; NumAgprs: 0
; TotalNumVgprs: 0
; ScratchSize: 0
; MemoryBound: 0
; FloatMode: 240
; IeeeMode: 1
; LDSByteSize: 0 bytes/workgroup (compile time only)
; SGPRBlocks: 0
; VGPRBlocks: 0
; NumSGPRsForWavesPerEU: 4
; NumVGPRsForWavesPerEU: 1
; AccumOffset: 4
; Occupancy: 8
; WaveLimiterHint : 0
; COMPUTE_PGM_RSRC2:SCRATCH_EN: 0
; COMPUTE_PGM_RSRC2:USER_SGPR: 6
; COMPUTE_PGM_RSRC2:TRAP_HANDLER: 0
; COMPUTE_PGM_RSRC2:TGID_X_EN: 1
; COMPUTE_PGM_RSRC2:TGID_Y_EN: 0
; COMPUTE_PGM_RSRC2:TGID_Z_EN: 0
; COMPUTE_PGM_RSRC2:TIDIG_COMP_CNT: 0
; COMPUTE_PGM_RSRC3_GFX90A:ACCUM_OFFSET: 0
; COMPUTE_PGM_RSRC3_GFX90A:TG_SPLIT: 0
	.section	.text._ZN7rocprim17ROCPRIM_400000_NS6detail17trampoline_kernelINS0_14default_configENS1_21merge_config_selectorIiNS0_10empty_typeEEEZNS1_10merge_implIS3_N6thrust23THRUST_200600_302600_NS6detail15normal_iteratorINS9_10device_ptrIKiEEEESF_NS9_16discard_iteratorINS9_11use_defaultEEEPS5_SJ_SJ_NS9_4lessIiEEEE10hipError_tPvRmT0_T1_T2_T3_T4_T5_mmT6_P12ihipStream_tbEUlT_E_NS1_11comp_targetILNS1_3genE8ELNS1_11target_archE1030ELNS1_3gpuE2ELNS1_3repE0EEENS1_30default_config_static_selectorELNS0_4arch9wavefront6targetE1EEEvSQ_,"axG",@progbits,_ZN7rocprim17ROCPRIM_400000_NS6detail17trampoline_kernelINS0_14default_configENS1_21merge_config_selectorIiNS0_10empty_typeEEEZNS1_10merge_implIS3_N6thrust23THRUST_200600_302600_NS6detail15normal_iteratorINS9_10device_ptrIKiEEEESF_NS9_16discard_iteratorINS9_11use_defaultEEEPS5_SJ_SJ_NS9_4lessIiEEEE10hipError_tPvRmT0_T1_T2_T3_T4_T5_mmT6_P12ihipStream_tbEUlT_E_NS1_11comp_targetILNS1_3genE8ELNS1_11target_archE1030ELNS1_3gpuE2ELNS1_3repE0EEENS1_30default_config_static_selectorELNS0_4arch9wavefront6targetE1EEEvSQ_,comdat
	.protected	_ZN7rocprim17ROCPRIM_400000_NS6detail17trampoline_kernelINS0_14default_configENS1_21merge_config_selectorIiNS0_10empty_typeEEEZNS1_10merge_implIS3_N6thrust23THRUST_200600_302600_NS6detail15normal_iteratorINS9_10device_ptrIKiEEEESF_NS9_16discard_iteratorINS9_11use_defaultEEEPS5_SJ_SJ_NS9_4lessIiEEEE10hipError_tPvRmT0_T1_T2_T3_T4_T5_mmT6_P12ihipStream_tbEUlT_E_NS1_11comp_targetILNS1_3genE8ELNS1_11target_archE1030ELNS1_3gpuE2ELNS1_3repE0EEENS1_30default_config_static_selectorELNS0_4arch9wavefront6targetE1EEEvSQ_ ; -- Begin function _ZN7rocprim17ROCPRIM_400000_NS6detail17trampoline_kernelINS0_14default_configENS1_21merge_config_selectorIiNS0_10empty_typeEEEZNS1_10merge_implIS3_N6thrust23THRUST_200600_302600_NS6detail15normal_iteratorINS9_10device_ptrIKiEEEESF_NS9_16discard_iteratorINS9_11use_defaultEEEPS5_SJ_SJ_NS9_4lessIiEEEE10hipError_tPvRmT0_T1_T2_T3_T4_T5_mmT6_P12ihipStream_tbEUlT_E_NS1_11comp_targetILNS1_3genE8ELNS1_11target_archE1030ELNS1_3gpuE2ELNS1_3repE0EEENS1_30default_config_static_selectorELNS0_4arch9wavefront6targetE1EEEvSQ_
	.globl	_ZN7rocprim17ROCPRIM_400000_NS6detail17trampoline_kernelINS0_14default_configENS1_21merge_config_selectorIiNS0_10empty_typeEEEZNS1_10merge_implIS3_N6thrust23THRUST_200600_302600_NS6detail15normal_iteratorINS9_10device_ptrIKiEEEESF_NS9_16discard_iteratorINS9_11use_defaultEEEPS5_SJ_SJ_NS9_4lessIiEEEE10hipError_tPvRmT0_T1_T2_T3_T4_T5_mmT6_P12ihipStream_tbEUlT_E_NS1_11comp_targetILNS1_3genE8ELNS1_11target_archE1030ELNS1_3gpuE2ELNS1_3repE0EEENS1_30default_config_static_selectorELNS0_4arch9wavefront6targetE1EEEvSQ_
	.p2align	8
	.type	_ZN7rocprim17ROCPRIM_400000_NS6detail17trampoline_kernelINS0_14default_configENS1_21merge_config_selectorIiNS0_10empty_typeEEEZNS1_10merge_implIS3_N6thrust23THRUST_200600_302600_NS6detail15normal_iteratorINS9_10device_ptrIKiEEEESF_NS9_16discard_iteratorINS9_11use_defaultEEEPS5_SJ_SJ_NS9_4lessIiEEEE10hipError_tPvRmT0_T1_T2_T3_T4_T5_mmT6_P12ihipStream_tbEUlT_E_NS1_11comp_targetILNS1_3genE8ELNS1_11target_archE1030ELNS1_3gpuE2ELNS1_3repE0EEENS1_30default_config_static_selectorELNS0_4arch9wavefront6targetE1EEEvSQ_,@function
_ZN7rocprim17ROCPRIM_400000_NS6detail17trampoline_kernelINS0_14default_configENS1_21merge_config_selectorIiNS0_10empty_typeEEEZNS1_10merge_implIS3_N6thrust23THRUST_200600_302600_NS6detail15normal_iteratorINS9_10device_ptrIKiEEEESF_NS9_16discard_iteratorINS9_11use_defaultEEEPS5_SJ_SJ_NS9_4lessIiEEEE10hipError_tPvRmT0_T1_T2_T3_T4_T5_mmT6_P12ihipStream_tbEUlT_E_NS1_11comp_targetILNS1_3genE8ELNS1_11target_archE1030ELNS1_3gpuE2ELNS1_3repE0EEENS1_30default_config_static_selectorELNS0_4arch9wavefront6targetE1EEEvSQ_: ; @_ZN7rocprim17ROCPRIM_400000_NS6detail17trampoline_kernelINS0_14default_configENS1_21merge_config_selectorIiNS0_10empty_typeEEEZNS1_10merge_implIS3_N6thrust23THRUST_200600_302600_NS6detail15normal_iteratorINS9_10device_ptrIKiEEEESF_NS9_16discard_iteratorINS9_11use_defaultEEEPS5_SJ_SJ_NS9_4lessIiEEEE10hipError_tPvRmT0_T1_T2_T3_T4_T5_mmT6_P12ihipStream_tbEUlT_E_NS1_11comp_targetILNS1_3genE8ELNS1_11target_archE1030ELNS1_3gpuE2ELNS1_3repE0EEENS1_30default_config_static_selectorELNS0_4arch9wavefront6targetE1EEEvSQ_
; %bb.0:
	.section	.rodata,"a",@progbits
	.p2align	6, 0x0
	.amdhsa_kernel _ZN7rocprim17ROCPRIM_400000_NS6detail17trampoline_kernelINS0_14default_configENS1_21merge_config_selectorIiNS0_10empty_typeEEEZNS1_10merge_implIS3_N6thrust23THRUST_200600_302600_NS6detail15normal_iteratorINS9_10device_ptrIKiEEEESF_NS9_16discard_iteratorINS9_11use_defaultEEEPS5_SJ_SJ_NS9_4lessIiEEEE10hipError_tPvRmT0_T1_T2_T3_T4_T5_mmT6_P12ihipStream_tbEUlT_E_NS1_11comp_targetILNS1_3genE8ELNS1_11target_archE1030ELNS1_3gpuE2ELNS1_3repE0EEENS1_30default_config_static_selectorELNS0_4arch9wavefront6targetE1EEEvSQ_
		.amdhsa_group_segment_fixed_size 0
		.amdhsa_private_segment_fixed_size 0
		.amdhsa_kernarg_size 48
		.amdhsa_user_sgpr_count 6
		.amdhsa_user_sgpr_private_segment_buffer 1
		.amdhsa_user_sgpr_dispatch_ptr 0
		.amdhsa_user_sgpr_queue_ptr 0
		.amdhsa_user_sgpr_kernarg_segment_ptr 1
		.amdhsa_user_sgpr_dispatch_id 0
		.amdhsa_user_sgpr_flat_scratch_init 0
		.amdhsa_user_sgpr_kernarg_preload_length 0
		.amdhsa_user_sgpr_kernarg_preload_offset 0
		.amdhsa_user_sgpr_private_segment_size 0
		.amdhsa_uses_dynamic_stack 0
		.amdhsa_system_sgpr_private_segment_wavefront_offset 0
		.amdhsa_system_sgpr_workgroup_id_x 1
		.amdhsa_system_sgpr_workgroup_id_y 0
		.amdhsa_system_sgpr_workgroup_id_z 0
		.amdhsa_system_sgpr_workgroup_info 0
		.amdhsa_system_vgpr_workitem_id 0
		.amdhsa_next_free_vgpr 1
		.amdhsa_next_free_sgpr 0
		.amdhsa_accum_offset 4
		.amdhsa_reserve_vcc 0
		.amdhsa_reserve_flat_scratch 0
		.amdhsa_float_round_mode_32 0
		.amdhsa_float_round_mode_16_64 0
		.amdhsa_float_denorm_mode_32 3
		.amdhsa_float_denorm_mode_16_64 3
		.amdhsa_dx10_clamp 1
		.amdhsa_ieee_mode 1
		.amdhsa_fp16_overflow 0
		.amdhsa_tg_split 0
		.amdhsa_exception_fp_ieee_invalid_op 0
		.amdhsa_exception_fp_denorm_src 0
		.amdhsa_exception_fp_ieee_div_zero 0
		.amdhsa_exception_fp_ieee_overflow 0
		.amdhsa_exception_fp_ieee_underflow 0
		.amdhsa_exception_fp_ieee_inexact 0
		.amdhsa_exception_int_div_zero 0
	.end_amdhsa_kernel
	.section	.text._ZN7rocprim17ROCPRIM_400000_NS6detail17trampoline_kernelINS0_14default_configENS1_21merge_config_selectorIiNS0_10empty_typeEEEZNS1_10merge_implIS3_N6thrust23THRUST_200600_302600_NS6detail15normal_iteratorINS9_10device_ptrIKiEEEESF_NS9_16discard_iteratorINS9_11use_defaultEEEPS5_SJ_SJ_NS9_4lessIiEEEE10hipError_tPvRmT0_T1_T2_T3_T4_T5_mmT6_P12ihipStream_tbEUlT_E_NS1_11comp_targetILNS1_3genE8ELNS1_11target_archE1030ELNS1_3gpuE2ELNS1_3repE0EEENS1_30default_config_static_selectorELNS0_4arch9wavefront6targetE1EEEvSQ_,"axG",@progbits,_ZN7rocprim17ROCPRIM_400000_NS6detail17trampoline_kernelINS0_14default_configENS1_21merge_config_selectorIiNS0_10empty_typeEEEZNS1_10merge_implIS3_N6thrust23THRUST_200600_302600_NS6detail15normal_iteratorINS9_10device_ptrIKiEEEESF_NS9_16discard_iteratorINS9_11use_defaultEEEPS5_SJ_SJ_NS9_4lessIiEEEE10hipError_tPvRmT0_T1_T2_T3_T4_T5_mmT6_P12ihipStream_tbEUlT_E_NS1_11comp_targetILNS1_3genE8ELNS1_11target_archE1030ELNS1_3gpuE2ELNS1_3repE0EEENS1_30default_config_static_selectorELNS0_4arch9wavefront6targetE1EEEvSQ_,comdat
.Lfunc_end433:
	.size	_ZN7rocprim17ROCPRIM_400000_NS6detail17trampoline_kernelINS0_14default_configENS1_21merge_config_selectorIiNS0_10empty_typeEEEZNS1_10merge_implIS3_N6thrust23THRUST_200600_302600_NS6detail15normal_iteratorINS9_10device_ptrIKiEEEESF_NS9_16discard_iteratorINS9_11use_defaultEEEPS5_SJ_SJ_NS9_4lessIiEEEE10hipError_tPvRmT0_T1_T2_T3_T4_T5_mmT6_P12ihipStream_tbEUlT_E_NS1_11comp_targetILNS1_3genE8ELNS1_11target_archE1030ELNS1_3gpuE2ELNS1_3repE0EEENS1_30default_config_static_selectorELNS0_4arch9wavefront6targetE1EEEvSQ_, .Lfunc_end433-_ZN7rocprim17ROCPRIM_400000_NS6detail17trampoline_kernelINS0_14default_configENS1_21merge_config_selectorIiNS0_10empty_typeEEEZNS1_10merge_implIS3_N6thrust23THRUST_200600_302600_NS6detail15normal_iteratorINS9_10device_ptrIKiEEEESF_NS9_16discard_iteratorINS9_11use_defaultEEEPS5_SJ_SJ_NS9_4lessIiEEEE10hipError_tPvRmT0_T1_T2_T3_T4_T5_mmT6_P12ihipStream_tbEUlT_E_NS1_11comp_targetILNS1_3genE8ELNS1_11target_archE1030ELNS1_3gpuE2ELNS1_3repE0EEENS1_30default_config_static_selectorELNS0_4arch9wavefront6targetE1EEEvSQ_
                                        ; -- End function
	.section	.AMDGPU.csdata,"",@progbits
; Kernel info:
; codeLenInByte = 0
; NumSgprs: 4
; NumVgprs: 0
; NumAgprs: 0
; TotalNumVgprs: 0
; ScratchSize: 0
; MemoryBound: 0
; FloatMode: 240
; IeeeMode: 1
; LDSByteSize: 0 bytes/workgroup (compile time only)
; SGPRBlocks: 0
; VGPRBlocks: 0
; NumSGPRsForWavesPerEU: 4
; NumVGPRsForWavesPerEU: 1
; AccumOffset: 4
; Occupancy: 8
; WaveLimiterHint : 0
; COMPUTE_PGM_RSRC2:SCRATCH_EN: 0
; COMPUTE_PGM_RSRC2:USER_SGPR: 6
; COMPUTE_PGM_RSRC2:TRAP_HANDLER: 0
; COMPUTE_PGM_RSRC2:TGID_X_EN: 1
; COMPUTE_PGM_RSRC2:TGID_Y_EN: 0
; COMPUTE_PGM_RSRC2:TGID_Z_EN: 0
; COMPUTE_PGM_RSRC2:TIDIG_COMP_CNT: 0
; COMPUTE_PGM_RSRC3_GFX90A:ACCUM_OFFSET: 0
; COMPUTE_PGM_RSRC3_GFX90A:TG_SPLIT: 0
	.section	.text._ZN7rocprim17ROCPRIM_400000_NS6detail17trampoline_kernelINS0_14default_configENS1_21merge_config_selectorIiNS0_10empty_typeEEEZNS1_10merge_implIS3_N6thrust23THRUST_200600_302600_NS6detail15normal_iteratorINS9_10device_ptrIKiEEEESF_NS9_16discard_iteratorINS9_11use_defaultEEEPS5_SJ_SJ_NS9_4lessIiEEEE10hipError_tPvRmT0_T1_T2_T3_T4_T5_mmT6_P12ihipStream_tbEUlT_E0_NS1_11comp_targetILNS1_3genE0ELNS1_11target_archE4294967295ELNS1_3gpuE0ELNS1_3repE0EEENS1_30default_config_static_selectorELNS0_4arch9wavefront6targetE1EEEvSQ_,"axG",@progbits,_ZN7rocprim17ROCPRIM_400000_NS6detail17trampoline_kernelINS0_14default_configENS1_21merge_config_selectorIiNS0_10empty_typeEEEZNS1_10merge_implIS3_N6thrust23THRUST_200600_302600_NS6detail15normal_iteratorINS9_10device_ptrIKiEEEESF_NS9_16discard_iteratorINS9_11use_defaultEEEPS5_SJ_SJ_NS9_4lessIiEEEE10hipError_tPvRmT0_T1_T2_T3_T4_T5_mmT6_P12ihipStream_tbEUlT_E0_NS1_11comp_targetILNS1_3genE0ELNS1_11target_archE4294967295ELNS1_3gpuE0ELNS1_3repE0EEENS1_30default_config_static_selectorELNS0_4arch9wavefront6targetE1EEEvSQ_,comdat
	.protected	_ZN7rocprim17ROCPRIM_400000_NS6detail17trampoline_kernelINS0_14default_configENS1_21merge_config_selectorIiNS0_10empty_typeEEEZNS1_10merge_implIS3_N6thrust23THRUST_200600_302600_NS6detail15normal_iteratorINS9_10device_ptrIKiEEEESF_NS9_16discard_iteratorINS9_11use_defaultEEEPS5_SJ_SJ_NS9_4lessIiEEEE10hipError_tPvRmT0_T1_T2_T3_T4_T5_mmT6_P12ihipStream_tbEUlT_E0_NS1_11comp_targetILNS1_3genE0ELNS1_11target_archE4294967295ELNS1_3gpuE0ELNS1_3repE0EEENS1_30default_config_static_selectorELNS0_4arch9wavefront6targetE1EEEvSQ_ ; -- Begin function _ZN7rocprim17ROCPRIM_400000_NS6detail17trampoline_kernelINS0_14default_configENS1_21merge_config_selectorIiNS0_10empty_typeEEEZNS1_10merge_implIS3_N6thrust23THRUST_200600_302600_NS6detail15normal_iteratorINS9_10device_ptrIKiEEEESF_NS9_16discard_iteratorINS9_11use_defaultEEEPS5_SJ_SJ_NS9_4lessIiEEEE10hipError_tPvRmT0_T1_T2_T3_T4_T5_mmT6_P12ihipStream_tbEUlT_E0_NS1_11comp_targetILNS1_3genE0ELNS1_11target_archE4294967295ELNS1_3gpuE0ELNS1_3repE0EEENS1_30default_config_static_selectorELNS0_4arch9wavefront6targetE1EEEvSQ_
	.globl	_ZN7rocprim17ROCPRIM_400000_NS6detail17trampoline_kernelINS0_14default_configENS1_21merge_config_selectorIiNS0_10empty_typeEEEZNS1_10merge_implIS3_N6thrust23THRUST_200600_302600_NS6detail15normal_iteratorINS9_10device_ptrIKiEEEESF_NS9_16discard_iteratorINS9_11use_defaultEEEPS5_SJ_SJ_NS9_4lessIiEEEE10hipError_tPvRmT0_T1_T2_T3_T4_T5_mmT6_P12ihipStream_tbEUlT_E0_NS1_11comp_targetILNS1_3genE0ELNS1_11target_archE4294967295ELNS1_3gpuE0ELNS1_3repE0EEENS1_30default_config_static_selectorELNS0_4arch9wavefront6targetE1EEEvSQ_
	.p2align	8
	.type	_ZN7rocprim17ROCPRIM_400000_NS6detail17trampoline_kernelINS0_14default_configENS1_21merge_config_selectorIiNS0_10empty_typeEEEZNS1_10merge_implIS3_N6thrust23THRUST_200600_302600_NS6detail15normal_iteratorINS9_10device_ptrIKiEEEESF_NS9_16discard_iteratorINS9_11use_defaultEEEPS5_SJ_SJ_NS9_4lessIiEEEE10hipError_tPvRmT0_T1_T2_T3_T4_T5_mmT6_P12ihipStream_tbEUlT_E0_NS1_11comp_targetILNS1_3genE0ELNS1_11target_archE4294967295ELNS1_3gpuE0ELNS1_3repE0EEENS1_30default_config_static_selectorELNS0_4arch9wavefront6targetE1EEEvSQ_,@function
_ZN7rocprim17ROCPRIM_400000_NS6detail17trampoline_kernelINS0_14default_configENS1_21merge_config_selectorIiNS0_10empty_typeEEEZNS1_10merge_implIS3_N6thrust23THRUST_200600_302600_NS6detail15normal_iteratorINS9_10device_ptrIKiEEEESF_NS9_16discard_iteratorINS9_11use_defaultEEEPS5_SJ_SJ_NS9_4lessIiEEEE10hipError_tPvRmT0_T1_T2_T3_T4_T5_mmT6_P12ihipStream_tbEUlT_E0_NS1_11comp_targetILNS1_3genE0ELNS1_11target_archE4294967295ELNS1_3gpuE0ELNS1_3repE0EEENS1_30default_config_static_selectorELNS0_4arch9wavefront6targetE1EEEvSQ_: ; @_ZN7rocprim17ROCPRIM_400000_NS6detail17trampoline_kernelINS0_14default_configENS1_21merge_config_selectorIiNS0_10empty_typeEEEZNS1_10merge_implIS3_N6thrust23THRUST_200600_302600_NS6detail15normal_iteratorINS9_10device_ptrIKiEEEESF_NS9_16discard_iteratorINS9_11use_defaultEEEPS5_SJ_SJ_NS9_4lessIiEEEE10hipError_tPvRmT0_T1_T2_T3_T4_T5_mmT6_P12ihipStream_tbEUlT_E0_NS1_11comp_targetILNS1_3genE0ELNS1_11target_archE4294967295ELNS1_3gpuE0ELNS1_3repE0EEENS1_30default_config_static_selectorELNS0_4arch9wavefront6targetE1EEEvSQ_
; %bb.0:
	.section	.rodata,"a",@progbits
	.p2align	6, 0x0
	.amdhsa_kernel _ZN7rocprim17ROCPRIM_400000_NS6detail17trampoline_kernelINS0_14default_configENS1_21merge_config_selectorIiNS0_10empty_typeEEEZNS1_10merge_implIS3_N6thrust23THRUST_200600_302600_NS6detail15normal_iteratorINS9_10device_ptrIKiEEEESF_NS9_16discard_iteratorINS9_11use_defaultEEEPS5_SJ_SJ_NS9_4lessIiEEEE10hipError_tPvRmT0_T1_T2_T3_T4_T5_mmT6_P12ihipStream_tbEUlT_E0_NS1_11comp_targetILNS1_3genE0ELNS1_11target_archE4294967295ELNS1_3gpuE0ELNS1_3repE0EEENS1_30default_config_static_selectorELNS0_4arch9wavefront6targetE1EEEvSQ_
		.amdhsa_group_segment_fixed_size 0
		.amdhsa_private_segment_fixed_size 0
		.amdhsa_kernarg_size 96
		.amdhsa_user_sgpr_count 6
		.amdhsa_user_sgpr_private_segment_buffer 1
		.amdhsa_user_sgpr_dispatch_ptr 0
		.amdhsa_user_sgpr_queue_ptr 0
		.amdhsa_user_sgpr_kernarg_segment_ptr 1
		.amdhsa_user_sgpr_dispatch_id 0
		.amdhsa_user_sgpr_flat_scratch_init 0
		.amdhsa_user_sgpr_kernarg_preload_length 0
		.amdhsa_user_sgpr_kernarg_preload_offset 0
		.amdhsa_user_sgpr_private_segment_size 0
		.amdhsa_uses_dynamic_stack 0
		.amdhsa_system_sgpr_private_segment_wavefront_offset 0
		.amdhsa_system_sgpr_workgroup_id_x 1
		.amdhsa_system_sgpr_workgroup_id_y 0
		.amdhsa_system_sgpr_workgroup_id_z 0
		.amdhsa_system_sgpr_workgroup_info 0
		.amdhsa_system_vgpr_workitem_id 0
		.amdhsa_next_free_vgpr 1
		.amdhsa_next_free_sgpr 0
		.amdhsa_accum_offset 4
		.amdhsa_reserve_vcc 0
		.amdhsa_reserve_flat_scratch 0
		.amdhsa_float_round_mode_32 0
		.amdhsa_float_round_mode_16_64 0
		.amdhsa_float_denorm_mode_32 3
		.amdhsa_float_denorm_mode_16_64 3
		.amdhsa_dx10_clamp 1
		.amdhsa_ieee_mode 1
		.amdhsa_fp16_overflow 0
		.amdhsa_tg_split 0
		.amdhsa_exception_fp_ieee_invalid_op 0
		.amdhsa_exception_fp_denorm_src 0
		.amdhsa_exception_fp_ieee_div_zero 0
		.amdhsa_exception_fp_ieee_overflow 0
		.amdhsa_exception_fp_ieee_underflow 0
		.amdhsa_exception_fp_ieee_inexact 0
		.amdhsa_exception_int_div_zero 0
	.end_amdhsa_kernel
	.section	.text._ZN7rocprim17ROCPRIM_400000_NS6detail17trampoline_kernelINS0_14default_configENS1_21merge_config_selectorIiNS0_10empty_typeEEEZNS1_10merge_implIS3_N6thrust23THRUST_200600_302600_NS6detail15normal_iteratorINS9_10device_ptrIKiEEEESF_NS9_16discard_iteratorINS9_11use_defaultEEEPS5_SJ_SJ_NS9_4lessIiEEEE10hipError_tPvRmT0_T1_T2_T3_T4_T5_mmT6_P12ihipStream_tbEUlT_E0_NS1_11comp_targetILNS1_3genE0ELNS1_11target_archE4294967295ELNS1_3gpuE0ELNS1_3repE0EEENS1_30default_config_static_selectorELNS0_4arch9wavefront6targetE1EEEvSQ_,"axG",@progbits,_ZN7rocprim17ROCPRIM_400000_NS6detail17trampoline_kernelINS0_14default_configENS1_21merge_config_selectorIiNS0_10empty_typeEEEZNS1_10merge_implIS3_N6thrust23THRUST_200600_302600_NS6detail15normal_iteratorINS9_10device_ptrIKiEEEESF_NS9_16discard_iteratorINS9_11use_defaultEEEPS5_SJ_SJ_NS9_4lessIiEEEE10hipError_tPvRmT0_T1_T2_T3_T4_T5_mmT6_P12ihipStream_tbEUlT_E0_NS1_11comp_targetILNS1_3genE0ELNS1_11target_archE4294967295ELNS1_3gpuE0ELNS1_3repE0EEENS1_30default_config_static_selectorELNS0_4arch9wavefront6targetE1EEEvSQ_,comdat
.Lfunc_end434:
	.size	_ZN7rocprim17ROCPRIM_400000_NS6detail17trampoline_kernelINS0_14default_configENS1_21merge_config_selectorIiNS0_10empty_typeEEEZNS1_10merge_implIS3_N6thrust23THRUST_200600_302600_NS6detail15normal_iteratorINS9_10device_ptrIKiEEEESF_NS9_16discard_iteratorINS9_11use_defaultEEEPS5_SJ_SJ_NS9_4lessIiEEEE10hipError_tPvRmT0_T1_T2_T3_T4_T5_mmT6_P12ihipStream_tbEUlT_E0_NS1_11comp_targetILNS1_3genE0ELNS1_11target_archE4294967295ELNS1_3gpuE0ELNS1_3repE0EEENS1_30default_config_static_selectorELNS0_4arch9wavefront6targetE1EEEvSQ_, .Lfunc_end434-_ZN7rocprim17ROCPRIM_400000_NS6detail17trampoline_kernelINS0_14default_configENS1_21merge_config_selectorIiNS0_10empty_typeEEEZNS1_10merge_implIS3_N6thrust23THRUST_200600_302600_NS6detail15normal_iteratorINS9_10device_ptrIKiEEEESF_NS9_16discard_iteratorINS9_11use_defaultEEEPS5_SJ_SJ_NS9_4lessIiEEEE10hipError_tPvRmT0_T1_T2_T3_T4_T5_mmT6_P12ihipStream_tbEUlT_E0_NS1_11comp_targetILNS1_3genE0ELNS1_11target_archE4294967295ELNS1_3gpuE0ELNS1_3repE0EEENS1_30default_config_static_selectorELNS0_4arch9wavefront6targetE1EEEvSQ_
                                        ; -- End function
	.section	.AMDGPU.csdata,"",@progbits
; Kernel info:
; codeLenInByte = 0
; NumSgprs: 4
; NumVgprs: 0
; NumAgprs: 0
; TotalNumVgprs: 0
; ScratchSize: 0
; MemoryBound: 0
; FloatMode: 240
; IeeeMode: 1
; LDSByteSize: 0 bytes/workgroup (compile time only)
; SGPRBlocks: 0
; VGPRBlocks: 0
; NumSGPRsForWavesPerEU: 4
; NumVGPRsForWavesPerEU: 1
; AccumOffset: 4
; Occupancy: 8
; WaveLimiterHint : 0
; COMPUTE_PGM_RSRC2:SCRATCH_EN: 0
; COMPUTE_PGM_RSRC2:USER_SGPR: 6
; COMPUTE_PGM_RSRC2:TRAP_HANDLER: 0
; COMPUTE_PGM_RSRC2:TGID_X_EN: 1
; COMPUTE_PGM_RSRC2:TGID_Y_EN: 0
; COMPUTE_PGM_RSRC2:TGID_Z_EN: 0
; COMPUTE_PGM_RSRC2:TIDIG_COMP_CNT: 0
; COMPUTE_PGM_RSRC3_GFX90A:ACCUM_OFFSET: 0
; COMPUTE_PGM_RSRC3_GFX90A:TG_SPLIT: 0
	.section	.text._ZN7rocprim17ROCPRIM_400000_NS6detail17trampoline_kernelINS0_14default_configENS1_21merge_config_selectorIiNS0_10empty_typeEEEZNS1_10merge_implIS3_N6thrust23THRUST_200600_302600_NS6detail15normal_iteratorINS9_10device_ptrIKiEEEESF_NS9_16discard_iteratorINS9_11use_defaultEEEPS5_SJ_SJ_NS9_4lessIiEEEE10hipError_tPvRmT0_T1_T2_T3_T4_T5_mmT6_P12ihipStream_tbEUlT_E0_NS1_11comp_targetILNS1_3genE5ELNS1_11target_archE942ELNS1_3gpuE9ELNS1_3repE0EEENS1_30default_config_static_selectorELNS0_4arch9wavefront6targetE1EEEvSQ_,"axG",@progbits,_ZN7rocprim17ROCPRIM_400000_NS6detail17trampoline_kernelINS0_14default_configENS1_21merge_config_selectorIiNS0_10empty_typeEEEZNS1_10merge_implIS3_N6thrust23THRUST_200600_302600_NS6detail15normal_iteratorINS9_10device_ptrIKiEEEESF_NS9_16discard_iteratorINS9_11use_defaultEEEPS5_SJ_SJ_NS9_4lessIiEEEE10hipError_tPvRmT0_T1_T2_T3_T4_T5_mmT6_P12ihipStream_tbEUlT_E0_NS1_11comp_targetILNS1_3genE5ELNS1_11target_archE942ELNS1_3gpuE9ELNS1_3repE0EEENS1_30default_config_static_selectorELNS0_4arch9wavefront6targetE1EEEvSQ_,comdat
	.protected	_ZN7rocprim17ROCPRIM_400000_NS6detail17trampoline_kernelINS0_14default_configENS1_21merge_config_selectorIiNS0_10empty_typeEEEZNS1_10merge_implIS3_N6thrust23THRUST_200600_302600_NS6detail15normal_iteratorINS9_10device_ptrIKiEEEESF_NS9_16discard_iteratorINS9_11use_defaultEEEPS5_SJ_SJ_NS9_4lessIiEEEE10hipError_tPvRmT0_T1_T2_T3_T4_T5_mmT6_P12ihipStream_tbEUlT_E0_NS1_11comp_targetILNS1_3genE5ELNS1_11target_archE942ELNS1_3gpuE9ELNS1_3repE0EEENS1_30default_config_static_selectorELNS0_4arch9wavefront6targetE1EEEvSQ_ ; -- Begin function _ZN7rocprim17ROCPRIM_400000_NS6detail17trampoline_kernelINS0_14default_configENS1_21merge_config_selectorIiNS0_10empty_typeEEEZNS1_10merge_implIS3_N6thrust23THRUST_200600_302600_NS6detail15normal_iteratorINS9_10device_ptrIKiEEEESF_NS9_16discard_iteratorINS9_11use_defaultEEEPS5_SJ_SJ_NS9_4lessIiEEEE10hipError_tPvRmT0_T1_T2_T3_T4_T5_mmT6_P12ihipStream_tbEUlT_E0_NS1_11comp_targetILNS1_3genE5ELNS1_11target_archE942ELNS1_3gpuE9ELNS1_3repE0EEENS1_30default_config_static_selectorELNS0_4arch9wavefront6targetE1EEEvSQ_
	.globl	_ZN7rocprim17ROCPRIM_400000_NS6detail17trampoline_kernelINS0_14default_configENS1_21merge_config_selectorIiNS0_10empty_typeEEEZNS1_10merge_implIS3_N6thrust23THRUST_200600_302600_NS6detail15normal_iteratorINS9_10device_ptrIKiEEEESF_NS9_16discard_iteratorINS9_11use_defaultEEEPS5_SJ_SJ_NS9_4lessIiEEEE10hipError_tPvRmT0_T1_T2_T3_T4_T5_mmT6_P12ihipStream_tbEUlT_E0_NS1_11comp_targetILNS1_3genE5ELNS1_11target_archE942ELNS1_3gpuE9ELNS1_3repE0EEENS1_30default_config_static_selectorELNS0_4arch9wavefront6targetE1EEEvSQ_
	.p2align	8
	.type	_ZN7rocprim17ROCPRIM_400000_NS6detail17trampoline_kernelINS0_14default_configENS1_21merge_config_selectorIiNS0_10empty_typeEEEZNS1_10merge_implIS3_N6thrust23THRUST_200600_302600_NS6detail15normal_iteratorINS9_10device_ptrIKiEEEESF_NS9_16discard_iteratorINS9_11use_defaultEEEPS5_SJ_SJ_NS9_4lessIiEEEE10hipError_tPvRmT0_T1_T2_T3_T4_T5_mmT6_P12ihipStream_tbEUlT_E0_NS1_11comp_targetILNS1_3genE5ELNS1_11target_archE942ELNS1_3gpuE9ELNS1_3repE0EEENS1_30default_config_static_selectorELNS0_4arch9wavefront6targetE1EEEvSQ_,@function
_ZN7rocprim17ROCPRIM_400000_NS6detail17trampoline_kernelINS0_14default_configENS1_21merge_config_selectorIiNS0_10empty_typeEEEZNS1_10merge_implIS3_N6thrust23THRUST_200600_302600_NS6detail15normal_iteratorINS9_10device_ptrIKiEEEESF_NS9_16discard_iteratorINS9_11use_defaultEEEPS5_SJ_SJ_NS9_4lessIiEEEE10hipError_tPvRmT0_T1_T2_T3_T4_T5_mmT6_P12ihipStream_tbEUlT_E0_NS1_11comp_targetILNS1_3genE5ELNS1_11target_archE942ELNS1_3gpuE9ELNS1_3repE0EEENS1_30default_config_static_selectorELNS0_4arch9wavefront6targetE1EEEvSQ_: ; @_ZN7rocprim17ROCPRIM_400000_NS6detail17trampoline_kernelINS0_14default_configENS1_21merge_config_selectorIiNS0_10empty_typeEEEZNS1_10merge_implIS3_N6thrust23THRUST_200600_302600_NS6detail15normal_iteratorINS9_10device_ptrIKiEEEESF_NS9_16discard_iteratorINS9_11use_defaultEEEPS5_SJ_SJ_NS9_4lessIiEEEE10hipError_tPvRmT0_T1_T2_T3_T4_T5_mmT6_P12ihipStream_tbEUlT_E0_NS1_11comp_targetILNS1_3genE5ELNS1_11target_archE942ELNS1_3gpuE9ELNS1_3repE0EEENS1_30default_config_static_selectorELNS0_4arch9wavefront6targetE1EEEvSQ_
; %bb.0:
	.section	.rodata,"a",@progbits
	.p2align	6, 0x0
	.amdhsa_kernel _ZN7rocprim17ROCPRIM_400000_NS6detail17trampoline_kernelINS0_14default_configENS1_21merge_config_selectorIiNS0_10empty_typeEEEZNS1_10merge_implIS3_N6thrust23THRUST_200600_302600_NS6detail15normal_iteratorINS9_10device_ptrIKiEEEESF_NS9_16discard_iteratorINS9_11use_defaultEEEPS5_SJ_SJ_NS9_4lessIiEEEE10hipError_tPvRmT0_T1_T2_T3_T4_T5_mmT6_P12ihipStream_tbEUlT_E0_NS1_11comp_targetILNS1_3genE5ELNS1_11target_archE942ELNS1_3gpuE9ELNS1_3repE0EEENS1_30default_config_static_selectorELNS0_4arch9wavefront6targetE1EEEvSQ_
		.amdhsa_group_segment_fixed_size 0
		.amdhsa_private_segment_fixed_size 0
		.amdhsa_kernarg_size 96
		.amdhsa_user_sgpr_count 6
		.amdhsa_user_sgpr_private_segment_buffer 1
		.amdhsa_user_sgpr_dispatch_ptr 0
		.amdhsa_user_sgpr_queue_ptr 0
		.amdhsa_user_sgpr_kernarg_segment_ptr 1
		.amdhsa_user_sgpr_dispatch_id 0
		.amdhsa_user_sgpr_flat_scratch_init 0
		.amdhsa_user_sgpr_kernarg_preload_length 0
		.amdhsa_user_sgpr_kernarg_preload_offset 0
		.amdhsa_user_sgpr_private_segment_size 0
		.amdhsa_uses_dynamic_stack 0
		.amdhsa_system_sgpr_private_segment_wavefront_offset 0
		.amdhsa_system_sgpr_workgroup_id_x 1
		.amdhsa_system_sgpr_workgroup_id_y 0
		.amdhsa_system_sgpr_workgroup_id_z 0
		.amdhsa_system_sgpr_workgroup_info 0
		.amdhsa_system_vgpr_workitem_id 0
		.amdhsa_next_free_vgpr 1
		.amdhsa_next_free_sgpr 0
		.amdhsa_accum_offset 4
		.amdhsa_reserve_vcc 0
		.amdhsa_reserve_flat_scratch 0
		.amdhsa_float_round_mode_32 0
		.amdhsa_float_round_mode_16_64 0
		.amdhsa_float_denorm_mode_32 3
		.amdhsa_float_denorm_mode_16_64 3
		.amdhsa_dx10_clamp 1
		.amdhsa_ieee_mode 1
		.amdhsa_fp16_overflow 0
		.amdhsa_tg_split 0
		.amdhsa_exception_fp_ieee_invalid_op 0
		.amdhsa_exception_fp_denorm_src 0
		.amdhsa_exception_fp_ieee_div_zero 0
		.amdhsa_exception_fp_ieee_overflow 0
		.amdhsa_exception_fp_ieee_underflow 0
		.amdhsa_exception_fp_ieee_inexact 0
		.amdhsa_exception_int_div_zero 0
	.end_amdhsa_kernel
	.section	.text._ZN7rocprim17ROCPRIM_400000_NS6detail17trampoline_kernelINS0_14default_configENS1_21merge_config_selectorIiNS0_10empty_typeEEEZNS1_10merge_implIS3_N6thrust23THRUST_200600_302600_NS6detail15normal_iteratorINS9_10device_ptrIKiEEEESF_NS9_16discard_iteratorINS9_11use_defaultEEEPS5_SJ_SJ_NS9_4lessIiEEEE10hipError_tPvRmT0_T1_T2_T3_T4_T5_mmT6_P12ihipStream_tbEUlT_E0_NS1_11comp_targetILNS1_3genE5ELNS1_11target_archE942ELNS1_3gpuE9ELNS1_3repE0EEENS1_30default_config_static_selectorELNS0_4arch9wavefront6targetE1EEEvSQ_,"axG",@progbits,_ZN7rocprim17ROCPRIM_400000_NS6detail17trampoline_kernelINS0_14default_configENS1_21merge_config_selectorIiNS0_10empty_typeEEEZNS1_10merge_implIS3_N6thrust23THRUST_200600_302600_NS6detail15normal_iteratorINS9_10device_ptrIKiEEEESF_NS9_16discard_iteratorINS9_11use_defaultEEEPS5_SJ_SJ_NS9_4lessIiEEEE10hipError_tPvRmT0_T1_T2_T3_T4_T5_mmT6_P12ihipStream_tbEUlT_E0_NS1_11comp_targetILNS1_3genE5ELNS1_11target_archE942ELNS1_3gpuE9ELNS1_3repE0EEENS1_30default_config_static_selectorELNS0_4arch9wavefront6targetE1EEEvSQ_,comdat
.Lfunc_end435:
	.size	_ZN7rocprim17ROCPRIM_400000_NS6detail17trampoline_kernelINS0_14default_configENS1_21merge_config_selectorIiNS0_10empty_typeEEEZNS1_10merge_implIS3_N6thrust23THRUST_200600_302600_NS6detail15normal_iteratorINS9_10device_ptrIKiEEEESF_NS9_16discard_iteratorINS9_11use_defaultEEEPS5_SJ_SJ_NS9_4lessIiEEEE10hipError_tPvRmT0_T1_T2_T3_T4_T5_mmT6_P12ihipStream_tbEUlT_E0_NS1_11comp_targetILNS1_3genE5ELNS1_11target_archE942ELNS1_3gpuE9ELNS1_3repE0EEENS1_30default_config_static_selectorELNS0_4arch9wavefront6targetE1EEEvSQ_, .Lfunc_end435-_ZN7rocprim17ROCPRIM_400000_NS6detail17trampoline_kernelINS0_14default_configENS1_21merge_config_selectorIiNS0_10empty_typeEEEZNS1_10merge_implIS3_N6thrust23THRUST_200600_302600_NS6detail15normal_iteratorINS9_10device_ptrIKiEEEESF_NS9_16discard_iteratorINS9_11use_defaultEEEPS5_SJ_SJ_NS9_4lessIiEEEE10hipError_tPvRmT0_T1_T2_T3_T4_T5_mmT6_P12ihipStream_tbEUlT_E0_NS1_11comp_targetILNS1_3genE5ELNS1_11target_archE942ELNS1_3gpuE9ELNS1_3repE0EEENS1_30default_config_static_selectorELNS0_4arch9wavefront6targetE1EEEvSQ_
                                        ; -- End function
	.section	.AMDGPU.csdata,"",@progbits
; Kernel info:
; codeLenInByte = 0
; NumSgprs: 4
; NumVgprs: 0
; NumAgprs: 0
; TotalNumVgprs: 0
; ScratchSize: 0
; MemoryBound: 0
; FloatMode: 240
; IeeeMode: 1
; LDSByteSize: 0 bytes/workgroup (compile time only)
; SGPRBlocks: 0
; VGPRBlocks: 0
; NumSGPRsForWavesPerEU: 4
; NumVGPRsForWavesPerEU: 1
; AccumOffset: 4
; Occupancy: 8
; WaveLimiterHint : 0
; COMPUTE_PGM_RSRC2:SCRATCH_EN: 0
; COMPUTE_PGM_RSRC2:USER_SGPR: 6
; COMPUTE_PGM_RSRC2:TRAP_HANDLER: 0
; COMPUTE_PGM_RSRC2:TGID_X_EN: 1
; COMPUTE_PGM_RSRC2:TGID_Y_EN: 0
; COMPUTE_PGM_RSRC2:TGID_Z_EN: 0
; COMPUTE_PGM_RSRC2:TIDIG_COMP_CNT: 0
; COMPUTE_PGM_RSRC3_GFX90A:ACCUM_OFFSET: 0
; COMPUTE_PGM_RSRC3_GFX90A:TG_SPLIT: 0
	.section	.text._ZN7rocprim17ROCPRIM_400000_NS6detail17trampoline_kernelINS0_14default_configENS1_21merge_config_selectorIiNS0_10empty_typeEEEZNS1_10merge_implIS3_N6thrust23THRUST_200600_302600_NS6detail15normal_iteratorINS9_10device_ptrIKiEEEESF_NS9_16discard_iteratorINS9_11use_defaultEEEPS5_SJ_SJ_NS9_4lessIiEEEE10hipError_tPvRmT0_T1_T2_T3_T4_T5_mmT6_P12ihipStream_tbEUlT_E0_NS1_11comp_targetILNS1_3genE4ELNS1_11target_archE910ELNS1_3gpuE8ELNS1_3repE0EEENS1_30default_config_static_selectorELNS0_4arch9wavefront6targetE1EEEvSQ_,"axG",@progbits,_ZN7rocprim17ROCPRIM_400000_NS6detail17trampoline_kernelINS0_14default_configENS1_21merge_config_selectorIiNS0_10empty_typeEEEZNS1_10merge_implIS3_N6thrust23THRUST_200600_302600_NS6detail15normal_iteratorINS9_10device_ptrIKiEEEESF_NS9_16discard_iteratorINS9_11use_defaultEEEPS5_SJ_SJ_NS9_4lessIiEEEE10hipError_tPvRmT0_T1_T2_T3_T4_T5_mmT6_P12ihipStream_tbEUlT_E0_NS1_11comp_targetILNS1_3genE4ELNS1_11target_archE910ELNS1_3gpuE8ELNS1_3repE0EEENS1_30default_config_static_selectorELNS0_4arch9wavefront6targetE1EEEvSQ_,comdat
	.protected	_ZN7rocprim17ROCPRIM_400000_NS6detail17trampoline_kernelINS0_14default_configENS1_21merge_config_selectorIiNS0_10empty_typeEEEZNS1_10merge_implIS3_N6thrust23THRUST_200600_302600_NS6detail15normal_iteratorINS9_10device_ptrIKiEEEESF_NS9_16discard_iteratorINS9_11use_defaultEEEPS5_SJ_SJ_NS9_4lessIiEEEE10hipError_tPvRmT0_T1_T2_T3_T4_T5_mmT6_P12ihipStream_tbEUlT_E0_NS1_11comp_targetILNS1_3genE4ELNS1_11target_archE910ELNS1_3gpuE8ELNS1_3repE0EEENS1_30default_config_static_selectorELNS0_4arch9wavefront6targetE1EEEvSQ_ ; -- Begin function _ZN7rocprim17ROCPRIM_400000_NS6detail17trampoline_kernelINS0_14default_configENS1_21merge_config_selectorIiNS0_10empty_typeEEEZNS1_10merge_implIS3_N6thrust23THRUST_200600_302600_NS6detail15normal_iteratorINS9_10device_ptrIKiEEEESF_NS9_16discard_iteratorINS9_11use_defaultEEEPS5_SJ_SJ_NS9_4lessIiEEEE10hipError_tPvRmT0_T1_T2_T3_T4_T5_mmT6_P12ihipStream_tbEUlT_E0_NS1_11comp_targetILNS1_3genE4ELNS1_11target_archE910ELNS1_3gpuE8ELNS1_3repE0EEENS1_30default_config_static_selectorELNS0_4arch9wavefront6targetE1EEEvSQ_
	.globl	_ZN7rocprim17ROCPRIM_400000_NS6detail17trampoline_kernelINS0_14default_configENS1_21merge_config_selectorIiNS0_10empty_typeEEEZNS1_10merge_implIS3_N6thrust23THRUST_200600_302600_NS6detail15normal_iteratorINS9_10device_ptrIKiEEEESF_NS9_16discard_iteratorINS9_11use_defaultEEEPS5_SJ_SJ_NS9_4lessIiEEEE10hipError_tPvRmT0_T1_T2_T3_T4_T5_mmT6_P12ihipStream_tbEUlT_E0_NS1_11comp_targetILNS1_3genE4ELNS1_11target_archE910ELNS1_3gpuE8ELNS1_3repE0EEENS1_30default_config_static_selectorELNS0_4arch9wavefront6targetE1EEEvSQ_
	.p2align	8
	.type	_ZN7rocprim17ROCPRIM_400000_NS6detail17trampoline_kernelINS0_14default_configENS1_21merge_config_selectorIiNS0_10empty_typeEEEZNS1_10merge_implIS3_N6thrust23THRUST_200600_302600_NS6detail15normal_iteratorINS9_10device_ptrIKiEEEESF_NS9_16discard_iteratorINS9_11use_defaultEEEPS5_SJ_SJ_NS9_4lessIiEEEE10hipError_tPvRmT0_T1_T2_T3_T4_T5_mmT6_P12ihipStream_tbEUlT_E0_NS1_11comp_targetILNS1_3genE4ELNS1_11target_archE910ELNS1_3gpuE8ELNS1_3repE0EEENS1_30default_config_static_selectorELNS0_4arch9wavefront6targetE1EEEvSQ_,@function
_ZN7rocprim17ROCPRIM_400000_NS6detail17trampoline_kernelINS0_14default_configENS1_21merge_config_selectorIiNS0_10empty_typeEEEZNS1_10merge_implIS3_N6thrust23THRUST_200600_302600_NS6detail15normal_iteratorINS9_10device_ptrIKiEEEESF_NS9_16discard_iteratorINS9_11use_defaultEEEPS5_SJ_SJ_NS9_4lessIiEEEE10hipError_tPvRmT0_T1_T2_T3_T4_T5_mmT6_P12ihipStream_tbEUlT_E0_NS1_11comp_targetILNS1_3genE4ELNS1_11target_archE910ELNS1_3gpuE8ELNS1_3repE0EEENS1_30default_config_static_selectorELNS0_4arch9wavefront6targetE1EEEvSQ_: ; @_ZN7rocprim17ROCPRIM_400000_NS6detail17trampoline_kernelINS0_14default_configENS1_21merge_config_selectorIiNS0_10empty_typeEEEZNS1_10merge_implIS3_N6thrust23THRUST_200600_302600_NS6detail15normal_iteratorINS9_10device_ptrIKiEEEESF_NS9_16discard_iteratorINS9_11use_defaultEEEPS5_SJ_SJ_NS9_4lessIiEEEE10hipError_tPvRmT0_T1_T2_T3_T4_T5_mmT6_P12ihipStream_tbEUlT_E0_NS1_11comp_targetILNS1_3genE4ELNS1_11target_archE910ELNS1_3gpuE8ELNS1_3repE0EEENS1_30default_config_static_selectorELNS0_4arch9wavefront6targetE1EEEvSQ_
; %bb.0:
	s_load_dwordx4 s[0:3], s[4:5], 0x48
	s_load_dwordx4 s[8:11], s[4:5], 0x8
	s_load_dwordx2 s[12:13], s[4:5], 0x18
	s_mul_i32 s20, s6, 0xa00
	s_mov_b32 s17, 0
	s_waitcnt lgkmcnt(0)
	s_add_i32 s21, s2, s0
	s_add_i32 s0, s21, 0x9ff
	s_mul_hi_u32 s0, s0, 0xcccccccd
	s_lshr_b32 s0, s0, 11
	s_min_u32 s1, s6, s0
	s_lshl_b32 s1, s1, 2
	s_load_dword s16, s[8:9], s1 offset:0x0
	s_add_i32 s6, s6, 1
	s_min_u32 s0, s6, s0
	s_lshl_b32 s0, s0, 2
	s_load_dword s6, s[8:9], s0 offset:0x0
	s_add_i32 s0, s20, 0xa00
	s_min_u32 s7, s21, s0
	s_waitcnt lgkmcnt(0)
	s_sub_i32 s2, s20, s16
	s_lshl_b64 s[0:1], s[16:17], 2
	s_add_u32 s0, s10, s0
	s_mov_b32 s3, s17
	s_addc_u32 s1, s11, s1
	s_lshl_b64 s[4:5], s[2:3], 2
	s_add_u32 s9, s12, s4
	s_addc_u32 s10, s13, s5
	s_add_i32 s2, s2, s6
	s_sub_i32 s16, s6, s16
	s_sub_i32 s8, s7, s2
	s_add_u32 s2, s8, s16
	s_addc_u32 s3, 0, 0
	v_mov_b32_e32 v1, 0
	v_cmp_le_u32_e32 vcc, s16, v0
	s_and_saveexec_b64 s[4:5], vcc
	s_xor_b64 s[4:5], exec, s[4:5]
	s_cbranch_execz .LBB436_4
; %bb.1:
	v_cmp_gt_u64_e32 vcc, s[2:3], v[0:1]
	s_and_saveexec_b64 s[6:7], vcc
	s_cbranch_execz .LBB436_3
; %bb.2:
	v_mov_b32_e32 v1, s17
	v_subrev_co_u32_e32 v2, vcc, s16, v0
	v_subb_co_u32_e32 v3, vcc, 0, v1, vcc
	v_lshlrev_b64 v[2:3], 2, v[2:3]
	v_mov_b32_e32 v1, s10
	v_add_co_u32_e32 v2, vcc, s9, v2
	v_addc_co_u32_e32 v3, vcc, v1, v3, vcc
	global_load_dword v1, v[2:3], off
	v_lshlrev_b32_e32 v2, 2, v0
	s_waitcnt vmcnt(0)
	ds_write_b32 v2, v1
.LBB436_3:
	s_or_b64 exec, exec, s[6:7]
.LBB436_4:
	s_or_saveexec_b64 s[4:5], s[4:5]
	v_lshlrev_b32_e32 v1, 2, v0
	s_xor_b64 exec, exec, s[4:5]
	s_cbranch_execz .LBB436_6
; %bb.5:
	global_load_dword v2, v1, s[0:1]
	s_waitcnt vmcnt(0)
	ds_write_b32 v1, v2
.LBB436_6:
	s_or_b64 exec, exec, s[4:5]
	v_or_b32_e32 v2, 0x100, v0
	v_cmp_le_u32_e32 vcc, s16, v2
	s_and_saveexec_b64 s[4:5], vcc
	s_xor_b64 s[4:5], exec, s[4:5]
	s_cbranch_execz .LBB436_10
; %bb.7:
	v_mov_b32_e32 v3, 0
	v_cmp_gt_u64_e32 vcc, s[2:3], v[2:3]
	s_and_saveexec_b64 s[6:7], vcc
	s_cbranch_execz .LBB436_9
; %bb.8:
	v_mov_b32_e32 v3, s17
	v_subrev_co_u32_e32 v2, vcc, s16, v0
	v_subb_co_u32_e32 v3, vcc, 0, v3, vcc
	v_lshlrev_b64 v[2:3], 2, v[2:3]
	v_mov_b32_e32 v4, s10
	v_add_co_u32_e32 v2, vcc, s9, v2
	v_addc_co_u32_e32 v3, vcc, v4, v3, vcc
	global_load_dword v2, v[2:3], off offset:1024
	s_waitcnt vmcnt(0)
	ds_write_b32 v1, v2 offset:1024
.LBB436_9:
	s_or_b64 exec, exec, s[6:7]
.LBB436_10:
	s_andn2_saveexec_b64 s[4:5], s[4:5]
	s_cbranch_execz .LBB436_12
; %bb.11:
	global_load_dword v2, v1, s[0:1] offset:1024
	s_waitcnt vmcnt(0)
	ds_write_b32 v1, v2 offset:1024
.LBB436_12:
	s_or_b64 exec, exec, s[4:5]
	v_or_b32_e32 v2, 0x200, v0
	v_cmp_le_u32_e32 vcc, s16, v2
	s_and_saveexec_b64 s[4:5], vcc
	s_xor_b64 s[4:5], exec, s[4:5]
	s_cbranch_execz .LBB436_16
; %bb.13:
	v_mov_b32_e32 v3, 0
	v_cmp_gt_u64_e32 vcc, s[2:3], v[2:3]
	s_and_saveexec_b64 s[6:7], vcc
	s_cbranch_execz .LBB436_15
; %bb.14:
	v_mov_b32_e32 v3, s17
	v_subrev_co_u32_e32 v2, vcc, s16, v0
	v_subb_co_u32_e32 v3, vcc, 0, v3, vcc
	v_lshlrev_b64 v[2:3], 2, v[2:3]
	v_mov_b32_e32 v4, s10
	v_add_co_u32_e32 v2, vcc, s9, v2
	v_addc_co_u32_e32 v3, vcc, v4, v3, vcc
	global_load_dword v2, v[2:3], off offset:2048
	s_waitcnt vmcnt(0)
	ds_write_b32 v1, v2 offset:2048
.LBB436_15:
	s_or_b64 exec, exec, s[6:7]
.LBB436_16:
	s_andn2_saveexec_b64 s[4:5], s[4:5]
	s_cbranch_execz .LBB436_18
; %bb.17:
	global_load_dword v2, v1, s[0:1] offset:2048
	s_waitcnt vmcnt(0)
	ds_write_b32 v1, v2 offset:2048
.LBB436_18:
	;; [unrolled: 32-line block ×3, first 2 shown]
	s_or_b64 exec, exec, s[4:5]
	v_or_b32_e32 v2, 0x400, v0
	v_mov_b32_e32 v3, 0
	v_cmp_le_u32_e32 vcc, s16, v2
	s_and_saveexec_b64 s[4:5], vcc
	s_xor_b64 s[4:5], exec, s[4:5]
	s_cbranch_execz .LBB436_28
; %bb.25:
	v_cmp_gt_u64_e32 vcc, s[2:3], v[2:3]
	s_and_saveexec_b64 s[6:7], vcc
	s_cbranch_execz .LBB436_27
; %bb.26:
	v_mov_b32_e32 v3, s17
	v_subrev_co_u32_e32 v2, vcc, s16, v2
	v_subb_co_u32_e32 v3, vcc, 0, v3, vcc
	v_lshlrev_b64 v[2:3], 2, v[2:3]
	v_mov_b32_e32 v4, s10
	v_add_co_u32_e32 v2, vcc, s9, v2
	v_addc_co_u32_e32 v3, vcc, v4, v3, vcc
	global_load_dword v2, v[2:3], off
	s_waitcnt vmcnt(0)
	ds_write_b32 v1, v2 offset:4096
.LBB436_27:
	s_or_b64 exec, exec, s[6:7]
                                        ; implicit-def: $vgpr2_vgpr3
.LBB436_28:
	s_andn2_saveexec_b64 s[4:5], s[4:5]
	s_cbranch_execz .LBB436_30
; %bb.29:
	v_lshlrev_b32_e32 v2, 2, v2
	global_load_dword v2, v2, s[0:1]
	s_waitcnt vmcnt(0)
	ds_write_b32 v1, v2 offset:4096
.LBB436_30:
	s_or_b64 exec, exec, s[4:5]
	v_or_b32_e32 v2, 0x500, v0
	v_mov_b32_e32 v3, 0
	v_cmp_le_u32_e32 vcc, s16, v2
	s_and_saveexec_b64 s[4:5], vcc
	s_xor_b64 s[4:5], exec, s[4:5]
	s_cbranch_execz .LBB436_34
; %bb.31:
	v_cmp_gt_u64_e32 vcc, s[2:3], v[2:3]
	s_and_saveexec_b64 s[6:7], vcc
	s_cbranch_execz .LBB436_33
; %bb.32:
	v_mov_b32_e32 v3, s17
	v_subrev_co_u32_e32 v2, vcc, s16, v2
	v_subb_co_u32_e32 v3, vcc, 0, v3, vcc
	v_lshlrev_b64 v[2:3], 2, v[2:3]
	v_mov_b32_e32 v4, s10
	v_add_co_u32_e32 v2, vcc, s9, v2
	v_addc_co_u32_e32 v3, vcc, v4, v3, vcc
	global_load_dword v2, v[2:3], off
	s_waitcnt vmcnt(0)
	ds_write_b32 v1, v2 offset:5120
.LBB436_33:
	s_or_b64 exec, exec, s[6:7]
                                        ; implicit-def: $vgpr2_vgpr3
.LBB436_34:
	s_andn2_saveexec_b64 s[4:5], s[4:5]
	s_cbranch_execz .LBB436_36
; %bb.35:
	v_lshlrev_b32_e32 v2, 2, v2
	global_load_dword v2, v2, s[0:1]
	s_waitcnt vmcnt(0)
	ds_write_b32 v1, v2 offset:5120
.LBB436_36:
	;; [unrolled: 34-line block ×5, first 2 shown]
	s_or_b64 exec, exec, s[4:5]
	v_or_b32_e32 v2, 0x900, v0
	v_mov_b32_e32 v3, 0
	v_cmp_le_u32_e32 vcc, s16, v2
	s_and_saveexec_b64 s[4:5], vcc
	s_xor_b64 s[4:5], exec, s[4:5]
	s_cbranch_execz .LBB436_58
; %bb.55:
	v_cmp_gt_u64_e32 vcc, s[2:3], v[2:3]
	s_and_saveexec_b64 s[2:3], vcc
	s_cbranch_execz .LBB436_57
; %bb.56:
	v_mov_b32_e32 v3, s17
	v_subrev_co_u32_e32 v2, vcc, s16, v2
	v_subb_co_u32_e32 v3, vcc, 0, v3, vcc
	v_lshlrev_b64 v[2:3], 2, v[2:3]
	v_mov_b32_e32 v4, s10
	v_add_co_u32_e32 v2, vcc, s9, v2
	v_addc_co_u32_e32 v3, vcc, v4, v3, vcc
	global_load_dword v2, v[2:3], off
	s_waitcnt vmcnt(0)
	ds_write_b32 v1, v2 offset:9216
.LBB436_57:
	s_or_b64 exec, exec, s[2:3]
                                        ; implicit-def: $vgpr2_vgpr3
                                        ; implicit-def: $vgpr1
.LBB436_58:
	s_andn2_saveexec_b64 s[2:3], s[4:5]
	s_cbranch_execz .LBB436_60
; %bb.59:
	v_lshlrev_b32_e32 v2, 2, v2
	global_load_dword v2, v2, s[0:1]
	s_waitcnt vmcnt(0)
	ds_write_b32 v1, v2 offset:9216
.LBB436_60:
	s_or_b64 exec, exec, s[2:3]
	v_mul_u32_u24_e32 v0, 10, v0
	v_sub_u32_e64 v8, v0, s8 clamp
	v_min_u32_e32 v1, s16, v0
	v_cmp_lt_u32_e32 vcc, v8, v1
	v_lshlrev_b32_e32 v14, 2, v0
	s_waitcnt lgkmcnt(0)
	s_barrier
	s_and_saveexec_b64 s[0:1], vcc
	s_cbranch_execz .LBB436_64
; %bb.61:
	v_lshl_add_u32 v2, s16, 2, v14
	s_mov_b64 s[2:3], 0
.LBB436_62:                             ; =>This Inner Loop Header: Depth=1
	v_add_u32_e32 v3, v1, v8
	v_lshrrev_b32_e32 v3, 1, v3
	v_not_b32_e32 v4, v3
	v_lshlrev_b32_e32 v5, 2, v3
	v_lshl_add_u32 v4, v4, 2, v2
	ds_read_b32 v5, v5
	ds_read_b32 v4, v4
	v_add_u32_e32 v6, 1, v3
	s_waitcnt lgkmcnt(0)
	v_cmp_lt_i32_e32 vcc, v4, v5
	v_cndmask_b32_e32 v1, v1, v3, vcc
	v_cndmask_b32_e32 v8, v6, v8, vcc
	v_cmp_ge_u32_e32 vcc, v8, v1
	s_or_b64 s[2:3], vcc, s[2:3]
	s_andn2_b64 exec, exec, s[2:3]
	s_cbranch_execnz .LBB436_62
; %bb.63:
	s_or_b64 exec, exec, s[2:3]
.LBB436_64:
	s_or_b64 exec, exec, s[0:1]
	v_add_u32_e32 v0, s16, v0
	s_add_i32 s17, s8, s16
	v_sub_u32_e32 v10, v0, v8
	v_cmp_ge_u32_e32 vcc, s16, v8
	v_cmp_ge_u32_e64 s[0:1], s17, v10
	s_or_b64 s[0:1], vcc, s[0:1]
                                        ; implicit-def: $vgpr11
                                        ; implicit-def: $vgpr13
                                        ; implicit-def: $vgpr9
	s_and_saveexec_b64 s[18:19], s[0:1]
                                        ; implicit-def: $vgpr4_vgpr5_vgpr6_vgpr7
                                        ; implicit-def: $vgpr0_vgpr1_vgpr2_vgpr3
	s_cbranch_execz .LBB436_70
; %bb.65:
	v_cmp_gt_u32_e32 vcc, s16, v8
                                        ; implicit-def: $vgpr0
	s_and_saveexec_b64 s[0:1], vcc
	s_cbranch_execz .LBB436_67
; %bb.66:
	v_lshlrev_b32_e32 v0, 2, v8
	ds_read_b32 v0, v0
.LBB436_67:
	s_or_b64 exec, exec, s[0:1]
	v_cmp_le_u32_e64 s[0:1], s17, v10
	v_cmp_gt_u32_e64 s[2:3], s17, v10
                                        ; implicit-def: $vgpr1
	s_and_saveexec_b64 s[4:5], s[2:3]
	s_cbranch_execz .LBB436_69
; %bb.68:
	v_lshlrev_b32_e32 v1, 2, v10
	ds_read_b32 v1, v1
.LBB436_69:
	s_or_b64 exec, exec, s[4:5]
	s_waitcnt lgkmcnt(0)
	v_cmp_ge_i32_e64 s[2:3], v1, v0
	s_and_b64 s[2:3], vcc, s[2:3]
	s_or_b64 vcc, s[0:1], s[2:3]
	v_mov_b32_e32 v3, s17
	v_mov_b32_e32 v5, s16
	v_cndmask_b32_e32 v2, v10, v8, vcc
	v_cndmask_b32_e32 v4, v3, v5, vcc
	v_add_u32_e32 v2, 1, v2
	v_add_u32_e32 v4, -1, v4
	v_min_u32_e32 v4, v2, v4
	v_lshlrev_b32_e32 v4, 2, v4
	ds_read_b32 v4, v4
	v_cndmask_b32_e32 v7, v2, v10, vcc
	v_cndmask_b32_e32 v2, v8, v2, vcc
	v_cmp_gt_u32_e64 s[2:3], s16, v2
	v_cmp_le_u32_e64 s[0:1], s17, v7
	s_waitcnt lgkmcnt(0)
	v_cndmask_b32_e32 v6, v4, v1, vcc
	v_cndmask_b32_e32 v4, v0, v4, vcc
	v_cmp_ge_i32_e64 s[4:5], v6, v4
	s_and_b64 s[2:3], s[2:3], s[4:5]
	s_or_b64 s[0:1], s[0:1], s[2:3]
	v_cndmask_b32_e64 v8, v7, v2, s[0:1]
	v_cndmask_b32_e64 v9, v3, v5, s[0:1]
	v_add_u32_e32 v8, 1, v8
	v_add_u32_e32 v9, -1, v9
	v_min_u32_e32 v9, v8, v9
	v_lshlrev_b32_e32 v9, 2, v9
	ds_read_b32 v9, v9
	v_cndmask_b32_e64 v2, v2, v8, s[0:1]
	v_cndmask_b32_e64 v7, v8, v7, s[0:1]
	v_cmp_gt_u32_e64 s[4:5], s16, v2
	v_cmp_le_u32_e64 s[2:3], s17, v7
	s_waitcnt lgkmcnt(0)
	v_cndmask_b32_e64 v10, v9, v6, s[0:1]
	v_cndmask_b32_e64 v9, v4, v9, s[0:1]
	v_cmp_ge_i32_e64 s[6:7], v10, v9
	s_and_b64 s[4:5], s[4:5], s[6:7]
	s_or_b64 s[2:3], s[2:3], s[4:5]
	v_cndmask_b32_e64 v8, v7, v2, s[2:3]
	v_cndmask_b32_e64 v11, v3, v5, s[2:3]
	v_add_u32_e32 v8, 1, v8
	v_add_u32_e32 v11, -1, v11
	v_min_u32_e32 v11, v8, v11
	v_lshlrev_b32_e32 v11, 2, v11
	ds_read_b32 v11, v11
	v_cndmask_b32_e64 v2, v2, v8, s[2:3]
	v_cndmask_b32_e64 v7, v8, v7, s[2:3]
	v_cmp_gt_u32_e64 s[6:7], s16, v2
	v_cmp_le_u32_e64 s[4:5], s17, v7
	s_waitcnt lgkmcnt(0)
	v_cndmask_b32_e64 v12, v11, v10, s[2:3]
	v_cndmask_b32_e64 v11, v9, v11, s[2:3]
	;; [unrolled: 17-line block ×5, first 2 shown]
	v_cmp_ge_i32_e64 s[14:15], v19, v18
	s_and_b64 s[12:13], s[12:13], s[14:15]
	s_or_b64 s[10:11], s[10:11], s[12:13]
	v_cndmask_b32_e64 v8, v7, v2, s[10:11]
	v_cndmask_b32_e64 v20, v3, v5, s[10:11]
	v_add_u32_e32 v8, 1, v8
	v_add_u32_e32 v20, -1, v20
	v_min_u32_e32 v20, v8, v20
	v_lshlrev_b32_e32 v20, 2, v20
	ds_read_b32 v20, v20
	v_cndmask_b32_e64 v2, v2, v8, s[10:11]
	v_cndmask_b32_e64 v7, v8, v7, s[10:11]
	v_cmp_gt_u32_e64 s[12:13], s16, v2
	v_cndmask_b32_e32 v0, v1, v0, vcc
	s_waitcnt lgkmcnt(0)
	v_cndmask_b32_e64 v21, v20, v19, s[10:11]
	v_cndmask_b32_e64 v20, v18, v20, s[10:11]
	v_cmp_ge_i32_e64 s[14:15], v21, v20
	v_cmp_le_u32_e32 vcc, s17, v7
	s_and_b64 s[12:13], s[12:13], s[14:15]
	s_or_b64 vcc, vcc, s[12:13]
	v_cndmask_b32_e32 v1, v7, v2, vcc
	v_cndmask_b32_e32 v8, v3, v5, vcc
	v_add_u32_e32 v22, 1, v1
	v_add_u32_e32 v1, -1, v8
	v_min_u32_e32 v1, v22, v1
	v_lshlrev_b32_e32 v1, 2, v1
	ds_read_b32 v23, v1
	v_cndmask_b32_e64 v1, v6, v4, s[0:1]
	v_cndmask_b32_e64 v8, v10, v9, s[2:3]
	;; [unrolled: 1-line block ×3, first 2 shown]
	v_cndmask_b32_e32 v2, v2, v22, vcc
	s_waitcnt lgkmcnt(0)
	v_cndmask_b32_e32 v6, v23, v21, vcc
	v_cndmask_b32_e32 v11, v20, v23, vcc
	;; [unrolled: 1-line block ×3, first 2 shown]
	v_cmp_gt_u32_e64 s[2:3], s16, v2
	v_cmp_ge_i32_e64 s[4:5], v6, v11
	v_cmp_le_u32_e64 s[0:1], s17, v7
	s_and_b64 s[2:3], s[2:3], s[4:5]
	s_or_b64 s[0:1], s[0:1], s[2:3]
	v_cndmask_b32_e64 v10, v7, v2, s[0:1]
	v_cndmask_b32_e64 v3, v3, v5, s[0:1]
	v_cndmask_b32_e64 v4, v15, v13, s[6:7]
	v_add_u32_e32 v15, 1, v10
	v_add_u32_e32 v3, -1, v3
	v_min_u32_e32 v3, v15, v3
	v_lshlrev_b32_e32 v3, 2, v3
	ds_read_b32 v3, v3
	v_cndmask_b32_e64 v10, v6, v11, s[0:1]
	v_cndmask_b32_e64 v2, v2, v15, s[0:1]
	;; [unrolled: 1-line block ×3, first 2 shown]
	v_cndmask_b32_e32 v13, v21, v20, vcc
	s_waitcnt lgkmcnt(0)
	v_cndmask_b32_e64 v6, v3, v6, s[0:1]
	v_cndmask_b32_e64 v3, v11, v3, s[0:1]
	v_cmp_gt_u32_e64 s[0:1], s16, v2
	v_cmp_ge_i32_e64 s[2:3], v6, v3
	v_cmp_le_u32_e32 vcc, s17, v7
	s_and_b64 s[0:1], s[0:1], s[2:3]
	s_or_b64 vcc, vcc, s[0:1]
	v_cndmask_b32_e64 v5, v17, v16, s[8:9]
	v_cndmask_b32_e64 v12, v19, v18, s[10:11]
	v_cndmask_b32_e32 v11, v6, v3, vcc
.LBB436_70:
	s_or_b64 exec, exec, s[18:19]
	s_sub_i32 s0, s21, s20
	s_cmpk_gt_u32 s0, 0x9ff
	s_mov_b64 s[0:1], -1
	s_barrier
	ds_write2_b64 v14, v[0:1], v[8:9] offset1:1
	ds_write2_b64 v14, v[4:5], v[12:13] offset0:2 offset1:3
	ds_write_b64 v14, v[10:11] offset:32
	s_waitcnt lgkmcnt(0)
	s_cbranch_scc1 .LBB436_73
; %bb.71:
	s_andn2_b64 vcc, exec, s[0:1]
	s_cbranch_vccz .LBB436_74
.LBB436_72:
	s_endpgm
.LBB436_73:
	s_barrier
	s_cbranch_execnz .LBB436_72
.LBB436_74:
	s_barrier
	s_endpgm
	.section	.rodata,"a",@progbits
	.p2align	6, 0x0
	.amdhsa_kernel _ZN7rocprim17ROCPRIM_400000_NS6detail17trampoline_kernelINS0_14default_configENS1_21merge_config_selectorIiNS0_10empty_typeEEEZNS1_10merge_implIS3_N6thrust23THRUST_200600_302600_NS6detail15normal_iteratorINS9_10device_ptrIKiEEEESF_NS9_16discard_iteratorINS9_11use_defaultEEEPS5_SJ_SJ_NS9_4lessIiEEEE10hipError_tPvRmT0_T1_T2_T3_T4_T5_mmT6_P12ihipStream_tbEUlT_E0_NS1_11comp_targetILNS1_3genE4ELNS1_11target_archE910ELNS1_3gpuE8ELNS1_3repE0EEENS1_30default_config_static_selectorELNS0_4arch9wavefront6targetE1EEEvSQ_
		.amdhsa_group_segment_fixed_size 10256
		.amdhsa_private_segment_fixed_size 0
		.amdhsa_kernarg_size 96
		.amdhsa_user_sgpr_count 6
		.amdhsa_user_sgpr_private_segment_buffer 1
		.amdhsa_user_sgpr_dispatch_ptr 0
		.amdhsa_user_sgpr_queue_ptr 0
		.amdhsa_user_sgpr_kernarg_segment_ptr 1
		.amdhsa_user_sgpr_dispatch_id 0
		.amdhsa_user_sgpr_flat_scratch_init 0
		.amdhsa_user_sgpr_kernarg_preload_length 0
		.amdhsa_user_sgpr_kernarg_preload_offset 0
		.amdhsa_user_sgpr_private_segment_size 0
		.amdhsa_uses_dynamic_stack 0
		.amdhsa_system_sgpr_private_segment_wavefront_offset 0
		.amdhsa_system_sgpr_workgroup_id_x 1
		.amdhsa_system_sgpr_workgroup_id_y 0
		.amdhsa_system_sgpr_workgroup_id_z 0
		.amdhsa_system_sgpr_workgroup_info 0
		.amdhsa_system_vgpr_workitem_id 0
		.amdhsa_next_free_vgpr 24
		.amdhsa_next_free_sgpr 22
		.amdhsa_accum_offset 24
		.amdhsa_reserve_vcc 1
		.amdhsa_reserve_flat_scratch 0
		.amdhsa_float_round_mode_32 0
		.amdhsa_float_round_mode_16_64 0
		.amdhsa_float_denorm_mode_32 3
		.amdhsa_float_denorm_mode_16_64 3
		.amdhsa_dx10_clamp 1
		.amdhsa_ieee_mode 1
		.amdhsa_fp16_overflow 0
		.amdhsa_tg_split 0
		.amdhsa_exception_fp_ieee_invalid_op 0
		.amdhsa_exception_fp_denorm_src 0
		.amdhsa_exception_fp_ieee_div_zero 0
		.amdhsa_exception_fp_ieee_overflow 0
		.amdhsa_exception_fp_ieee_underflow 0
		.amdhsa_exception_fp_ieee_inexact 0
		.amdhsa_exception_int_div_zero 0
	.end_amdhsa_kernel
	.section	.text._ZN7rocprim17ROCPRIM_400000_NS6detail17trampoline_kernelINS0_14default_configENS1_21merge_config_selectorIiNS0_10empty_typeEEEZNS1_10merge_implIS3_N6thrust23THRUST_200600_302600_NS6detail15normal_iteratorINS9_10device_ptrIKiEEEESF_NS9_16discard_iteratorINS9_11use_defaultEEEPS5_SJ_SJ_NS9_4lessIiEEEE10hipError_tPvRmT0_T1_T2_T3_T4_T5_mmT6_P12ihipStream_tbEUlT_E0_NS1_11comp_targetILNS1_3genE4ELNS1_11target_archE910ELNS1_3gpuE8ELNS1_3repE0EEENS1_30default_config_static_selectorELNS0_4arch9wavefront6targetE1EEEvSQ_,"axG",@progbits,_ZN7rocprim17ROCPRIM_400000_NS6detail17trampoline_kernelINS0_14default_configENS1_21merge_config_selectorIiNS0_10empty_typeEEEZNS1_10merge_implIS3_N6thrust23THRUST_200600_302600_NS6detail15normal_iteratorINS9_10device_ptrIKiEEEESF_NS9_16discard_iteratorINS9_11use_defaultEEEPS5_SJ_SJ_NS9_4lessIiEEEE10hipError_tPvRmT0_T1_T2_T3_T4_T5_mmT6_P12ihipStream_tbEUlT_E0_NS1_11comp_targetILNS1_3genE4ELNS1_11target_archE910ELNS1_3gpuE8ELNS1_3repE0EEENS1_30default_config_static_selectorELNS0_4arch9wavefront6targetE1EEEvSQ_,comdat
.Lfunc_end436:
	.size	_ZN7rocprim17ROCPRIM_400000_NS6detail17trampoline_kernelINS0_14default_configENS1_21merge_config_selectorIiNS0_10empty_typeEEEZNS1_10merge_implIS3_N6thrust23THRUST_200600_302600_NS6detail15normal_iteratorINS9_10device_ptrIKiEEEESF_NS9_16discard_iteratorINS9_11use_defaultEEEPS5_SJ_SJ_NS9_4lessIiEEEE10hipError_tPvRmT0_T1_T2_T3_T4_T5_mmT6_P12ihipStream_tbEUlT_E0_NS1_11comp_targetILNS1_3genE4ELNS1_11target_archE910ELNS1_3gpuE8ELNS1_3repE0EEENS1_30default_config_static_selectorELNS0_4arch9wavefront6targetE1EEEvSQ_, .Lfunc_end436-_ZN7rocprim17ROCPRIM_400000_NS6detail17trampoline_kernelINS0_14default_configENS1_21merge_config_selectorIiNS0_10empty_typeEEEZNS1_10merge_implIS3_N6thrust23THRUST_200600_302600_NS6detail15normal_iteratorINS9_10device_ptrIKiEEEESF_NS9_16discard_iteratorINS9_11use_defaultEEEPS5_SJ_SJ_NS9_4lessIiEEEE10hipError_tPvRmT0_T1_T2_T3_T4_T5_mmT6_P12ihipStream_tbEUlT_E0_NS1_11comp_targetILNS1_3genE4ELNS1_11target_archE910ELNS1_3gpuE8ELNS1_3repE0EEENS1_30default_config_static_selectorELNS0_4arch9wavefront6targetE1EEEvSQ_
                                        ; -- End function
	.section	.AMDGPU.csdata,"",@progbits
; Kernel info:
; codeLenInByte = 2808
; NumSgprs: 26
; NumVgprs: 24
; NumAgprs: 0
; TotalNumVgprs: 24
; ScratchSize: 0
; MemoryBound: 0
; FloatMode: 240
; IeeeMode: 1
; LDSByteSize: 10256 bytes/workgroup (compile time only)
; SGPRBlocks: 3
; VGPRBlocks: 2
; NumSGPRsForWavesPerEU: 26
; NumVGPRsForWavesPerEU: 24
; AccumOffset: 24
; Occupancy: 6
; WaveLimiterHint : 1
; COMPUTE_PGM_RSRC2:SCRATCH_EN: 0
; COMPUTE_PGM_RSRC2:USER_SGPR: 6
; COMPUTE_PGM_RSRC2:TRAP_HANDLER: 0
; COMPUTE_PGM_RSRC2:TGID_X_EN: 1
; COMPUTE_PGM_RSRC2:TGID_Y_EN: 0
; COMPUTE_PGM_RSRC2:TGID_Z_EN: 0
; COMPUTE_PGM_RSRC2:TIDIG_COMP_CNT: 0
; COMPUTE_PGM_RSRC3_GFX90A:ACCUM_OFFSET: 5
; COMPUTE_PGM_RSRC3_GFX90A:TG_SPLIT: 0
	.section	.text._ZN7rocprim17ROCPRIM_400000_NS6detail17trampoline_kernelINS0_14default_configENS1_21merge_config_selectorIiNS0_10empty_typeEEEZNS1_10merge_implIS3_N6thrust23THRUST_200600_302600_NS6detail15normal_iteratorINS9_10device_ptrIKiEEEESF_NS9_16discard_iteratorINS9_11use_defaultEEEPS5_SJ_SJ_NS9_4lessIiEEEE10hipError_tPvRmT0_T1_T2_T3_T4_T5_mmT6_P12ihipStream_tbEUlT_E0_NS1_11comp_targetILNS1_3genE3ELNS1_11target_archE908ELNS1_3gpuE7ELNS1_3repE0EEENS1_30default_config_static_selectorELNS0_4arch9wavefront6targetE1EEEvSQ_,"axG",@progbits,_ZN7rocprim17ROCPRIM_400000_NS6detail17trampoline_kernelINS0_14default_configENS1_21merge_config_selectorIiNS0_10empty_typeEEEZNS1_10merge_implIS3_N6thrust23THRUST_200600_302600_NS6detail15normal_iteratorINS9_10device_ptrIKiEEEESF_NS9_16discard_iteratorINS9_11use_defaultEEEPS5_SJ_SJ_NS9_4lessIiEEEE10hipError_tPvRmT0_T1_T2_T3_T4_T5_mmT6_P12ihipStream_tbEUlT_E0_NS1_11comp_targetILNS1_3genE3ELNS1_11target_archE908ELNS1_3gpuE7ELNS1_3repE0EEENS1_30default_config_static_selectorELNS0_4arch9wavefront6targetE1EEEvSQ_,comdat
	.protected	_ZN7rocprim17ROCPRIM_400000_NS6detail17trampoline_kernelINS0_14default_configENS1_21merge_config_selectorIiNS0_10empty_typeEEEZNS1_10merge_implIS3_N6thrust23THRUST_200600_302600_NS6detail15normal_iteratorINS9_10device_ptrIKiEEEESF_NS9_16discard_iteratorINS9_11use_defaultEEEPS5_SJ_SJ_NS9_4lessIiEEEE10hipError_tPvRmT0_T1_T2_T3_T4_T5_mmT6_P12ihipStream_tbEUlT_E0_NS1_11comp_targetILNS1_3genE3ELNS1_11target_archE908ELNS1_3gpuE7ELNS1_3repE0EEENS1_30default_config_static_selectorELNS0_4arch9wavefront6targetE1EEEvSQ_ ; -- Begin function _ZN7rocprim17ROCPRIM_400000_NS6detail17trampoline_kernelINS0_14default_configENS1_21merge_config_selectorIiNS0_10empty_typeEEEZNS1_10merge_implIS3_N6thrust23THRUST_200600_302600_NS6detail15normal_iteratorINS9_10device_ptrIKiEEEESF_NS9_16discard_iteratorINS9_11use_defaultEEEPS5_SJ_SJ_NS9_4lessIiEEEE10hipError_tPvRmT0_T1_T2_T3_T4_T5_mmT6_P12ihipStream_tbEUlT_E0_NS1_11comp_targetILNS1_3genE3ELNS1_11target_archE908ELNS1_3gpuE7ELNS1_3repE0EEENS1_30default_config_static_selectorELNS0_4arch9wavefront6targetE1EEEvSQ_
	.globl	_ZN7rocprim17ROCPRIM_400000_NS6detail17trampoline_kernelINS0_14default_configENS1_21merge_config_selectorIiNS0_10empty_typeEEEZNS1_10merge_implIS3_N6thrust23THRUST_200600_302600_NS6detail15normal_iteratorINS9_10device_ptrIKiEEEESF_NS9_16discard_iteratorINS9_11use_defaultEEEPS5_SJ_SJ_NS9_4lessIiEEEE10hipError_tPvRmT0_T1_T2_T3_T4_T5_mmT6_P12ihipStream_tbEUlT_E0_NS1_11comp_targetILNS1_3genE3ELNS1_11target_archE908ELNS1_3gpuE7ELNS1_3repE0EEENS1_30default_config_static_selectorELNS0_4arch9wavefront6targetE1EEEvSQ_
	.p2align	8
	.type	_ZN7rocprim17ROCPRIM_400000_NS6detail17trampoline_kernelINS0_14default_configENS1_21merge_config_selectorIiNS0_10empty_typeEEEZNS1_10merge_implIS3_N6thrust23THRUST_200600_302600_NS6detail15normal_iteratorINS9_10device_ptrIKiEEEESF_NS9_16discard_iteratorINS9_11use_defaultEEEPS5_SJ_SJ_NS9_4lessIiEEEE10hipError_tPvRmT0_T1_T2_T3_T4_T5_mmT6_P12ihipStream_tbEUlT_E0_NS1_11comp_targetILNS1_3genE3ELNS1_11target_archE908ELNS1_3gpuE7ELNS1_3repE0EEENS1_30default_config_static_selectorELNS0_4arch9wavefront6targetE1EEEvSQ_,@function
_ZN7rocprim17ROCPRIM_400000_NS6detail17trampoline_kernelINS0_14default_configENS1_21merge_config_selectorIiNS0_10empty_typeEEEZNS1_10merge_implIS3_N6thrust23THRUST_200600_302600_NS6detail15normal_iteratorINS9_10device_ptrIKiEEEESF_NS9_16discard_iteratorINS9_11use_defaultEEEPS5_SJ_SJ_NS9_4lessIiEEEE10hipError_tPvRmT0_T1_T2_T3_T4_T5_mmT6_P12ihipStream_tbEUlT_E0_NS1_11comp_targetILNS1_3genE3ELNS1_11target_archE908ELNS1_3gpuE7ELNS1_3repE0EEENS1_30default_config_static_selectorELNS0_4arch9wavefront6targetE1EEEvSQ_: ; @_ZN7rocprim17ROCPRIM_400000_NS6detail17trampoline_kernelINS0_14default_configENS1_21merge_config_selectorIiNS0_10empty_typeEEEZNS1_10merge_implIS3_N6thrust23THRUST_200600_302600_NS6detail15normal_iteratorINS9_10device_ptrIKiEEEESF_NS9_16discard_iteratorINS9_11use_defaultEEEPS5_SJ_SJ_NS9_4lessIiEEEE10hipError_tPvRmT0_T1_T2_T3_T4_T5_mmT6_P12ihipStream_tbEUlT_E0_NS1_11comp_targetILNS1_3genE3ELNS1_11target_archE908ELNS1_3gpuE7ELNS1_3repE0EEENS1_30default_config_static_selectorELNS0_4arch9wavefront6targetE1EEEvSQ_
; %bb.0:
	.section	.rodata,"a",@progbits
	.p2align	6, 0x0
	.amdhsa_kernel _ZN7rocprim17ROCPRIM_400000_NS6detail17trampoline_kernelINS0_14default_configENS1_21merge_config_selectorIiNS0_10empty_typeEEEZNS1_10merge_implIS3_N6thrust23THRUST_200600_302600_NS6detail15normal_iteratorINS9_10device_ptrIKiEEEESF_NS9_16discard_iteratorINS9_11use_defaultEEEPS5_SJ_SJ_NS9_4lessIiEEEE10hipError_tPvRmT0_T1_T2_T3_T4_T5_mmT6_P12ihipStream_tbEUlT_E0_NS1_11comp_targetILNS1_3genE3ELNS1_11target_archE908ELNS1_3gpuE7ELNS1_3repE0EEENS1_30default_config_static_selectorELNS0_4arch9wavefront6targetE1EEEvSQ_
		.amdhsa_group_segment_fixed_size 0
		.amdhsa_private_segment_fixed_size 0
		.amdhsa_kernarg_size 96
		.amdhsa_user_sgpr_count 6
		.amdhsa_user_sgpr_private_segment_buffer 1
		.amdhsa_user_sgpr_dispatch_ptr 0
		.amdhsa_user_sgpr_queue_ptr 0
		.amdhsa_user_sgpr_kernarg_segment_ptr 1
		.amdhsa_user_sgpr_dispatch_id 0
		.amdhsa_user_sgpr_flat_scratch_init 0
		.amdhsa_user_sgpr_kernarg_preload_length 0
		.amdhsa_user_sgpr_kernarg_preload_offset 0
		.amdhsa_user_sgpr_private_segment_size 0
		.amdhsa_uses_dynamic_stack 0
		.amdhsa_system_sgpr_private_segment_wavefront_offset 0
		.amdhsa_system_sgpr_workgroup_id_x 1
		.amdhsa_system_sgpr_workgroup_id_y 0
		.amdhsa_system_sgpr_workgroup_id_z 0
		.amdhsa_system_sgpr_workgroup_info 0
		.amdhsa_system_vgpr_workitem_id 0
		.amdhsa_next_free_vgpr 1
		.amdhsa_next_free_sgpr 0
		.amdhsa_accum_offset 4
		.amdhsa_reserve_vcc 0
		.amdhsa_reserve_flat_scratch 0
		.amdhsa_float_round_mode_32 0
		.amdhsa_float_round_mode_16_64 0
		.amdhsa_float_denorm_mode_32 3
		.amdhsa_float_denorm_mode_16_64 3
		.amdhsa_dx10_clamp 1
		.amdhsa_ieee_mode 1
		.amdhsa_fp16_overflow 0
		.amdhsa_tg_split 0
		.amdhsa_exception_fp_ieee_invalid_op 0
		.amdhsa_exception_fp_denorm_src 0
		.amdhsa_exception_fp_ieee_div_zero 0
		.amdhsa_exception_fp_ieee_overflow 0
		.amdhsa_exception_fp_ieee_underflow 0
		.amdhsa_exception_fp_ieee_inexact 0
		.amdhsa_exception_int_div_zero 0
	.end_amdhsa_kernel
	.section	.text._ZN7rocprim17ROCPRIM_400000_NS6detail17trampoline_kernelINS0_14default_configENS1_21merge_config_selectorIiNS0_10empty_typeEEEZNS1_10merge_implIS3_N6thrust23THRUST_200600_302600_NS6detail15normal_iteratorINS9_10device_ptrIKiEEEESF_NS9_16discard_iteratorINS9_11use_defaultEEEPS5_SJ_SJ_NS9_4lessIiEEEE10hipError_tPvRmT0_T1_T2_T3_T4_T5_mmT6_P12ihipStream_tbEUlT_E0_NS1_11comp_targetILNS1_3genE3ELNS1_11target_archE908ELNS1_3gpuE7ELNS1_3repE0EEENS1_30default_config_static_selectorELNS0_4arch9wavefront6targetE1EEEvSQ_,"axG",@progbits,_ZN7rocprim17ROCPRIM_400000_NS6detail17trampoline_kernelINS0_14default_configENS1_21merge_config_selectorIiNS0_10empty_typeEEEZNS1_10merge_implIS3_N6thrust23THRUST_200600_302600_NS6detail15normal_iteratorINS9_10device_ptrIKiEEEESF_NS9_16discard_iteratorINS9_11use_defaultEEEPS5_SJ_SJ_NS9_4lessIiEEEE10hipError_tPvRmT0_T1_T2_T3_T4_T5_mmT6_P12ihipStream_tbEUlT_E0_NS1_11comp_targetILNS1_3genE3ELNS1_11target_archE908ELNS1_3gpuE7ELNS1_3repE0EEENS1_30default_config_static_selectorELNS0_4arch9wavefront6targetE1EEEvSQ_,comdat
.Lfunc_end437:
	.size	_ZN7rocprim17ROCPRIM_400000_NS6detail17trampoline_kernelINS0_14default_configENS1_21merge_config_selectorIiNS0_10empty_typeEEEZNS1_10merge_implIS3_N6thrust23THRUST_200600_302600_NS6detail15normal_iteratorINS9_10device_ptrIKiEEEESF_NS9_16discard_iteratorINS9_11use_defaultEEEPS5_SJ_SJ_NS9_4lessIiEEEE10hipError_tPvRmT0_T1_T2_T3_T4_T5_mmT6_P12ihipStream_tbEUlT_E0_NS1_11comp_targetILNS1_3genE3ELNS1_11target_archE908ELNS1_3gpuE7ELNS1_3repE0EEENS1_30default_config_static_selectorELNS0_4arch9wavefront6targetE1EEEvSQ_, .Lfunc_end437-_ZN7rocprim17ROCPRIM_400000_NS6detail17trampoline_kernelINS0_14default_configENS1_21merge_config_selectorIiNS0_10empty_typeEEEZNS1_10merge_implIS3_N6thrust23THRUST_200600_302600_NS6detail15normal_iteratorINS9_10device_ptrIKiEEEESF_NS9_16discard_iteratorINS9_11use_defaultEEEPS5_SJ_SJ_NS9_4lessIiEEEE10hipError_tPvRmT0_T1_T2_T3_T4_T5_mmT6_P12ihipStream_tbEUlT_E0_NS1_11comp_targetILNS1_3genE3ELNS1_11target_archE908ELNS1_3gpuE7ELNS1_3repE0EEENS1_30default_config_static_selectorELNS0_4arch9wavefront6targetE1EEEvSQ_
                                        ; -- End function
	.section	.AMDGPU.csdata,"",@progbits
; Kernel info:
; codeLenInByte = 0
; NumSgprs: 4
; NumVgprs: 0
; NumAgprs: 0
; TotalNumVgprs: 0
; ScratchSize: 0
; MemoryBound: 0
; FloatMode: 240
; IeeeMode: 1
; LDSByteSize: 0 bytes/workgroup (compile time only)
; SGPRBlocks: 0
; VGPRBlocks: 0
; NumSGPRsForWavesPerEU: 4
; NumVGPRsForWavesPerEU: 1
; AccumOffset: 4
; Occupancy: 8
; WaveLimiterHint : 0
; COMPUTE_PGM_RSRC2:SCRATCH_EN: 0
; COMPUTE_PGM_RSRC2:USER_SGPR: 6
; COMPUTE_PGM_RSRC2:TRAP_HANDLER: 0
; COMPUTE_PGM_RSRC2:TGID_X_EN: 1
; COMPUTE_PGM_RSRC2:TGID_Y_EN: 0
; COMPUTE_PGM_RSRC2:TGID_Z_EN: 0
; COMPUTE_PGM_RSRC2:TIDIG_COMP_CNT: 0
; COMPUTE_PGM_RSRC3_GFX90A:ACCUM_OFFSET: 0
; COMPUTE_PGM_RSRC3_GFX90A:TG_SPLIT: 0
	.section	.text._ZN7rocprim17ROCPRIM_400000_NS6detail17trampoline_kernelINS0_14default_configENS1_21merge_config_selectorIiNS0_10empty_typeEEEZNS1_10merge_implIS3_N6thrust23THRUST_200600_302600_NS6detail15normal_iteratorINS9_10device_ptrIKiEEEESF_NS9_16discard_iteratorINS9_11use_defaultEEEPS5_SJ_SJ_NS9_4lessIiEEEE10hipError_tPvRmT0_T1_T2_T3_T4_T5_mmT6_P12ihipStream_tbEUlT_E0_NS1_11comp_targetILNS1_3genE2ELNS1_11target_archE906ELNS1_3gpuE6ELNS1_3repE0EEENS1_30default_config_static_selectorELNS0_4arch9wavefront6targetE1EEEvSQ_,"axG",@progbits,_ZN7rocprim17ROCPRIM_400000_NS6detail17trampoline_kernelINS0_14default_configENS1_21merge_config_selectorIiNS0_10empty_typeEEEZNS1_10merge_implIS3_N6thrust23THRUST_200600_302600_NS6detail15normal_iteratorINS9_10device_ptrIKiEEEESF_NS9_16discard_iteratorINS9_11use_defaultEEEPS5_SJ_SJ_NS9_4lessIiEEEE10hipError_tPvRmT0_T1_T2_T3_T4_T5_mmT6_P12ihipStream_tbEUlT_E0_NS1_11comp_targetILNS1_3genE2ELNS1_11target_archE906ELNS1_3gpuE6ELNS1_3repE0EEENS1_30default_config_static_selectorELNS0_4arch9wavefront6targetE1EEEvSQ_,comdat
	.protected	_ZN7rocprim17ROCPRIM_400000_NS6detail17trampoline_kernelINS0_14default_configENS1_21merge_config_selectorIiNS0_10empty_typeEEEZNS1_10merge_implIS3_N6thrust23THRUST_200600_302600_NS6detail15normal_iteratorINS9_10device_ptrIKiEEEESF_NS9_16discard_iteratorINS9_11use_defaultEEEPS5_SJ_SJ_NS9_4lessIiEEEE10hipError_tPvRmT0_T1_T2_T3_T4_T5_mmT6_P12ihipStream_tbEUlT_E0_NS1_11comp_targetILNS1_3genE2ELNS1_11target_archE906ELNS1_3gpuE6ELNS1_3repE0EEENS1_30default_config_static_selectorELNS0_4arch9wavefront6targetE1EEEvSQ_ ; -- Begin function _ZN7rocprim17ROCPRIM_400000_NS6detail17trampoline_kernelINS0_14default_configENS1_21merge_config_selectorIiNS0_10empty_typeEEEZNS1_10merge_implIS3_N6thrust23THRUST_200600_302600_NS6detail15normal_iteratorINS9_10device_ptrIKiEEEESF_NS9_16discard_iteratorINS9_11use_defaultEEEPS5_SJ_SJ_NS9_4lessIiEEEE10hipError_tPvRmT0_T1_T2_T3_T4_T5_mmT6_P12ihipStream_tbEUlT_E0_NS1_11comp_targetILNS1_3genE2ELNS1_11target_archE906ELNS1_3gpuE6ELNS1_3repE0EEENS1_30default_config_static_selectorELNS0_4arch9wavefront6targetE1EEEvSQ_
	.globl	_ZN7rocprim17ROCPRIM_400000_NS6detail17trampoline_kernelINS0_14default_configENS1_21merge_config_selectorIiNS0_10empty_typeEEEZNS1_10merge_implIS3_N6thrust23THRUST_200600_302600_NS6detail15normal_iteratorINS9_10device_ptrIKiEEEESF_NS9_16discard_iteratorINS9_11use_defaultEEEPS5_SJ_SJ_NS9_4lessIiEEEE10hipError_tPvRmT0_T1_T2_T3_T4_T5_mmT6_P12ihipStream_tbEUlT_E0_NS1_11comp_targetILNS1_3genE2ELNS1_11target_archE906ELNS1_3gpuE6ELNS1_3repE0EEENS1_30default_config_static_selectorELNS0_4arch9wavefront6targetE1EEEvSQ_
	.p2align	8
	.type	_ZN7rocprim17ROCPRIM_400000_NS6detail17trampoline_kernelINS0_14default_configENS1_21merge_config_selectorIiNS0_10empty_typeEEEZNS1_10merge_implIS3_N6thrust23THRUST_200600_302600_NS6detail15normal_iteratorINS9_10device_ptrIKiEEEESF_NS9_16discard_iteratorINS9_11use_defaultEEEPS5_SJ_SJ_NS9_4lessIiEEEE10hipError_tPvRmT0_T1_T2_T3_T4_T5_mmT6_P12ihipStream_tbEUlT_E0_NS1_11comp_targetILNS1_3genE2ELNS1_11target_archE906ELNS1_3gpuE6ELNS1_3repE0EEENS1_30default_config_static_selectorELNS0_4arch9wavefront6targetE1EEEvSQ_,@function
_ZN7rocprim17ROCPRIM_400000_NS6detail17trampoline_kernelINS0_14default_configENS1_21merge_config_selectorIiNS0_10empty_typeEEEZNS1_10merge_implIS3_N6thrust23THRUST_200600_302600_NS6detail15normal_iteratorINS9_10device_ptrIKiEEEESF_NS9_16discard_iteratorINS9_11use_defaultEEEPS5_SJ_SJ_NS9_4lessIiEEEE10hipError_tPvRmT0_T1_T2_T3_T4_T5_mmT6_P12ihipStream_tbEUlT_E0_NS1_11comp_targetILNS1_3genE2ELNS1_11target_archE906ELNS1_3gpuE6ELNS1_3repE0EEENS1_30default_config_static_selectorELNS0_4arch9wavefront6targetE1EEEvSQ_: ; @_ZN7rocprim17ROCPRIM_400000_NS6detail17trampoline_kernelINS0_14default_configENS1_21merge_config_selectorIiNS0_10empty_typeEEEZNS1_10merge_implIS3_N6thrust23THRUST_200600_302600_NS6detail15normal_iteratorINS9_10device_ptrIKiEEEESF_NS9_16discard_iteratorINS9_11use_defaultEEEPS5_SJ_SJ_NS9_4lessIiEEEE10hipError_tPvRmT0_T1_T2_T3_T4_T5_mmT6_P12ihipStream_tbEUlT_E0_NS1_11comp_targetILNS1_3genE2ELNS1_11target_archE906ELNS1_3gpuE6ELNS1_3repE0EEENS1_30default_config_static_selectorELNS0_4arch9wavefront6targetE1EEEvSQ_
; %bb.0:
	.section	.rodata,"a",@progbits
	.p2align	6, 0x0
	.amdhsa_kernel _ZN7rocprim17ROCPRIM_400000_NS6detail17trampoline_kernelINS0_14default_configENS1_21merge_config_selectorIiNS0_10empty_typeEEEZNS1_10merge_implIS3_N6thrust23THRUST_200600_302600_NS6detail15normal_iteratorINS9_10device_ptrIKiEEEESF_NS9_16discard_iteratorINS9_11use_defaultEEEPS5_SJ_SJ_NS9_4lessIiEEEE10hipError_tPvRmT0_T1_T2_T3_T4_T5_mmT6_P12ihipStream_tbEUlT_E0_NS1_11comp_targetILNS1_3genE2ELNS1_11target_archE906ELNS1_3gpuE6ELNS1_3repE0EEENS1_30default_config_static_selectorELNS0_4arch9wavefront6targetE1EEEvSQ_
		.amdhsa_group_segment_fixed_size 0
		.amdhsa_private_segment_fixed_size 0
		.amdhsa_kernarg_size 96
		.amdhsa_user_sgpr_count 6
		.amdhsa_user_sgpr_private_segment_buffer 1
		.amdhsa_user_sgpr_dispatch_ptr 0
		.amdhsa_user_sgpr_queue_ptr 0
		.amdhsa_user_sgpr_kernarg_segment_ptr 1
		.amdhsa_user_sgpr_dispatch_id 0
		.amdhsa_user_sgpr_flat_scratch_init 0
		.amdhsa_user_sgpr_kernarg_preload_length 0
		.amdhsa_user_sgpr_kernarg_preload_offset 0
		.amdhsa_user_sgpr_private_segment_size 0
		.amdhsa_uses_dynamic_stack 0
		.amdhsa_system_sgpr_private_segment_wavefront_offset 0
		.amdhsa_system_sgpr_workgroup_id_x 1
		.amdhsa_system_sgpr_workgroup_id_y 0
		.amdhsa_system_sgpr_workgroup_id_z 0
		.amdhsa_system_sgpr_workgroup_info 0
		.amdhsa_system_vgpr_workitem_id 0
		.amdhsa_next_free_vgpr 1
		.amdhsa_next_free_sgpr 0
		.amdhsa_accum_offset 4
		.amdhsa_reserve_vcc 0
		.amdhsa_reserve_flat_scratch 0
		.amdhsa_float_round_mode_32 0
		.amdhsa_float_round_mode_16_64 0
		.amdhsa_float_denorm_mode_32 3
		.amdhsa_float_denorm_mode_16_64 3
		.amdhsa_dx10_clamp 1
		.amdhsa_ieee_mode 1
		.amdhsa_fp16_overflow 0
		.amdhsa_tg_split 0
		.amdhsa_exception_fp_ieee_invalid_op 0
		.amdhsa_exception_fp_denorm_src 0
		.amdhsa_exception_fp_ieee_div_zero 0
		.amdhsa_exception_fp_ieee_overflow 0
		.amdhsa_exception_fp_ieee_underflow 0
		.amdhsa_exception_fp_ieee_inexact 0
		.amdhsa_exception_int_div_zero 0
	.end_amdhsa_kernel
	.section	.text._ZN7rocprim17ROCPRIM_400000_NS6detail17trampoline_kernelINS0_14default_configENS1_21merge_config_selectorIiNS0_10empty_typeEEEZNS1_10merge_implIS3_N6thrust23THRUST_200600_302600_NS6detail15normal_iteratorINS9_10device_ptrIKiEEEESF_NS9_16discard_iteratorINS9_11use_defaultEEEPS5_SJ_SJ_NS9_4lessIiEEEE10hipError_tPvRmT0_T1_T2_T3_T4_T5_mmT6_P12ihipStream_tbEUlT_E0_NS1_11comp_targetILNS1_3genE2ELNS1_11target_archE906ELNS1_3gpuE6ELNS1_3repE0EEENS1_30default_config_static_selectorELNS0_4arch9wavefront6targetE1EEEvSQ_,"axG",@progbits,_ZN7rocprim17ROCPRIM_400000_NS6detail17trampoline_kernelINS0_14default_configENS1_21merge_config_selectorIiNS0_10empty_typeEEEZNS1_10merge_implIS3_N6thrust23THRUST_200600_302600_NS6detail15normal_iteratorINS9_10device_ptrIKiEEEESF_NS9_16discard_iteratorINS9_11use_defaultEEEPS5_SJ_SJ_NS9_4lessIiEEEE10hipError_tPvRmT0_T1_T2_T3_T4_T5_mmT6_P12ihipStream_tbEUlT_E0_NS1_11comp_targetILNS1_3genE2ELNS1_11target_archE906ELNS1_3gpuE6ELNS1_3repE0EEENS1_30default_config_static_selectorELNS0_4arch9wavefront6targetE1EEEvSQ_,comdat
.Lfunc_end438:
	.size	_ZN7rocprim17ROCPRIM_400000_NS6detail17trampoline_kernelINS0_14default_configENS1_21merge_config_selectorIiNS0_10empty_typeEEEZNS1_10merge_implIS3_N6thrust23THRUST_200600_302600_NS6detail15normal_iteratorINS9_10device_ptrIKiEEEESF_NS9_16discard_iteratorINS9_11use_defaultEEEPS5_SJ_SJ_NS9_4lessIiEEEE10hipError_tPvRmT0_T1_T2_T3_T4_T5_mmT6_P12ihipStream_tbEUlT_E0_NS1_11comp_targetILNS1_3genE2ELNS1_11target_archE906ELNS1_3gpuE6ELNS1_3repE0EEENS1_30default_config_static_selectorELNS0_4arch9wavefront6targetE1EEEvSQ_, .Lfunc_end438-_ZN7rocprim17ROCPRIM_400000_NS6detail17trampoline_kernelINS0_14default_configENS1_21merge_config_selectorIiNS0_10empty_typeEEEZNS1_10merge_implIS3_N6thrust23THRUST_200600_302600_NS6detail15normal_iteratorINS9_10device_ptrIKiEEEESF_NS9_16discard_iteratorINS9_11use_defaultEEEPS5_SJ_SJ_NS9_4lessIiEEEE10hipError_tPvRmT0_T1_T2_T3_T4_T5_mmT6_P12ihipStream_tbEUlT_E0_NS1_11comp_targetILNS1_3genE2ELNS1_11target_archE906ELNS1_3gpuE6ELNS1_3repE0EEENS1_30default_config_static_selectorELNS0_4arch9wavefront6targetE1EEEvSQ_
                                        ; -- End function
	.section	.AMDGPU.csdata,"",@progbits
; Kernel info:
; codeLenInByte = 0
; NumSgprs: 4
; NumVgprs: 0
; NumAgprs: 0
; TotalNumVgprs: 0
; ScratchSize: 0
; MemoryBound: 0
; FloatMode: 240
; IeeeMode: 1
; LDSByteSize: 0 bytes/workgroup (compile time only)
; SGPRBlocks: 0
; VGPRBlocks: 0
; NumSGPRsForWavesPerEU: 4
; NumVGPRsForWavesPerEU: 1
; AccumOffset: 4
; Occupancy: 8
; WaveLimiterHint : 0
; COMPUTE_PGM_RSRC2:SCRATCH_EN: 0
; COMPUTE_PGM_RSRC2:USER_SGPR: 6
; COMPUTE_PGM_RSRC2:TRAP_HANDLER: 0
; COMPUTE_PGM_RSRC2:TGID_X_EN: 1
; COMPUTE_PGM_RSRC2:TGID_Y_EN: 0
; COMPUTE_PGM_RSRC2:TGID_Z_EN: 0
; COMPUTE_PGM_RSRC2:TIDIG_COMP_CNT: 0
; COMPUTE_PGM_RSRC3_GFX90A:ACCUM_OFFSET: 0
; COMPUTE_PGM_RSRC3_GFX90A:TG_SPLIT: 0
	.section	.text._ZN7rocprim17ROCPRIM_400000_NS6detail17trampoline_kernelINS0_14default_configENS1_21merge_config_selectorIiNS0_10empty_typeEEEZNS1_10merge_implIS3_N6thrust23THRUST_200600_302600_NS6detail15normal_iteratorINS9_10device_ptrIKiEEEESF_NS9_16discard_iteratorINS9_11use_defaultEEEPS5_SJ_SJ_NS9_4lessIiEEEE10hipError_tPvRmT0_T1_T2_T3_T4_T5_mmT6_P12ihipStream_tbEUlT_E0_NS1_11comp_targetILNS1_3genE10ELNS1_11target_archE1201ELNS1_3gpuE5ELNS1_3repE0EEENS1_30default_config_static_selectorELNS0_4arch9wavefront6targetE1EEEvSQ_,"axG",@progbits,_ZN7rocprim17ROCPRIM_400000_NS6detail17trampoline_kernelINS0_14default_configENS1_21merge_config_selectorIiNS0_10empty_typeEEEZNS1_10merge_implIS3_N6thrust23THRUST_200600_302600_NS6detail15normal_iteratorINS9_10device_ptrIKiEEEESF_NS9_16discard_iteratorINS9_11use_defaultEEEPS5_SJ_SJ_NS9_4lessIiEEEE10hipError_tPvRmT0_T1_T2_T3_T4_T5_mmT6_P12ihipStream_tbEUlT_E0_NS1_11comp_targetILNS1_3genE10ELNS1_11target_archE1201ELNS1_3gpuE5ELNS1_3repE0EEENS1_30default_config_static_selectorELNS0_4arch9wavefront6targetE1EEEvSQ_,comdat
	.protected	_ZN7rocprim17ROCPRIM_400000_NS6detail17trampoline_kernelINS0_14default_configENS1_21merge_config_selectorIiNS0_10empty_typeEEEZNS1_10merge_implIS3_N6thrust23THRUST_200600_302600_NS6detail15normal_iteratorINS9_10device_ptrIKiEEEESF_NS9_16discard_iteratorINS9_11use_defaultEEEPS5_SJ_SJ_NS9_4lessIiEEEE10hipError_tPvRmT0_T1_T2_T3_T4_T5_mmT6_P12ihipStream_tbEUlT_E0_NS1_11comp_targetILNS1_3genE10ELNS1_11target_archE1201ELNS1_3gpuE5ELNS1_3repE0EEENS1_30default_config_static_selectorELNS0_4arch9wavefront6targetE1EEEvSQ_ ; -- Begin function _ZN7rocprim17ROCPRIM_400000_NS6detail17trampoline_kernelINS0_14default_configENS1_21merge_config_selectorIiNS0_10empty_typeEEEZNS1_10merge_implIS3_N6thrust23THRUST_200600_302600_NS6detail15normal_iteratorINS9_10device_ptrIKiEEEESF_NS9_16discard_iteratorINS9_11use_defaultEEEPS5_SJ_SJ_NS9_4lessIiEEEE10hipError_tPvRmT0_T1_T2_T3_T4_T5_mmT6_P12ihipStream_tbEUlT_E0_NS1_11comp_targetILNS1_3genE10ELNS1_11target_archE1201ELNS1_3gpuE5ELNS1_3repE0EEENS1_30default_config_static_selectorELNS0_4arch9wavefront6targetE1EEEvSQ_
	.globl	_ZN7rocprim17ROCPRIM_400000_NS6detail17trampoline_kernelINS0_14default_configENS1_21merge_config_selectorIiNS0_10empty_typeEEEZNS1_10merge_implIS3_N6thrust23THRUST_200600_302600_NS6detail15normal_iteratorINS9_10device_ptrIKiEEEESF_NS9_16discard_iteratorINS9_11use_defaultEEEPS5_SJ_SJ_NS9_4lessIiEEEE10hipError_tPvRmT0_T1_T2_T3_T4_T5_mmT6_P12ihipStream_tbEUlT_E0_NS1_11comp_targetILNS1_3genE10ELNS1_11target_archE1201ELNS1_3gpuE5ELNS1_3repE0EEENS1_30default_config_static_selectorELNS0_4arch9wavefront6targetE1EEEvSQ_
	.p2align	8
	.type	_ZN7rocprim17ROCPRIM_400000_NS6detail17trampoline_kernelINS0_14default_configENS1_21merge_config_selectorIiNS0_10empty_typeEEEZNS1_10merge_implIS3_N6thrust23THRUST_200600_302600_NS6detail15normal_iteratorINS9_10device_ptrIKiEEEESF_NS9_16discard_iteratorINS9_11use_defaultEEEPS5_SJ_SJ_NS9_4lessIiEEEE10hipError_tPvRmT0_T1_T2_T3_T4_T5_mmT6_P12ihipStream_tbEUlT_E0_NS1_11comp_targetILNS1_3genE10ELNS1_11target_archE1201ELNS1_3gpuE5ELNS1_3repE0EEENS1_30default_config_static_selectorELNS0_4arch9wavefront6targetE1EEEvSQ_,@function
_ZN7rocprim17ROCPRIM_400000_NS6detail17trampoline_kernelINS0_14default_configENS1_21merge_config_selectorIiNS0_10empty_typeEEEZNS1_10merge_implIS3_N6thrust23THRUST_200600_302600_NS6detail15normal_iteratorINS9_10device_ptrIKiEEEESF_NS9_16discard_iteratorINS9_11use_defaultEEEPS5_SJ_SJ_NS9_4lessIiEEEE10hipError_tPvRmT0_T1_T2_T3_T4_T5_mmT6_P12ihipStream_tbEUlT_E0_NS1_11comp_targetILNS1_3genE10ELNS1_11target_archE1201ELNS1_3gpuE5ELNS1_3repE0EEENS1_30default_config_static_selectorELNS0_4arch9wavefront6targetE1EEEvSQ_: ; @_ZN7rocprim17ROCPRIM_400000_NS6detail17trampoline_kernelINS0_14default_configENS1_21merge_config_selectorIiNS0_10empty_typeEEEZNS1_10merge_implIS3_N6thrust23THRUST_200600_302600_NS6detail15normal_iteratorINS9_10device_ptrIKiEEEESF_NS9_16discard_iteratorINS9_11use_defaultEEEPS5_SJ_SJ_NS9_4lessIiEEEE10hipError_tPvRmT0_T1_T2_T3_T4_T5_mmT6_P12ihipStream_tbEUlT_E0_NS1_11comp_targetILNS1_3genE10ELNS1_11target_archE1201ELNS1_3gpuE5ELNS1_3repE0EEENS1_30default_config_static_selectorELNS0_4arch9wavefront6targetE1EEEvSQ_
; %bb.0:
	.section	.rodata,"a",@progbits
	.p2align	6, 0x0
	.amdhsa_kernel _ZN7rocprim17ROCPRIM_400000_NS6detail17trampoline_kernelINS0_14default_configENS1_21merge_config_selectorIiNS0_10empty_typeEEEZNS1_10merge_implIS3_N6thrust23THRUST_200600_302600_NS6detail15normal_iteratorINS9_10device_ptrIKiEEEESF_NS9_16discard_iteratorINS9_11use_defaultEEEPS5_SJ_SJ_NS9_4lessIiEEEE10hipError_tPvRmT0_T1_T2_T3_T4_T5_mmT6_P12ihipStream_tbEUlT_E0_NS1_11comp_targetILNS1_3genE10ELNS1_11target_archE1201ELNS1_3gpuE5ELNS1_3repE0EEENS1_30default_config_static_selectorELNS0_4arch9wavefront6targetE1EEEvSQ_
		.amdhsa_group_segment_fixed_size 0
		.amdhsa_private_segment_fixed_size 0
		.amdhsa_kernarg_size 96
		.amdhsa_user_sgpr_count 6
		.amdhsa_user_sgpr_private_segment_buffer 1
		.amdhsa_user_sgpr_dispatch_ptr 0
		.amdhsa_user_sgpr_queue_ptr 0
		.amdhsa_user_sgpr_kernarg_segment_ptr 1
		.amdhsa_user_sgpr_dispatch_id 0
		.amdhsa_user_sgpr_flat_scratch_init 0
		.amdhsa_user_sgpr_kernarg_preload_length 0
		.amdhsa_user_sgpr_kernarg_preload_offset 0
		.amdhsa_user_sgpr_private_segment_size 0
		.amdhsa_uses_dynamic_stack 0
		.amdhsa_system_sgpr_private_segment_wavefront_offset 0
		.amdhsa_system_sgpr_workgroup_id_x 1
		.amdhsa_system_sgpr_workgroup_id_y 0
		.amdhsa_system_sgpr_workgroup_id_z 0
		.amdhsa_system_sgpr_workgroup_info 0
		.amdhsa_system_vgpr_workitem_id 0
		.amdhsa_next_free_vgpr 1
		.amdhsa_next_free_sgpr 0
		.amdhsa_accum_offset 4
		.amdhsa_reserve_vcc 0
		.amdhsa_reserve_flat_scratch 0
		.amdhsa_float_round_mode_32 0
		.amdhsa_float_round_mode_16_64 0
		.amdhsa_float_denorm_mode_32 3
		.amdhsa_float_denorm_mode_16_64 3
		.amdhsa_dx10_clamp 1
		.amdhsa_ieee_mode 1
		.amdhsa_fp16_overflow 0
		.amdhsa_tg_split 0
		.amdhsa_exception_fp_ieee_invalid_op 0
		.amdhsa_exception_fp_denorm_src 0
		.amdhsa_exception_fp_ieee_div_zero 0
		.amdhsa_exception_fp_ieee_overflow 0
		.amdhsa_exception_fp_ieee_underflow 0
		.amdhsa_exception_fp_ieee_inexact 0
		.amdhsa_exception_int_div_zero 0
	.end_amdhsa_kernel
	.section	.text._ZN7rocprim17ROCPRIM_400000_NS6detail17trampoline_kernelINS0_14default_configENS1_21merge_config_selectorIiNS0_10empty_typeEEEZNS1_10merge_implIS3_N6thrust23THRUST_200600_302600_NS6detail15normal_iteratorINS9_10device_ptrIKiEEEESF_NS9_16discard_iteratorINS9_11use_defaultEEEPS5_SJ_SJ_NS9_4lessIiEEEE10hipError_tPvRmT0_T1_T2_T3_T4_T5_mmT6_P12ihipStream_tbEUlT_E0_NS1_11comp_targetILNS1_3genE10ELNS1_11target_archE1201ELNS1_3gpuE5ELNS1_3repE0EEENS1_30default_config_static_selectorELNS0_4arch9wavefront6targetE1EEEvSQ_,"axG",@progbits,_ZN7rocprim17ROCPRIM_400000_NS6detail17trampoline_kernelINS0_14default_configENS1_21merge_config_selectorIiNS0_10empty_typeEEEZNS1_10merge_implIS3_N6thrust23THRUST_200600_302600_NS6detail15normal_iteratorINS9_10device_ptrIKiEEEESF_NS9_16discard_iteratorINS9_11use_defaultEEEPS5_SJ_SJ_NS9_4lessIiEEEE10hipError_tPvRmT0_T1_T2_T3_T4_T5_mmT6_P12ihipStream_tbEUlT_E0_NS1_11comp_targetILNS1_3genE10ELNS1_11target_archE1201ELNS1_3gpuE5ELNS1_3repE0EEENS1_30default_config_static_selectorELNS0_4arch9wavefront6targetE1EEEvSQ_,comdat
.Lfunc_end439:
	.size	_ZN7rocprim17ROCPRIM_400000_NS6detail17trampoline_kernelINS0_14default_configENS1_21merge_config_selectorIiNS0_10empty_typeEEEZNS1_10merge_implIS3_N6thrust23THRUST_200600_302600_NS6detail15normal_iteratorINS9_10device_ptrIKiEEEESF_NS9_16discard_iteratorINS9_11use_defaultEEEPS5_SJ_SJ_NS9_4lessIiEEEE10hipError_tPvRmT0_T1_T2_T3_T4_T5_mmT6_P12ihipStream_tbEUlT_E0_NS1_11comp_targetILNS1_3genE10ELNS1_11target_archE1201ELNS1_3gpuE5ELNS1_3repE0EEENS1_30default_config_static_selectorELNS0_4arch9wavefront6targetE1EEEvSQ_, .Lfunc_end439-_ZN7rocprim17ROCPRIM_400000_NS6detail17trampoline_kernelINS0_14default_configENS1_21merge_config_selectorIiNS0_10empty_typeEEEZNS1_10merge_implIS3_N6thrust23THRUST_200600_302600_NS6detail15normal_iteratorINS9_10device_ptrIKiEEEESF_NS9_16discard_iteratorINS9_11use_defaultEEEPS5_SJ_SJ_NS9_4lessIiEEEE10hipError_tPvRmT0_T1_T2_T3_T4_T5_mmT6_P12ihipStream_tbEUlT_E0_NS1_11comp_targetILNS1_3genE10ELNS1_11target_archE1201ELNS1_3gpuE5ELNS1_3repE0EEENS1_30default_config_static_selectorELNS0_4arch9wavefront6targetE1EEEvSQ_
                                        ; -- End function
	.section	.AMDGPU.csdata,"",@progbits
; Kernel info:
; codeLenInByte = 0
; NumSgprs: 4
; NumVgprs: 0
; NumAgprs: 0
; TotalNumVgprs: 0
; ScratchSize: 0
; MemoryBound: 0
; FloatMode: 240
; IeeeMode: 1
; LDSByteSize: 0 bytes/workgroup (compile time only)
; SGPRBlocks: 0
; VGPRBlocks: 0
; NumSGPRsForWavesPerEU: 4
; NumVGPRsForWavesPerEU: 1
; AccumOffset: 4
; Occupancy: 8
; WaveLimiterHint : 0
; COMPUTE_PGM_RSRC2:SCRATCH_EN: 0
; COMPUTE_PGM_RSRC2:USER_SGPR: 6
; COMPUTE_PGM_RSRC2:TRAP_HANDLER: 0
; COMPUTE_PGM_RSRC2:TGID_X_EN: 1
; COMPUTE_PGM_RSRC2:TGID_Y_EN: 0
; COMPUTE_PGM_RSRC2:TGID_Z_EN: 0
; COMPUTE_PGM_RSRC2:TIDIG_COMP_CNT: 0
; COMPUTE_PGM_RSRC3_GFX90A:ACCUM_OFFSET: 0
; COMPUTE_PGM_RSRC3_GFX90A:TG_SPLIT: 0
	.section	.text._ZN7rocprim17ROCPRIM_400000_NS6detail17trampoline_kernelINS0_14default_configENS1_21merge_config_selectorIiNS0_10empty_typeEEEZNS1_10merge_implIS3_N6thrust23THRUST_200600_302600_NS6detail15normal_iteratorINS9_10device_ptrIKiEEEESF_NS9_16discard_iteratorINS9_11use_defaultEEEPS5_SJ_SJ_NS9_4lessIiEEEE10hipError_tPvRmT0_T1_T2_T3_T4_T5_mmT6_P12ihipStream_tbEUlT_E0_NS1_11comp_targetILNS1_3genE10ELNS1_11target_archE1200ELNS1_3gpuE4ELNS1_3repE0EEENS1_30default_config_static_selectorELNS0_4arch9wavefront6targetE1EEEvSQ_,"axG",@progbits,_ZN7rocprim17ROCPRIM_400000_NS6detail17trampoline_kernelINS0_14default_configENS1_21merge_config_selectorIiNS0_10empty_typeEEEZNS1_10merge_implIS3_N6thrust23THRUST_200600_302600_NS6detail15normal_iteratorINS9_10device_ptrIKiEEEESF_NS9_16discard_iteratorINS9_11use_defaultEEEPS5_SJ_SJ_NS9_4lessIiEEEE10hipError_tPvRmT0_T1_T2_T3_T4_T5_mmT6_P12ihipStream_tbEUlT_E0_NS1_11comp_targetILNS1_3genE10ELNS1_11target_archE1200ELNS1_3gpuE4ELNS1_3repE0EEENS1_30default_config_static_selectorELNS0_4arch9wavefront6targetE1EEEvSQ_,comdat
	.protected	_ZN7rocprim17ROCPRIM_400000_NS6detail17trampoline_kernelINS0_14default_configENS1_21merge_config_selectorIiNS0_10empty_typeEEEZNS1_10merge_implIS3_N6thrust23THRUST_200600_302600_NS6detail15normal_iteratorINS9_10device_ptrIKiEEEESF_NS9_16discard_iteratorINS9_11use_defaultEEEPS5_SJ_SJ_NS9_4lessIiEEEE10hipError_tPvRmT0_T1_T2_T3_T4_T5_mmT6_P12ihipStream_tbEUlT_E0_NS1_11comp_targetILNS1_3genE10ELNS1_11target_archE1200ELNS1_3gpuE4ELNS1_3repE0EEENS1_30default_config_static_selectorELNS0_4arch9wavefront6targetE1EEEvSQ_ ; -- Begin function _ZN7rocprim17ROCPRIM_400000_NS6detail17trampoline_kernelINS0_14default_configENS1_21merge_config_selectorIiNS0_10empty_typeEEEZNS1_10merge_implIS3_N6thrust23THRUST_200600_302600_NS6detail15normal_iteratorINS9_10device_ptrIKiEEEESF_NS9_16discard_iteratorINS9_11use_defaultEEEPS5_SJ_SJ_NS9_4lessIiEEEE10hipError_tPvRmT0_T1_T2_T3_T4_T5_mmT6_P12ihipStream_tbEUlT_E0_NS1_11comp_targetILNS1_3genE10ELNS1_11target_archE1200ELNS1_3gpuE4ELNS1_3repE0EEENS1_30default_config_static_selectorELNS0_4arch9wavefront6targetE1EEEvSQ_
	.globl	_ZN7rocprim17ROCPRIM_400000_NS6detail17trampoline_kernelINS0_14default_configENS1_21merge_config_selectorIiNS0_10empty_typeEEEZNS1_10merge_implIS3_N6thrust23THRUST_200600_302600_NS6detail15normal_iteratorINS9_10device_ptrIKiEEEESF_NS9_16discard_iteratorINS9_11use_defaultEEEPS5_SJ_SJ_NS9_4lessIiEEEE10hipError_tPvRmT0_T1_T2_T3_T4_T5_mmT6_P12ihipStream_tbEUlT_E0_NS1_11comp_targetILNS1_3genE10ELNS1_11target_archE1200ELNS1_3gpuE4ELNS1_3repE0EEENS1_30default_config_static_selectorELNS0_4arch9wavefront6targetE1EEEvSQ_
	.p2align	8
	.type	_ZN7rocprim17ROCPRIM_400000_NS6detail17trampoline_kernelINS0_14default_configENS1_21merge_config_selectorIiNS0_10empty_typeEEEZNS1_10merge_implIS3_N6thrust23THRUST_200600_302600_NS6detail15normal_iteratorINS9_10device_ptrIKiEEEESF_NS9_16discard_iteratorINS9_11use_defaultEEEPS5_SJ_SJ_NS9_4lessIiEEEE10hipError_tPvRmT0_T1_T2_T3_T4_T5_mmT6_P12ihipStream_tbEUlT_E0_NS1_11comp_targetILNS1_3genE10ELNS1_11target_archE1200ELNS1_3gpuE4ELNS1_3repE0EEENS1_30default_config_static_selectorELNS0_4arch9wavefront6targetE1EEEvSQ_,@function
_ZN7rocprim17ROCPRIM_400000_NS6detail17trampoline_kernelINS0_14default_configENS1_21merge_config_selectorIiNS0_10empty_typeEEEZNS1_10merge_implIS3_N6thrust23THRUST_200600_302600_NS6detail15normal_iteratorINS9_10device_ptrIKiEEEESF_NS9_16discard_iteratorINS9_11use_defaultEEEPS5_SJ_SJ_NS9_4lessIiEEEE10hipError_tPvRmT0_T1_T2_T3_T4_T5_mmT6_P12ihipStream_tbEUlT_E0_NS1_11comp_targetILNS1_3genE10ELNS1_11target_archE1200ELNS1_3gpuE4ELNS1_3repE0EEENS1_30default_config_static_selectorELNS0_4arch9wavefront6targetE1EEEvSQ_: ; @_ZN7rocprim17ROCPRIM_400000_NS6detail17trampoline_kernelINS0_14default_configENS1_21merge_config_selectorIiNS0_10empty_typeEEEZNS1_10merge_implIS3_N6thrust23THRUST_200600_302600_NS6detail15normal_iteratorINS9_10device_ptrIKiEEEESF_NS9_16discard_iteratorINS9_11use_defaultEEEPS5_SJ_SJ_NS9_4lessIiEEEE10hipError_tPvRmT0_T1_T2_T3_T4_T5_mmT6_P12ihipStream_tbEUlT_E0_NS1_11comp_targetILNS1_3genE10ELNS1_11target_archE1200ELNS1_3gpuE4ELNS1_3repE0EEENS1_30default_config_static_selectorELNS0_4arch9wavefront6targetE1EEEvSQ_
; %bb.0:
	.section	.rodata,"a",@progbits
	.p2align	6, 0x0
	.amdhsa_kernel _ZN7rocprim17ROCPRIM_400000_NS6detail17trampoline_kernelINS0_14default_configENS1_21merge_config_selectorIiNS0_10empty_typeEEEZNS1_10merge_implIS3_N6thrust23THRUST_200600_302600_NS6detail15normal_iteratorINS9_10device_ptrIKiEEEESF_NS9_16discard_iteratorINS9_11use_defaultEEEPS5_SJ_SJ_NS9_4lessIiEEEE10hipError_tPvRmT0_T1_T2_T3_T4_T5_mmT6_P12ihipStream_tbEUlT_E0_NS1_11comp_targetILNS1_3genE10ELNS1_11target_archE1200ELNS1_3gpuE4ELNS1_3repE0EEENS1_30default_config_static_selectorELNS0_4arch9wavefront6targetE1EEEvSQ_
		.amdhsa_group_segment_fixed_size 0
		.amdhsa_private_segment_fixed_size 0
		.amdhsa_kernarg_size 96
		.amdhsa_user_sgpr_count 6
		.amdhsa_user_sgpr_private_segment_buffer 1
		.amdhsa_user_sgpr_dispatch_ptr 0
		.amdhsa_user_sgpr_queue_ptr 0
		.amdhsa_user_sgpr_kernarg_segment_ptr 1
		.amdhsa_user_sgpr_dispatch_id 0
		.amdhsa_user_sgpr_flat_scratch_init 0
		.amdhsa_user_sgpr_kernarg_preload_length 0
		.amdhsa_user_sgpr_kernarg_preload_offset 0
		.amdhsa_user_sgpr_private_segment_size 0
		.amdhsa_uses_dynamic_stack 0
		.amdhsa_system_sgpr_private_segment_wavefront_offset 0
		.amdhsa_system_sgpr_workgroup_id_x 1
		.amdhsa_system_sgpr_workgroup_id_y 0
		.amdhsa_system_sgpr_workgroup_id_z 0
		.amdhsa_system_sgpr_workgroup_info 0
		.amdhsa_system_vgpr_workitem_id 0
		.amdhsa_next_free_vgpr 1
		.amdhsa_next_free_sgpr 0
		.amdhsa_accum_offset 4
		.amdhsa_reserve_vcc 0
		.amdhsa_reserve_flat_scratch 0
		.amdhsa_float_round_mode_32 0
		.amdhsa_float_round_mode_16_64 0
		.amdhsa_float_denorm_mode_32 3
		.amdhsa_float_denorm_mode_16_64 3
		.amdhsa_dx10_clamp 1
		.amdhsa_ieee_mode 1
		.amdhsa_fp16_overflow 0
		.amdhsa_tg_split 0
		.amdhsa_exception_fp_ieee_invalid_op 0
		.amdhsa_exception_fp_denorm_src 0
		.amdhsa_exception_fp_ieee_div_zero 0
		.amdhsa_exception_fp_ieee_overflow 0
		.amdhsa_exception_fp_ieee_underflow 0
		.amdhsa_exception_fp_ieee_inexact 0
		.amdhsa_exception_int_div_zero 0
	.end_amdhsa_kernel
	.section	.text._ZN7rocprim17ROCPRIM_400000_NS6detail17trampoline_kernelINS0_14default_configENS1_21merge_config_selectorIiNS0_10empty_typeEEEZNS1_10merge_implIS3_N6thrust23THRUST_200600_302600_NS6detail15normal_iteratorINS9_10device_ptrIKiEEEESF_NS9_16discard_iteratorINS9_11use_defaultEEEPS5_SJ_SJ_NS9_4lessIiEEEE10hipError_tPvRmT0_T1_T2_T3_T4_T5_mmT6_P12ihipStream_tbEUlT_E0_NS1_11comp_targetILNS1_3genE10ELNS1_11target_archE1200ELNS1_3gpuE4ELNS1_3repE0EEENS1_30default_config_static_selectorELNS0_4arch9wavefront6targetE1EEEvSQ_,"axG",@progbits,_ZN7rocprim17ROCPRIM_400000_NS6detail17trampoline_kernelINS0_14default_configENS1_21merge_config_selectorIiNS0_10empty_typeEEEZNS1_10merge_implIS3_N6thrust23THRUST_200600_302600_NS6detail15normal_iteratorINS9_10device_ptrIKiEEEESF_NS9_16discard_iteratorINS9_11use_defaultEEEPS5_SJ_SJ_NS9_4lessIiEEEE10hipError_tPvRmT0_T1_T2_T3_T4_T5_mmT6_P12ihipStream_tbEUlT_E0_NS1_11comp_targetILNS1_3genE10ELNS1_11target_archE1200ELNS1_3gpuE4ELNS1_3repE0EEENS1_30default_config_static_selectorELNS0_4arch9wavefront6targetE1EEEvSQ_,comdat
.Lfunc_end440:
	.size	_ZN7rocprim17ROCPRIM_400000_NS6detail17trampoline_kernelINS0_14default_configENS1_21merge_config_selectorIiNS0_10empty_typeEEEZNS1_10merge_implIS3_N6thrust23THRUST_200600_302600_NS6detail15normal_iteratorINS9_10device_ptrIKiEEEESF_NS9_16discard_iteratorINS9_11use_defaultEEEPS5_SJ_SJ_NS9_4lessIiEEEE10hipError_tPvRmT0_T1_T2_T3_T4_T5_mmT6_P12ihipStream_tbEUlT_E0_NS1_11comp_targetILNS1_3genE10ELNS1_11target_archE1200ELNS1_3gpuE4ELNS1_3repE0EEENS1_30default_config_static_selectorELNS0_4arch9wavefront6targetE1EEEvSQ_, .Lfunc_end440-_ZN7rocprim17ROCPRIM_400000_NS6detail17trampoline_kernelINS0_14default_configENS1_21merge_config_selectorIiNS0_10empty_typeEEEZNS1_10merge_implIS3_N6thrust23THRUST_200600_302600_NS6detail15normal_iteratorINS9_10device_ptrIKiEEEESF_NS9_16discard_iteratorINS9_11use_defaultEEEPS5_SJ_SJ_NS9_4lessIiEEEE10hipError_tPvRmT0_T1_T2_T3_T4_T5_mmT6_P12ihipStream_tbEUlT_E0_NS1_11comp_targetILNS1_3genE10ELNS1_11target_archE1200ELNS1_3gpuE4ELNS1_3repE0EEENS1_30default_config_static_selectorELNS0_4arch9wavefront6targetE1EEEvSQ_
                                        ; -- End function
	.section	.AMDGPU.csdata,"",@progbits
; Kernel info:
; codeLenInByte = 0
; NumSgprs: 4
; NumVgprs: 0
; NumAgprs: 0
; TotalNumVgprs: 0
; ScratchSize: 0
; MemoryBound: 0
; FloatMode: 240
; IeeeMode: 1
; LDSByteSize: 0 bytes/workgroup (compile time only)
; SGPRBlocks: 0
; VGPRBlocks: 0
; NumSGPRsForWavesPerEU: 4
; NumVGPRsForWavesPerEU: 1
; AccumOffset: 4
; Occupancy: 8
; WaveLimiterHint : 0
; COMPUTE_PGM_RSRC2:SCRATCH_EN: 0
; COMPUTE_PGM_RSRC2:USER_SGPR: 6
; COMPUTE_PGM_RSRC2:TRAP_HANDLER: 0
; COMPUTE_PGM_RSRC2:TGID_X_EN: 1
; COMPUTE_PGM_RSRC2:TGID_Y_EN: 0
; COMPUTE_PGM_RSRC2:TGID_Z_EN: 0
; COMPUTE_PGM_RSRC2:TIDIG_COMP_CNT: 0
; COMPUTE_PGM_RSRC3_GFX90A:ACCUM_OFFSET: 0
; COMPUTE_PGM_RSRC3_GFX90A:TG_SPLIT: 0
	.section	.text._ZN7rocprim17ROCPRIM_400000_NS6detail17trampoline_kernelINS0_14default_configENS1_21merge_config_selectorIiNS0_10empty_typeEEEZNS1_10merge_implIS3_N6thrust23THRUST_200600_302600_NS6detail15normal_iteratorINS9_10device_ptrIKiEEEESF_NS9_16discard_iteratorINS9_11use_defaultEEEPS5_SJ_SJ_NS9_4lessIiEEEE10hipError_tPvRmT0_T1_T2_T3_T4_T5_mmT6_P12ihipStream_tbEUlT_E0_NS1_11comp_targetILNS1_3genE9ELNS1_11target_archE1100ELNS1_3gpuE3ELNS1_3repE0EEENS1_30default_config_static_selectorELNS0_4arch9wavefront6targetE1EEEvSQ_,"axG",@progbits,_ZN7rocprim17ROCPRIM_400000_NS6detail17trampoline_kernelINS0_14default_configENS1_21merge_config_selectorIiNS0_10empty_typeEEEZNS1_10merge_implIS3_N6thrust23THRUST_200600_302600_NS6detail15normal_iteratorINS9_10device_ptrIKiEEEESF_NS9_16discard_iteratorINS9_11use_defaultEEEPS5_SJ_SJ_NS9_4lessIiEEEE10hipError_tPvRmT0_T1_T2_T3_T4_T5_mmT6_P12ihipStream_tbEUlT_E0_NS1_11comp_targetILNS1_3genE9ELNS1_11target_archE1100ELNS1_3gpuE3ELNS1_3repE0EEENS1_30default_config_static_selectorELNS0_4arch9wavefront6targetE1EEEvSQ_,comdat
	.protected	_ZN7rocprim17ROCPRIM_400000_NS6detail17trampoline_kernelINS0_14default_configENS1_21merge_config_selectorIiNS0_10empty_typeEEEZNS1_10merge_implIS3_N6thrust23THRUST_200600_302600_NS6detail15normal_iteratorINS9_10device_ptrIKiEEEESF_NS9_16discard_iteratorINS9_11use_defaultEEEPS5_SJ_SJ_NS9_4lessIiEEEE10hipError_tPvRmT0_T1_T2_T3_T4_T5_mmT6_P12ihipStream_tbEUlT_E0_NS1_11comp_targetILNS1_3genE9ELNS1_11target_archE1100ELNS1_3gpuE3ELNS1_3repE0EEENS1_30default_config_static_selectorELNS0_4arch9wavefront6targetE1EEEvSQ_ ; -- Begin function _ZN7rocprim17ROCPRIM_400000_NS6detail17trampoline_kernelINS0_14default_configENS1_21merge_config_selectorIiNS0_10empty_typeEEEZNS1_10merge_implIS3_N6thrust23THRUST_200600_302600_NS6detail15normal_iteratorINS9_10device_ptrIKiEEEESF_NS9_16discard_iteratorINS9_11use_defaultEEEPS5_SJ_SJ_NS9_4lessIiEEEE10hipError_tPvRmT0_T1_T2_T3_T4_T5_mmT6_P12ihipStream_tbEUlT_E0_NS1_11comp_targetILNS1_3genE9ELNS1_11target_archE1100ELNS1_3gpuE3ELNS1_3repE0EEENS1_30default_config_static_selectorELNS0_4arch9wavefront6targetE1EEEvSQ_
	.globl	_ZN7rocprim17ROCPRIM_400000_NS6detail17trampoline_kernelINS0_14default_configENS1_21merge_config_selectorIiNS0_10empty_typeEEEZNS1_10merge_implIS3_N6thrust23THRUST_200600_302600_NS6detail15normal_iteratorINS9_10device_ptrIKiEEEESF_NS9_16discard_iteratorINS9_11use_defaultEEEPS5_SJ_SJ_NS9_4lessIiEEEE10hipError_tPvRmT0_T1_T2_T3_T4_T5_mmT6_P12ihipStream_tbEUlT_E0_NS1_11comp_targetILNS1_3genE9ELNS1_11target_archE1100ELNS1_3gpuE3ELNS1_3repE0EEENS1_30default_config_static_selectorELNS0_4arch9wavefront6targetE1EEEvSQ_
	.p2align	8
	.type	_ZN7rocprim17ROCPRIM_400000_NS6detail17trampoline_kernelINS0_14default_configENS1_21merge_config_selectorIiNS0_10empty_typeEEEZNS1_10merge_implIS3_N6thrust23THRUST_200600_302600_NS6detail15normal_iteratorINS9_10device_ptrIKiEEEESF_NS9_16discard_iteratorINS9_11use_defaultEEEPS5_SJ_SJ_NS9_4lessIiEEEE10hipError_tPvRmT0_T1_T2_T3_T4_T5_mmT6_P12ihipStream_tbEUlT_E0_NS1_11comp_targetILNS1_3genE9ELNS1_11target_archE1100ELNS1_3gpuE3ELNS1_3repE0EEENS1_30default_config_static_selectorELNS0_4arch9wavefront6targetE1EEEvSQ_,@function
_ZN7rocprim17ROCPRIM_400000_NS6detail17trampoline_kernelINS0_14default_configENS1_21merge_config_selectorIiNS0_10empty_typeEEEZNS1_10merge_implIS3_N6thrust23THRUST_200600_302600_NS6detail15normal_iteratorINS9_10device_ptrIKiEEEESF_NS9_16discard_iteratorINS9_11use_defaultEEEPS5_SJ_SJ_NS9_4lessIiEEEE10hipError_tPvRmT0_T1_T2_T3_T4_T5_mmT6_P12ihipStream_tbEUlT_E0_NS1_11comp_targetILNS1_3genE9ELNS1_11target_archE1100ELNS1_3gpuE3ELNS1_3repE0EEENS1_30default_config_static_selectorELNS0_4arch9wavefront6targetE1EEEvSQ_: ; @_ZN7rocprim17ROCPRIM_400000_NS6detail17trampoline_kernelINS0_14default_configENS1_21merge_config_selectorIiNS0_10empty_typeEEEZNS1_10merge_implIS3_N6thrust23THRUST_200600_302600_NS6detail15normal_iteratorINS9_10device_ptrIKiEEEESF_NS9_16discard_iteratorINS9_11use_defaultEEEPS5_SJ_SJ_NS9_4lessIiEEEE10hipError_tPvRmT0_T1_T2_T3_T4_T5_mmT6_P12ihipStream_tbEUlT_E0_NS1_11comp_targetILNS1_3genE9ELNS1_11target_archE1100ELNS1_3gpuE3ELNS1_3repE0EEENS1_30default_config_static_selectorELNS0_4arch9wavefront6targetE1EEEvSQ_
; %bb.0:
	.section	.rodata,"a",@progbits
	.p2align	6, 0x0
	.amdhsa_kernel _ZN7rocprim17ROCPRIM_400000_NS6detail17trampoline_kernelINS0_14default_configENS1_21merge_config_selectorIiNS0_10empty_typeEEEZNS1_10merge_implIS3_N6thrust23THRUST_200600_302600_NS6detail15normal_iteratorINS9_10device_ptrIKiEEEESF_NS9_16discard_iteratorINS9_11use_defaultEEEPS5_SJ_SJ_NS9_4lessIiEEEE10hipError_tPvRmT0_T1_T2_T3_T4_T5_mmT6_P12ihipStream_tbEUlT_E0_NS1_11comp_targetILNS1_3genE9ELNS1_11target_archE1100ELNS1_3gpuE3ELNS1_3repE0EEENS1_30default_config_static_selectorELNS0_4arch9wavefront6targetE1EEEvSQ_
		.amdhsa_group_segment_fixed_size 0
		.amdhsa_private_segment_fixed_size 0
		.amdhsa_kernarg_size 96
		.amdhsa_user_sgpr_count 6
		.amdhsa_user_sgpr_private_segment_buffer 1
		.amdhsa_user_sgpr_dispatch_ptr 0
		.amdhsa_user_sgpr_queue_ptr 0
		.amdhsa_user_sgpr_kernarg_segment_ptr 1
		.amdhsa_user_sgpr_dispatch_id 0
		.amdhsa_user_sgpr_flat_scratch_init 0
		.amdhsa_user_sgpr_kernarg_preload_length 0
		.amdhsa_user_sgpr_kernarg_preload_offset 0
		.amdhsa_user_sgpr_private_segment_size 0
		.amdhsa_uses_dynamic_stack 0
		.amdhsa_system_sgpr_private_segment_wavefront_offset 0
		.amdhsa_system_sgpr_workgroup_id_x 1
		.amdhsa_system_sgpr_workgroup_id_y 0
		.amdhsa_system_sgpr_workgroup_id_z 0
		.amdhsa_system_sgpr_workgroup_info 0
		.amdhsa_system_vgpr_workitem_id 0
		.amdhsa_next_free_vgpr 1
		.amdhsa_next_free_sgpr 0
		.amdhsa_accum_offset 4
		.amdhsa_reserve_vcc 0
		.amdhsa_reserve_flat_scratch 0
		.amdhsa_float_round_mode_32 0
		.amdhsa_float_round_mode_16_64 0
		.amdhsa_float_denorm_mode_32 3
		.amdhsa_float_denorm_mode_16_64 3
		.amdhsa_dx10_clamp 1
		.amdhsa_ieee_mode 1
		.amdhsa_fp16_overflow 0
		.amdhsa_tg_split 0
		.amdhsa_exception_fp_ieee_invalid_op 0
		.amdhsa_exception_fp_denorm_src 0
		.amdhsa_exception_fp_ieee_div_zero 0
		.amdhsa_exception_fp_ieee_overflow 0
		.amdhsa_exception_fp_ieee_underflow 0
		.amdhsa_exception_fp_ieee_inexact 0
		.amdhsa_exception_int_div_zero 0
	.end_amdhsa_kernel
	.section	.text._ZN7rocprim17ROCPRIM_400000_NS6detail17trampoline_kernelINS0_14default_configENS1_21merge_config_selectorIiNS0_10empty_typeEEEZNS1_10merge_implIS3_N6thrust23THRUST_200600_302600_NS6detail15normal_iteratorINS9_10device_ptrIKiEEEESF_NS9_16discard_iteratorINS9_11use_defaultEEEPS5_SJ_SJ_NS9_4lessIiEEEE10hipError_tPvRmT0_T1_T2_T3_T4_T5_mmT6_P12ihipStream_tbEUlT_E0_NS1_11comp_targetILNS1_3genE9ELNS1_11target_archE1100ELNS1_3gpuE3ELNS1_3repE0EEENS1_30default_config_static_selectorELNS0_4arch9wavefront6targetE1EEEvSQ_,"axG",@progbits,_ZN7rocprim17ROCPRIM_400000_NS6detail17trampoline_kernelINS0_14default_configENS1_21merge_config_selectorIiNS0_10empty_typeEEEZNS1_10merge_implIS3_N6thrust23THRUST_200600_302600_NS6detail15normal_iteratorINS9_10device_ptrIKiEEEESF_NS9_16discard_iteratorINS9_11use_defaultEEEPS5_SJ_SJ_NS9_4lessIiEEEE10hipError_tPvRmT0_T1_T2_T3_T4_T5_mmT6_P12ihipStream_tbEUlT_E0_NS1_11comp_targetILNS1_3genE9ELNS1_11target_archE1100ELNS1_3gpuE3ELNS1_3repE0EEENS1_30default_config_static_selectorELNS0_4arch9wavefront6targetE1EEEvSQ_,comdat
.Lfunc_end441:
	.size	_ZN7rocprim17ROCPRIM_400000_NS6detail17trampoline_kernelINS0_14default_configENS1_21merge_config_selectorIiNS0_10empty_typeEEEZNS1_10merge_implIS3_N6thrust23THRUST_200600_302600_NS6detail15normal_iteratorINS9_10device_ptrIKiEEEESF_NS9_16discard_iteratorINS9_11use_defaultEEEPS5_SJ_SJ_NS9_4lessIiEEEE10hipError_tPvRmT0_T1_T2_T3_T4_T5_mmT6_P12ihipStream_tbEUlT_E0_NS1_11comp_targetILNS1_3genE9ELNS1_11target_archE1100ELNS1_3gpuE3ELNS1_3repE0EEENS1_30default_config_static_selectorELNS0_4arch9wavefront6targetE1EEEvSQ_, .Lfunc_end441-_ZN7rocprim17ROCPRIM_400000_NS6detail17trampoline_kernelINS0_14default_configENS1_21merge_config_selectorIiNS0_10empty_typeEEEZNS1_10merge_implIS3_N6thrust23THRUST_200600_302600_NS6detail15normal_iteratorINS9_10device_ptrIKiEEEESF_NS9_16discard_iteratorINS9_11use_defaultEEEPS5_SJ_SJ_NS9_4lessIiEEEE10hipError_tPvRmT0_T1_T2_T3_T4_T5_mmT6_P12ihipStream_tbEUlT_E0_NS1_11comp_targetILNS1_3genE9ELNS1_11target_archE1100ELNS1_3gpuE3ELNS1_3repE0EEENS1_30default_config_static_selectorELNS0_4arch9wavefront6targetE1EEEvSQ_
                                        ; -- End function
	.section	.AMDGPU.csdata,"",@progbits
; Kernel info:
; codeLenInByte = 0
; NumSgprs: 4
; NumVgprs: 0
; NumAgprs: 0
; TotalNumVgprs: 0
; ScratchSize: 0
; MemoryBound: 0
; FloatMode: 240
; IeeeMode: 1
; LDSByteSize: 0 bytes/workgroup (compile time only)
; SGPRBlocks: 0
; VGPRBlocks: 0
; NumSGPRsForWavesPerEU: 4
; NumVGPRsForWavesPerEU: 1
; AccumOffset: 4
; Occupancy: 8
; WaveLimiterHint : 0
; COMPUTE_PGM_RSRC2:SCRATCH_EN: 0
; COMPUTE_PGM_RSRC2:USER_SGPR: 6
; COMPUTE_PGM_RSRC2:TRAP_HANDLER: 0
; COMPUTE_PGM_RSRC2:TGID_X_EN: 1
; COMPUTE_PGM_RSRC2:TGID_Y_EN: 0
; COMPUTE_PGM_RSRC2:TGID_Z_EN: 0
; COMPUTE_PGM_RSRC2:TIDIG_COMP_CNT: 0
; COMPUTE_PGM_RSRC3_GFX90A:ACCUM_OFFSET: 0
; COMPUTE_PGM_RSRC3_GFX90A:TG_SPLIT: 0
	.section	.text._ZN7rocprim17ROCPRIM_400000_NS6detail17trampoline_kernelINS0_14default_configENS1_21merge_config_selectorIiNS0_10empty_typeEEEZNS1_10merge_implIS3_N6thrust23THRUST_200600_302600_NS6detail15normal_iteratorINS9_10device_ptrIKiEEEESF_NS9_16discard_iteratorINS9_11use_defaultEEEPS5_SJ_SJ_NS9_4lessIiEEEE10hipError_tPvRmT0_T1_T2_T3_T4_T5_mmT6_P12ihipStream_tbEUlT_E0_NS1_11comp_targetILNS1_3genE8ELNS1_11target_archE1030ELNS1_3gpuE2ELNS1_3repE0EEENS1_30default_config_static_selectorELNS0_4arch9wavefront6targetE1EEEvSQ_,"axG",@progbits,_ZN7rocprim17ROCPRIM_400000_NS6detail17trampoline_kernelINS0_14default_configENS1_21merge_config_selectorIiNS0_10empty_typeEEEZNS1_10merge_implIS3_N6thrust23THRUST_200600_302600_NS6detail15normal_iteratorINS9_10device_ptrIKiEEEESF_NS9_16discard_iteratorINS9_11use_defaultEEEPS5_SJ_SJ_NS9_4lessIiEEEE10hipError_tPvRmT0_T1_T2_T3_T4_T5_mmT6_P12ihipStream_tbEUlT_E0_NS1_11comp_targetILNS1_3genE8ELNS1_11target_archE1030ELNS1_3gpuE2ELNS1_3repE0EEENS1_30default_config_static_selectorELNS0_4arch9wavefront6targetE1EEEvSQ_,comdat
	.protected	_ZN7rocprim17ROCPRIM_400000_NS6detail17trampoline_kernelINS0_14default_configENS1_21merge_config_selectorIiNS0_10empty_typeEEEZNS1_10merge_implIS3_N6thrust23THRUST_200600_302600_NS6detail15normal_iteratorINS9_10device_ptrIKiEEEESF_NS9_16discard_iteratorINS9_11use_defaultEEEPS5_SJ_SJ_NS9_4lessIiEEEE10hipError_tPvRmT0_T1_T2_T3_T4_T5_mmT6_P12ihipStream_tbEUlT_E0_NS1_11comp_targetILNS1_3genE8ELNS1_11target_archE1030ELNS1_3gpuE2ELNS1_3repE0EEENS1_30default_config_static_selectorELNS0_4arch9wavefront6targetE1EEEvSQ_ ; -- Begin function _ZN7rocprim17ROCPRIM_400000_NS6detail17trampoline_kernelINS0_14default_configENS1_21merge_config_selectorIiNS0_10empty_typeEEEZNS1_10merge_implIS3_N6thrust23THRUST_200600_302600_NS6detail15normal_iteratorINS9_10device_ptrIKiEEEESF_NS9_16discard_iteratorINS9_11use_defaultEEEPS5_SJ_SJ_NS9_4lessIiEEEE10hipError_tPvRmT0_T1_T2_T3_T4_T5_mmT6_P12ihipStream_tbEUlT_E0_NS1_11comp_targetILNS1_3genE8ELNS1_11target_archE1030ELNS1_3gpuE2ELNS1_3repE0EEENS1_30default_config_static_selectorELNS0_4arch9wavefront6targetE1EEEvSQ_
	.globl	_ZN7rocprim17ROCPRIM_400000_NS6detail17trampoline_kernelINS0_14default_configENS1_21merge_config_selectorIiNS0_10empty_typeEEEZNS1_10merge_implIS3_N6thrust23THRUST_200600_302600_NS6detail15normal_iteratorINS9_10device_ptrIKiEEEESF_NS9_16discard_iteratorINS9_11use_defaultEEEPS5_SJ_SJ_NS9_4lessIiEEEE10hipError_tPvRmT0_T1_T2_T3_T4_T5_mmT6_P12ihipStream_tbEUlT_E0_NS1_11comp_targetILNS1_3genE8ELNS1_11target_archE1030ELNS1_3gpuE2ELNS1_3repE0EEENS1_30default_config_static_selectorELNS0_4arch9wavefront6targetE1EEEvSQ_
	.p2align	8
	.type	_ZN7rocprim17ROCPRIM_400000_NS6detail17trampoline_kernelINS0_14default_configENS1_21merge_config_selectorIiNS0_10empty_typeEEEZNS1_10merge_implIS3_N6thrust23THRUST_200600_302600_NS6detail15normal_iteratorINS9_10device_ptrIKiEEEESF_NS9_16discard_iteratorINS9_11use_defaultEEEPS5_SJ_SJ_NS9_4lessIiEEEE10hipError_tPvRmT0_T1_T2_T3_T4_T5_mmT6_P12ihipStream_tbEUlT_E0_NS1_11comp_targetILNS1_3genE8ELNS1_11target_archE1030ELNS1_3gpuE2ELNS1_3repE0EEENS1_30default_config_static_selectorELNS0_4arch9wavefront6targetE1EEEvSQ_,@function
_ZN7rocprim17ROCPRIM_400000_NS6detail17trampoline_kernelINS0_14default_configENS1_21merge_config_selectorIiNS0_10empty_typeEEEZNS1_10merge_implIS3_N6thrust23THRUST_200600_302600_NS6detail15normal_iteratorINS9_10device_ptrIKiEEEESF_NS9_16discard_iteratorINS9_11use_defaultEEEPS5_SJ_SJ_NS9_4lessIiEEEE10hipError_tPvRmT0_T1_T2_T3_T4_T5_mmT6_P12ihipStream_tbEUlT_E0_NS1_11comp_targetILNS1_3genE8ELNS1_11target_archE1030ELNS1_3gpuE2ELNS1_3repE0EEENS1_30default_config_static_selectorELNS0_4arch9wavefront6targetE1EEEvSQ_: ; @_ZN7rocprim17ROCPRIM_400000_NS6detail17trampoline_kernelINS0_14default_configENS1_21merge_config_selectorIiNS0_10empty_typeEEEZNS1_10merge_implIS3_N6thrust23THRUST_200600_302600_NS6detail15normal_iteratorINS9_10device_ptrIKiEEEESF_NS9_16discard_iteratorINS9_11use_defaultEEEPS5_SJ_SJ_NS9_4lessIiEEEE10hipError_tPvRmT0_T1_T2_T3_T4_T5_mmT6_P12ihipStream_tbEUlT_E0_NS1_11comp_targetILNS1_3genE8ELNS1_11target_archE1030ELNS1_3gpuE2ELNS1_3repE0EEENS1_30default_config_static_selectorELNS0_4arch9wavefront6targetE1EEEvSQ_
; %bb.0:
	.section	.rodata,"a",@progbits
	.p2align	6, 0x0
	.amdhsa_kernel _ZN7rocprim17ROCPRIM_400000_NS6detail17trampoline_kernelINS0_14default_configENS1_21merge_config_selectorIiNS0_10empty_typeEEEZNS1_10merge_implIS3_N6thrust23THRUST_200600_302600_NS6detail15normal_iteratorINS9_10device_ptrIKiEEEESF_NS9_16discard_iteratorINS9_11use_defaultEEEPS5_SJ_SJ_NS9_4lessIiEEEE10hipError_tPvRmT0_T1_T2_T3_T4_T5_mmT6_P12ihipStream_tbEUlT_E0_NS1_11comp_targetILNS1_3genE8ELNS1_11target_archE1030ELNS1_3gpuE2ELNS1_3repE0EEENS1_30default_config_static_selectorELNS0_4arch9wavefront6targetE1EEEvSQ_
		.amdhsa_group_segment_fixed_size 0
		.amdhsa_private_segment_fixed_size 0
		.amdhsa_kernarg_size 96
		.amdhsa_user_sgpr_count 6
		.amdhsa_user_sgpr_private_segment_buffer 1
		.amdhsa_user_sgpr_dispatch_ptr 0
		.amdhsa_user_sgpr_queue_ptr 0
		.amdhsa_user_sgpr_kernarg_segment_ptr 1
		.amdhsa_user_sgpr_dispatch_id 0
		.amdhsa_user_sgpr_flat_scratch_init 0
		.amdhsa_user_sgpr_kernarg_preload_length 0
		.amdhsa_user_sgpr_kernarg_preload_offset 0
		.amdhsa_user_sgpr_private_segment_size 0
		.amdhsa_uses_dynamic_stack 0
		.amdhsa_system_sgpr_private_segment_wavefront_offset 0
		.amdhsa_system_sgpr_workgroup_id_x 1
		.amdhsa_system_sgpr_workgroup_id_y 0
		.amdhsa_system_sgpr_workgroup_id_z 0
		.amdhsa_system_sgpr_workgroup_info 0
		.amdhsa_system_vgpr_workitem_id 0
		.amdhsa_next_free_vgpr 1
		.amdhsa_next_free_sgpr 0
		.amdhsa_accum_offset 4
		.amdhsa_reserve_vcc 0
		.amdhsa_reserve_flat_scratch 0
		.amdhsa_float_round_mode_32 0
		.amdhsa_float_round_mode_16_64 0
		.amdhsa_float_denorm_mode_32 3
		.amdhsa_float_denorm_mode_16_64 3
		.amdhsa_dx10_clamp 1
		.amdhsa_ieee_mode 1
		.amdhsa_fp16_overflow 0
		.amdhsa_tg_split 0
		.amdhsa_exception_fp_ieee_invalid_op 0
		.amdhsa_exception_fp_denorm_src 0
		.amdhsa_exception_fp_ieee_div_zero 0
		.amdhsa_exception_fp_ieee_overflow 0
		.amdhsa_exception_fp_ieee_underflow 0
		.amdhsa_exception_fp_ieee_inexact 0
		.amdhsa_exception_int_div_zero 0
	.end_amdhsa_kernel
	.section	.text._ZN7rocprim17ROCPRIM_400000_NS6detail17trampoline_kernelINS0_14default_configENS1_21merge_config_selectorIiNS0_10empty_typeEEEZNS1_10merge_implIS3_N6thrust23THRUST_200600_302600_NS6detail15normal_iteratorINS9_10device_ptrIKiEEEESF_NS9_16discard_iteratorINS9_11use_defaultEEEPS5_SJ_SJ_NS9_4lessIiEEEE10hipError_tPvRmT0_T1_T2_T3_T4_T5_mmT6_P12ihipStream_tbEUlT_E0_NS1_11comp_targetILNS1_3genE8ELNS1_11target_archE1030ELNS1_3gpuE2ELNS1_3repE0EEENS1_30default_config_static_selectorELNS0_4arch9wavefront6targetE1EEEvSQ_,"axG",@progbits,_ZN7rocprim17ROCPRIM_400000_NS6detail17trampoline_kernelINS0_14default_configENS1_21merge_config_selectorIiNS0_10empty_typeEEEZNS1_10merge_implIS3_N6thrust23THRUST_200600_302600_NS6detail15normal_iteratorINS9_10device_ptrIKiEEEESF_NS9_16discard_iteratorINS9_11use_defaultEEEPS5_SJ_SJ_NS9_4lessIiEEEE10hipError_tPvRmT0_T1_T2_T3_T4_T5_mmT6_P12ihipStream_tbEUlT_E0_NS1_11comp_targetILNS1_3genE8ELNS1_11target_archE1030ELNS1_3gpuE2ELNS1_3repE0EEENS1_30default_config_static_selectorELNS0_4arch9wavefront6targetE1EEEvSQ_,comdat
.Lfunc_end442:
	.size	_ZN7rocprim17ROCPRIM_400000_NS6detail17trampoline_kernelINS0_14default_configENS1_21merge_config_selectorIiNS0_10empty_typeEEEZNS1_10merge_implIS3_N6thrust23THRUST_200600_302600_NS6detail15normal_iteratorINS9_10device_ptrIKiEEEESF_NS9_16discard_iteratorINS9_11use_defaultEEEPS5_SJ_SJ_NS9_4lessIiEEEE10hipError_tPvRmT0_T1_T2_T3_T4_T5_mmT6_P12ihipStream_tbEUlT_E0_NS1_11comp_targetILNS1_3genE8ELNS1_11target_archE1030ELNS1_3gpuE2ELNS1_3repE0EEENS1_30default_config_static_selectorELNS0_4arch9wavefront6targetE1EEEvSQ_, .Lfunc_end442-_ZN7rocprim17ROCPRIM_400000_NS6detail17trampoline_kernelINS0_14default_configENS1_21merge_config_selectorIiNS0_10empty_typeEEEZNS1_10merge_implIS3_N6thrust23THRUST_200600_302600_NS6detail15normal_iteratorINS9_10device_ptrIKiEEEESF_NS9_16discard_iteratorINS9_11use_defaultEEEPS5_SJ_SJ_NS9_4lessIiEEEE10hipError_tPvRmT0_T1_T2_T3_T4_T5_mmT6_P12ihipStream_tbEUlT_E0_NS1_11comp_targetILNS1_3genE8ELNS1_11target_archE1030ELNS1_3gpuE2ELNS1_3repE0EEENS1_30default_config_static_selectorELNS0_4arch9wavefront6targetE1EEEvSQ_
                                        ; -- End function
	.section	.AMDGPU.csdata,"",@progbits
; Kernel info:
; codeLenInByte = 0
; NumSgprs: 4
; NumVgprs: 0
; NumAgprs: 0
; TotalNumVgprs: 0
; ScratchSize: 0
; MemoryBound: 0
; FloatMode: 240
; IeeeMode: 1
; LDSByteSize: 0 bytes/workgroup (compile time only)
; SGPRBlocks: 0
; VGPRBlocks: 0
; NumSGPRsForWavesPerEU: 4
; NumVGPRsForWavesPerEU: 1
; AccumOffset: 4
; Occupancy: 8
; WaveLimiterHint : 0
; COMPUTE_PGM_RSRC2:SCRATCH_EN: 0
; COMPUTE_PGM_RSRC2:USER_SGPR: 6
; COMPUTE_PGM_RSRC2:TRAP_HANDLER: 0
; COMPUTE_PGM_RSRC2:TGID_X_EN: 1
; COMPUTE_PGM_RSRC2:TGID_Y_EN: 0
; COMPUTE_PGM_RSRC2:TGID_Z_EN: 0
; COMPUTE_PGM_RSRC2:TIDIG_COMP_CNT: 0
; COMPUTE_PGM_RSRC3_GFX90A:ACCUM_OFFSET: 0
; COMPUTE_PGM_RSRC3_GFX90A:TG_SPLIT: 0
	.section	.text._ZN7rocprim17ROCPRIM_400000_NS6detail17trampoline_kernelINS0_14default_configENS1_21merge_config_selectorIsNS0_10empty_typeEEEZNS1_10merge_implIS3_N6thrust23THRUST_200600_302600_NS6detail15normal_iteratorINS9_10device_ptrIKsEEEESF_NS9_16discard_iteratorINS9_11use_defaultEEEPS5_SJ_SJ_NS9_4lessIsEEEE10hipError_tPvRmT0_T1_T2_T3_T4_T5_mmT6_P12ihipStream_tbEUlT_E_NS1_11comp_targetILNS1_3genE0ELNS1_11target_archE4294967295ELNS1_3gpuE0ELNS1_3repE0EEENS1_30default_config_static_selectorELNS0_4arch9wavefront6targetE1EEEvSQ_,"axG",@progbits,_ZN7rocprim17ROCPRIM_400000_NS6detail17trampoline_kernelINS0_14default_configENS1_21merge_config_selectorIsNS0_10empty_typeEEEZNS1_10merge_implIS3_N6thrust23THRUST_200600_302600_NS6detail15normal_iteratorINS9_10device_ptrIKsEEEESF_NS9_16discard_iteratorINS9_11use_defaultEEEPS5_SJ_SJ_NS9_4lessIsEEEE10hipError_tPvRmT0_T1_T2_T3_T4_T5_mmT6_P12ihipStream_tbEUlT_E_NS1_11comp_targetILNS1_3genE0ELNS1_11target_archE4294967295ELNS1_3gpuE0ELNS1_3repE0EEENS1_30default_config_static_selectorELNS0_4arch9wavefront6targetE1EEEvSQ_,comdat
	.protected	_ZN7rocprim17ROCPRIM_400000_NS6detail17trampoline_kernelINS0_14default_configENS1_21merge_config_selectorIsNS0_10empty_typeEEEZNS1_10merge_implIS3_N6thrust23THRUST_200600_302600_NS6detail15normal_iteratorINS9_10device_ptrIKsEEEESF_NS9_16discard_iteratorINS9_11use_defaultEEEPS5_SJ_SJ_NS9_4lessIsEEEE10hipError_tPvRmT0_T1_T2_T3_T4_T5_mmT6_P12ihipStream_tbEUlT_E_NS1_11comp_targetILNS1_3genE0ELNS1_11target_archE4294967295ELNS1_3gpuE0ELNS1_3repE0EEENS1_30default_config_static_selectorELNS0_4arch9wavefront6targetE1EEEvSQ_ ; -- Begin function _ZN7rocprim17ROCPRIM_400000_NS6detail17trampoline_kernelINS0_14default_configENS1_21merge_config_selectorIsNS0_10empty_typeEEEZNS1_10merge_implIS3_N6thrust23THRUST_200600_302600_NS6detail15normal_iteratorINS9_10device_ptrIKsEEEESF_NS9_16discard_iteratorINS9_11use_defaultEEEPS5_SJ_SJ_NS9_4lessIsEEEE10hipError_tPvRmT0_T1_T2_T3_T4_T5_mmT6_P12ihipStream_tbEUlT_E_NS1_11comp_targetILNS1_3genE0ELNS1_11target_archE4294967295ELNS1_3gpuE0ELNS1_3repE0EEENS1_30default_config_static_selectorELNS0_4arch9wavefront6targetE1EEEvSQ_
	.globl	_ZN7rocprim17ROCPRIM_400000_NS6detail17trampoline_kernelINS0_14default_configENS1_21merge_config_selectorIsNS0_10empty_typeEEEZNS1_10merge_implIS3_N6thrust23THRUST_200600_302600_NS6detail15normal_iteratorINS9_10device_ptrIKsEEEESF_NS9_16discard_iteratorINS9_11use_defaultEEEPS5_SJ_SJ_NS9_4lessIsEEEE10hipError_tPvRmT0_T1_T2_T3_T4_T5_mmT6_P12ihipStream_tbEUlT_E_NS1_11comp_targetILNS1_3genE0ELNS1_11target_archE4294967295ELNS1_3gpuE0ELNS1_3repE0EEENS1_30default_config_static_selectorELNS0_4arch9wavefront6targetE1EEEvSQ_
	.p2align	8
	.type	_ZN7rocprim17ROCPRIM_400000_NS6detail17trampoline_kernelINS0_14default_configENS1_21merge_config_selectorIsNS0_10empty_typeEEEZNS1_10merge_implIS3_N6thrust23THRUST_200600_302600_NS6detail15normal_iteratorINS9_10device_ptrIKsEEEESF_NS9_16discard_iteratorINS9_11use_defaultEEEPS5_SJ_SJ_NS9_4lessIsEEEE10hipError_tPvRmT0_T1_T2_T3_T4_T5_mmT6_P12ihipStream_tbEUlT_E_NS1_11comp_targetILNS1_3genE0ELNS1_11target_archE4294967295ELNS1_3gpuE0ELNS1_3repE0EEENS1_30default_config_static_selectorELNS0_4arch9wavefront6targetE1EEEvSQ_,@function
_ZN7rocprim17ROCPRIM_400000_NS6detail17trampoline_kernelINS0_14default_configENS1_21merge_config_selectorIsNS0_10empty_typeEEEZNS1_10merge_implIS3_N6thrust23THRUST_200600_302600_NS6detail15normal_iteratorINS9_10device_ptrIKsEEEESF_NS9_16discard_iteratorINS9_11use_defaultEEEPS5_SJ_SJ_NS9_4lessIsEEEE10hipError_tPvRmT0_T1_T2_T3_T4_T5_mmT6_P12ihipStream_tbEUlT_E_NS1_11comp_targetILNS1_3genE0ELNS1_11target_archE4294967295ELNS1_3gpuE0ELNS1_3repE0EEENS1_30default_config_static_selectorELNS0_4arch9wavefront6targetE1EEEvSQ_: ; @_ZN7rocprim17ROCPRIM_400000_NS6detail17trampoline_kernelINS0_14default_configENS1_21merge_config_selectorIsNS0_10empty_typeEEEZNS1_10merge_implIS3_N6thrust23THRUST_200600_302600_NS6detail15normal_iteratorINS9_10device_ptrIKsEEEESF_NS9_16discard_iteratorINS9_11use_defaultEEEPS5_SJ_SJ_NS9_4lessIsEEEE10hipError_tPvRmT0_T1_T2_T3_T4_T5_mmT6_P12ihipStream_tbEUlT_E_NS1_11comp_targetILNS1_3genE0ELNS1_11target_archE4294967295ELNS1_3gpuE0ELNS1_3repE0EEENS1_30default_config_static_selectorELNS0_4arch9wavefront6targetE1EEEvSQ_
; %bb.0:
	.section	.rodata,"a",@progbits
	.p2align	6, 0x0
	.amdhsa_kernel _ZN7rocprim17ROCPRIM_400000_NS6detail17trampoline_kernelINS0_14default_configENS1_21merge_config_selectorIsNS0_10empty_typeEEEZNS1_10merge_implIS3_N6thrust23THRUST_200600_302600_NS6detail15normal_iteratorINS9_10device_ptrIKsEEEESF_NS9_16discard_iteratorINS9_11use_defaultEEEPS5_SJ_SJ_NS9_4lessIsEEEE10hipError_tPvRmT0_T1_T2_T3_T4_T5_mmT6_P12ihipStream_tbEUlT_E_NS1_11comp_targetILNS1_3genE0ELNS1_11target_archE4294967295ELNS1_3gpuE0ELNS1_3repE0EEENS1_30default_config_static_selectorELNS0_4arch9wavefront6targetE1EEEvSQ_
		.amdhsa_group_segment_fixed_size 0
		.amdhsa_private_segment_fixed_size 0
		.amdhsa_kernarg_size 48
		.amdhsa_user_sgpr_count 6
		.amdhsa_user_sgpr_private_segment_buffer 1
		.amdhsa_user_sgpr_dispatch_ptr 0
		.amdhsa_user_sgpr_queue_ptr 0
		.amdhsa_user_sgpr_kernarg_segment_ptr 1
		.amdhsa_user_sgpr_dispatch_id 0
		.amdhsa_user_sgpr_flat_scratch_init 0
		.amdhsa_user_sgpr_kernarg_preload_length 0
		.amdhsa_user_sgpr_kernarg_preload_offset 0
		.amdhsa_user_sgpr_private_segment_size 0
		.amdhsa_uses_dynamic_stack 0
		.amdhsa_system_sgpr_private_segment_wavefront_offset 0
		.amdhsa_system_sgpr_workgroup_id_x 1
		.amdhsa_system_sgpr_workgroup_id_y 0
		.amdhsa_system_sgpr_workgroup_id_z 0
		.amdhsa_system_sgpr_workgroup_info 0
		.amdhsa_system_vgpr_workitem_id 0
		.amdhsa_next_free_vgpr 1
		.amdhsa_next_free_sgpr 0
		.amdhsa_accum_offset 4
		.amdhsa_reserve_vcc 0
		.amdhsa_reserve_flat_scratch 0
		.amdhsa_float_round_mode_32 0
		.amdhsa_float_round_mode_16_64 0
		.amdhsa_float_denorm_mode_32 3
		.amdhsa_float_denorm_mode_16_64 3
		.amdhsa_dx10_clamp 1
		.amdhsa_ieee_mode 1
		.amdhsa_fp16_overflow 0
		.amdhsa_tg_split 0
		.amdhsa_exception_fp_ieee_invalid_op 0
		.amdhsa_exception_fp_denorm_src 0
		.amdhsa_exception_fp_ieee_div_zero 0
		.amdhsa_exception_fp_ieee_overflow 0
		.amdhsa_exception_fp_ieee_underflow 0
		.amdhsa_exception_fp_ieee_inexact 0
		.amdhsa_exception_int_div_zero 0
	.end_amdhsa_kernel
	.section	.text._ZN7rocprim17ROCPRIM_400000_NS6detail17trampoline_kernelINS0_14default_configENS1_21merge_config_selectorIsNS0_10empty_typeEEEZNS1_10merge_implIS3_N6thrust23THRUST_200600_302600_NS6detail15normal_iteratorINS9_10device_ptrIKsEEEESF_NS9_16discard_iteratorINS9_11use_defaultEEEPS5_SJ_SJ_NS9_4lessIsEEEE10hipError_tPvRmT0_T1_T2_T3_T4_T5_mmT6_P12ihipStream_tbEUlT_E_NS1_11comp_targetILNS1_3genE0ELNS1_11target_archE4294967295ELNS1_3gpuE0ELNS1_3repE0EEENS1_30default_config_static_selectorELNS0_4arch9wavefront6targetE1EEEvSQ_,"axG",@progbits,_ZN7rocprim17ROCPRIM_400000_NS6detail17trampoline_kernelINS0_14default_configENS1_21merge_config_selectorIsNS0_10empty_typeEEEZNS1_10merge_implIS3_N6thrust23THRUST_200600_302600_NS6detail15normal_iteratorINS9_10device_ptrIKsEEEESF_NS9_16discard_iteratorINS9_11use_defaultEEEPS5_SJ_SJ_NS9_4lessIsEEEE10hipError_tPvRmT0_T1_T2_T3_T4_T5_mmT6_P12ihipStream_tbEUlT_E_NS1_11comp_targetILNS1_3genE0ELNS1_11target_archE4294967295ELNS1_3gpuE0ELNS1_3repE0EEENS1_30default_config_static_selectorELNS0_4arch9wavefront6targetE1EEEvSQ_,comdat
.Lfunc_end443:
	.size	_ZN7rocprim17ROCPRIM_400000_NS6detail17trampoline_kernelINS0_14default_configENS1_21merge_config_selectorIsNS0_10empty_typeEEEZNS1_10merge_implIS3_N6thrust23THRUST_200600_302600_NS6detail15normal_iteratorINS9_10device_ptrIKsEEEESF_NS9_16discard_iteratorINS9_11use_defaultEEEPS5_SJ_SJ_NS9_4lessIsEEEE10hipError_tPvRmT0_T1_T2_T3_T4_T5_mmT6_P12ihipStream_tbEUlT_E_NS1_11comp_targetILNS1_3genE0ELNS1_11target_archE4294967295ELNS1_3gpuE0ELNS1_3repE0EEENS1_30default_config_static_selectorELNS0_4arch9wavefront6targetE1EEEvSQ_, .Lfunc_end443-_ZN7rocprim17ROCPRIM_400000_NS6detail17trampoline_kernelINS0_14default_configENS1_21merge_config_selectorIsNS0_10empty_typeEEEZNS1_10merge_implIS3_N6thrust23THRUST_200600_302600_NS6detail15normal_iteratorINS9_10device_ptrIKsEEEESF_NS9_16discard_iteratorINS9_11use_defaultEEEPS5_SJ_SJ_NS9_4lessIsEEEE10hipError_tPvRmT0_T1_T2_T3_T4_T5_mmT6_P12ihipStream_tbEUlT_E_NS1_11comp_targetILNS1_3genE0ELNS1_11target_archE4294967295ELNS1_3gpuE0ELNS1_3repE0EEENS1_30default_config_static_selectorELNS0_4arch9wavefront6targetE1EEEvSQ_
                                        ; -- End function
	.section	.AMDGPU.csdata,"",@progbits
; Kernel info:
; codeLenInByte = 0
; NumSgprs: 4
; NumVgprs: 0
; NumAgprs: 0
; TotalNumVgprs: 0
; ScratchSize: 0
; MemoryBound: 0
; FloatMode: 240
; IeeeMode: 1
; LDSByteSize: 0 bytes/workgroup (compile time only)
; SGPRBlocks: 0
; VGPRBlocks: 0
; NumSGPRsForWavesPerEU: 4
; NumVGPRsForWavesPerEU: 1
; AccumOffset: 4
; Occupancy: 8
; WaveLimiterHint : 0
; COMPUTE_PGM_RSRC2:SCRATCH_EN: 0
; COMPUTE_PGM_RSRC2:USER_SGPR: 6
; COMPUTE_PGM_RSRC2:TRAP_HANDLER: 0
; COMPUTE_PGM_RSRC2:TGID_X_EN: 1
; COMPUTE_PGM_RSRC2:TGID_Y_EN: 0
; COMPUTE_PGM_RSRC2:TGID_Z_EN: 0
; COMPUTE_PGM_RSRC2:TIDIG_COMP_CNT: 0
; COMPUTE_PGM_RSRC3_GFX90A:ACCUM_OFFSET: 0
; COMPUTE_PGM_RSRC3_GFX90A:TG_SPLIT: 0
	.section	.text._ZN7rocprim17ROCPRIM_400000_NS6detail17trampoline_kernelINS0_14default_configENS1_21merge_config_selectorIsNS0_10empty_typeEEEZNS1_10merge_implIS3_N6thrust23THRUST_200600_302600_NS6detail15normal_iteratorINS9_10device_ptrIKsEEEESF_NS9_16discard_iteratorINS9_11use_defaultEEEPS5_SJ_SJ_NS9_4lessIsEEEE10hipError_tPvRmT0_T1_T2_T3_T4_T5_mmT6_P12ihipStream_tbEUlT_E_NS1_11comp_targetILNS1_3genE5ELNS1_11target_archE942ELNS1_3gpuE9ELNS1_3repE0EEENS1_30default_config_static_selectorELNS0_4arch9wavefront6targetE1EEEvSQ_,"axG",@progbits,_ZN7rocprim17ROCPRIM_400000_NS6detail17trampoline_kernelINS0_14default_configENS1_21merge_config_selectorIsNS0_10empty_typeEEEZNS1_10merge_implIS3_N6thrust23THRUST_200600_302600_NS6detail15normal_iteratorINS9_10device_ptrIKsEEEESF_NS9_16discard_iteratorINS9_11use_defaultEEEPS5_SJ_SJ_NS9_4lessIsEEEE10hipError_tPvRmT0_T1_T2_T3_T4_T5_mmT6_P12ihipStream_tbEUlT_E_NS1_11comp_targetILNS1_3genE5ELNS1_11target_archE942ELNS1_3gpuE9ELNS1_3repE0EEENS1_30default_config_static_selectorELNS0_4arch9wavefront6targetE1EEEvSQ_,comdat
	.protected	_ZN7rocprim17ROCPRIM_400000_NS6detail17trampoline_kernelINS0_14default_configENS1_21merge_config_selectorIsNS0_10empty_typeEEEZNS1_10merge_implIS3_N6thrust23THRUST_200600_302600_NS6detail15normal_iteratorINS9_10device_ptrIKsEEEESF_NS9_16discard_iteratorINS9_11use_defaultEEEPS5_SJ_SJ_NS9_4lessIsEEEE10hipError_tPvRmT0_T1_T2_T3_T4_T5_mmT6_P12ihipStream_tbEUlT_E_NS1_11comp_targetILNS1_3genE5ELNS1_11target_archE942ELNS1_3gpuE9ELNS1_3repE0EEENS1_30default_config_static_selectorELNS0_4arch9wavefront6targetE1EEEvSQ_ ; -- Begin function _ZN7rocprim17ROCPRIM_400000_NS6detail17trampoline_kernelINS0_14default_configENS1_21merge_config_selectorIsNS0_10empty_typeEEEZNS1_10merge_implIS3_N6thrust23THRUST_200600_302600_NS6detail15normal_iteratorINS9_10device_ptrIKsEEEESF_NS9_16discard_iteratorINS9_11use_defaultEEEPS5_SJ_SJ_NS9_4lessIsEEEE10hipError_tPvRmT0_T1_T2_T3_T4_T5_mmT6_P12ihipStream_tbEUlT_E_NS1_11comp_targetILNS1_3genE5ELNS1_11target_archE942ELNS1_3gpuE9ELNS1_3repE0EEENS1_30default_config_static_selectorELNS0_4arch9wavefront6targetE1EEEvSQ_
	.globl	_ZN7rocprim17ROCPRIM_400000_NS6detail17trampoline_kernelINS0_14default_configENS1_21merge_config_selectorIsNS0_10empty_typeEEEZNS1_10merge_implIS3_N6thrust23THRUST_200600_302600_NS6detail15normal_iteratorINS9_10device_ptrIKsEEEESF_NS9_16discard_iteratorINS9_11use_defaultEEEPS5_SJ_SJ_NS9_4lessIsEEEE10hipError_tPvRmT0_T1_T2_T3_T4_T5_mmT6_P12ihipStream_tbEUlT_E_NS1_11comp_targetILNS1_3genE5ELNS1_11target_archE942ELNS1_3gpuE9ELNS1_3repE0EEENS1_30default_config_static_selectorELNS0_4arch9wavefront6targetE1EEEvSQ_
	.p2align	8
	.type	_ZN7rocprim17ROCPRIM_400000_NS6detail17trampoline_kernelINS0_14default_configENS1_21merge_config_selectorIsNS0_10empty_typeEEEZNS1_10merge_implIS3_N6thrust23THRUST_200600_302600_NS6detail15normal_iteratorINS9_10device_ptrIKsEEEESF_NS9_16discard_iteratorINS9_11use_defaultEEEPS5_SJ_SJ_NS9_4lessIsEEEE10hipError_tPvRmT0_T1_T2_T3_T4_T5_mmT6_P12ihipStream_tbEUlT_E_NS1_11comp_targetILNS1_3genE5ELNS1_11target_archE942ELNS1_3gpuE9ELNS1_3repE0EEENS1_30default_config_static_selectorELNS0_4arch9wavefront6targetE1EEEvSQ_,@function
_ZN7rocprim17ROCPRIM_400000_NS6detail17trampoline_kernelINS0_14default_configENS1_21merge_config_selectorIsNS0_10empty_typeEEEZNS1_10merge_implIS3_N6thrust23THRUST_200600_302600_NS6detail15normal_iteratorINS9_10device_ptrIKsEEEESF_NS9_16discard_iteratorINS9_11use_defaultEEEPS5_SJ_SJ_NS9_4lessIsEEEE10hipError_tPvRmT0_T1_T2_T3_T4_T5_mmT6_P12ihipStream_tbEUlT_E_NS1_11comp_targetILNS1_3genE5ELNS1_11target_archE942ELNS1_3gpuE9ELNS1_3repE0EEENS1_30default_config_static_selectorELNS0_4arch9wavefront6targetE1EEEvSQ_: ; @_ZN7rocprim17ROCPRIM_400000_NS6detail17trampoline_kernelINS0_14default_configENS1_21merge_config_selectorIsNS0_10empty_typeEEEZNS1_10merge_implIS3_N6thrust23THRUST_200600_302600_NS6detail15normal_iteratorINS9_10device_ptrIKsEEEESF_NS9_16discard_iteratorINS9_11use_defaultEEEPS5_SJ_SJ_NS9_4lessIsEEEE10hipError_tPvRmT0_T1_T2_T3_T4_T5_mmT6_P12ihipStream_tbEUlT_E_NS1_11comp_targetILNS1_3genE5ELNS1_11target_archE942ELNS1_3gpuE9ELNS1_3repE0EEENS1_30default_config_static_selectorELNS0_4arch9wavefront6targetE1EEEvSQ_
; %bb.0:
	.section	.rodata,"a",@progbits
	.p2align	6, 0x0
	.amdhsa_kernel _ZN7rocprim17ROCPRIM_400000_NS6detail17trampoline_kernelINS0_14default_configENS1_21merge_config_selectorIsNS0_10empty_typeEEEZNS1_10merge_implIS3_N6thrust23THRUST_200600_302600_NS6detail15normal_iteratorINS9_10device_ptrIKsEEEESF_NS9_16discard_iteratorINS9_11use_defaultEEEPS5_SJ_SJ_NS9_4lessIsEEEE10hipError_tPvRmT0_T1_T2_T3_T4_T5_mmT6_P12ihipStream_tbEUlT_E_NS1_11comp_targetILNS1_3genE5ELNS1_11target_archE942ELNS1_3gpuE9ELNS1_3repE0EEENS1_30default_config_static_selectorELNS0_4arch9wavefront6targetE1EEEvSQ_
		.amdhsa_group_segment_fixed_size 0
		.amdhsa_private_segment_fixed_size 0
		.amdhsa_kernarg_size 48
		.amdhsa_user_sgpr_count 6
		.amdhsa_user_sgpr_private_segment_buffer 1
		.amdhsa_user_sgpr_dispatch_ptr 0
		.amdhsa_user_sgpr_queue_ptr 0
		.amdhsa_user_sgpr_kernarg_segment_ptr 1
		.amdhsa_user_sgpr_dispatch_id 0
		.amdhsa_user_sgpr_flat_scratch_init 0
		.amdhsa_user_sgpr_kernarg_preload_length 0
		.amdhsa_user_sgpr_kernarg_preload_offset 0
		.amdhsa_user_sgpr_private_segment_size 0
		.amdhsa_uses_dynamic_stack 0
		.amdhsa_system_sgpr_private_segment_wavefront_offset 0
		.amdhsa_system_sgpr_workgroup_id_x 1
		.amdhsa_system_sgpr_workgroup_id_y 0
		.amdhsa_system_sgpr_workgroup_id_z 0
		.amdhsa_system_sgpr_workgroup_info 0
		.amdhsa_system_vgpr_workitem_id 0
		.amdhsa_next_free_vgpr 1
		.amdhsa_next_free_sgpr 0
		.amdhsa_accum_offset 4
		.amdhsa_reserve_vcc 0
		.amdhsa_reserve_flat_scratch 0
		.amdhsa_float_round_mode_32 0
		.amdhsa_float_round_mode_16_64 0
		.amdhsa_float_denorm_mode_32 3
		.amdhsa_float_denorm_mode_16_64 3
		.amdhsa_dx10_clamp 1
		.amdhsa_ieee_mode 1
		.amdhsa_fp16_overflow 0
		.amdhsa_tg_split 0
		.amdhsa_exception_fp_ieee_invalid_op 0
		.amdhsa_exception_fp_denorm_src 0
		.amdhsa_exception_fp_ieee_div_zero 0
		.amdhsa_exception_fp_ieee_overflow 0
		.amdhsa_exception_fp_ieee_underflow 0
		.amdhsa_exception_fp_ieee_inexact 0
		.amdhsa_exception_int_div_zero 0
	.end_amdhsa_kernel
	.section	.text._ZN7rocprim17ROCPRIM_400000_NS6detail17trampoline_kernelINS0_14default_configENS1_21merge_config_selectorIsNS0_10empty_typeEEEZNS1_10merge_implIS3_N6thrust23THRUST_200600_302600_NS6detail15normal_iteratorINS9_10device_ptrIKsEEEESF_NS9_16discard_iteratorINS9_11use_defaultEEEPS5_SJ_SJ_NS9_4lessIsEEEE10hipError_tPvRmT0_T1_T2_T3_T4_T5_mmT6_P12ihipStream_tbEUlT_E_NS1_11comp_targetILNS1_3genE5ELNS1_11target_archE942ELNS1_3gpuE9ELNS1_3repE0EEENS1_30default_config_static_selectorELNS0_4arch9wavefront6targetE1EEEvSQ_,"axG",@progbits,_ZN7rocprim17ROCPRIM_400000_NS6detail17trampoline_kernelINS0_14default_configENS1_21merge_config_selectorIsNS0_10empty_typeEEEZNS1_10merge_implIS3_N6thrust23THRUST_200600_302600_NS6detail15normal_iteratorINS9_10device_ptrIKsEEEESF_NS9_16discard_iteratorINS9_11use_defaultEEEPS5_SJ_SJ_NS9_4lessIsEEEE10hipError_tPvRmT0_T1_T2_T3_T4_T5_mmT6_P12ihipStream_tbEUlT_E_NS1_11comp_targetILNS1_3genE5ELNS1_11target_archE942ELNS1_3gpuE9ELNS1_3repE0EEENS1_30default_config_static_selectorELNS0_4arch9wavefront6targetE1EEEvSQ_,comdat
.Lfunc_end444:
	.size	_ZN7rocprim17ROCPRIM_400000_NS6detail17trampoline_kernelINS0_14default_configENS1_21merge_config_selectorIsNS0_10empty_typeEEEZNS1_10merge_implIS3_N6thrust23THRUST_200600_302600_NS6detail15normal_iteratorINS9_10device_ptrIKsEEEESF_NS9_16discard_iteratorINS9_11use_defaultEEEPS5_SJ_SJ_NS9_4lessIsEEEE10hipError_tPvRmT0_T1_T2_T3_T4_T5_mmT6_P12ihipStream_tbEUlT_E_NS1_11comp_targetILNS1_3genE5ELNS1_11target_archE942ELNS1_3gpuE9ELNS1_3repE0EEENS1_30default_config_static_selectorELNS0_4arch9wavefront6targetE1EEEvSQ_, .Lfunc_end444-_ZN7rocprim17ROCPRIM_400000_NS6detail17trampoline_kernelINS0_14default_configENS1_21merge_config_selectorIsNS0_10empty_typeEEEZNS1_10merge_implIS3_N6thrust23THRUST_200600_302600_NS6detail15normal_iteratorINS9_10device_ptrIKsEEEESF_NS9_16discard_iteratorINS9_11use_defaultEEEPS5_SJ_SJ_NS9_4lessIsEEEE10hipError_tPvRmT0_T1_T2_T3_T4_T5_mmT6_P12ihipStream_tbEUlT_E_NS1_11comp_targetILNS1_3genE5ELNS1_11target_archE942ELNS1_3gpuE9ELNS1_3repE0EEENS1_30default_config_static_selectorELNS0_4arch9wavefront6targetE1EEEvSQ_
                                        ; -- End function
	.section	.AMDGPU.csdata,"",@progbits
; Kernel info:
; codeLenInByte = 0
; NumSgprs: 4
; NumVgprs: 0
; NumAgprs: 0
; TotalNumVgprs: 0
; ScratchSize: 0
; MemoryBound: 0
; FloatMode: 240
; IeeeMode: 1
; LDSByteSize: 0 bytes/workgroup (compile time only)
; SGPRBlocks: 0
; VGPRBlocks: 0
; NumSGPRsForWavesPerEU: 4
; NumVGPRsForWavesPerEU: 1
; AccumOffset: 4
; Occupancy: 8
; WaveLimiterHint : 0
; COMPUTE_PGM_RSRC2:SCRATCH_EN: 0
; COMPUTE_PGM_RSRC2:USER_SGPR: 6
; COMPUTE_PGM_RSRC2:TRAP_HANDLER: 0
; COMPUTE_PGM_RSRC2:TGID_X_EN: 1
; COMPUTE_PGM_RSRC2:TGID_Y_EN: 0
; COMPUTE_PGM_RSRC2:TGID_Z_EN: 0
; COMPUTE_PGM_RSRC2:TIDIG_COMP_CNT: 0
; COMPUTE_PGM_RSRC3_GFX90A:ACCUM_OFFSET: 0
; COMPUTE_PGM_RSRC3_GFX90A:TG_SPLIT: 0
	.section	.text._ZN7rocprim17ROCPRIM_400000_NS6detail17trampoline_kernelINS0_14default_configENS1_21merge_config_selectorIsNS0_10empty_typeEEEZNS1_10merge_implIS3_N6thrust23THRUST_200600_302600_NS6detail15normal_iteratorINS9_10device_ptrIKsEEEESF_NS9_16discard_iteratorINS9_11use_defaultEEEPS5_SJ_SJ_NS9_4lessIsEEEE10hipError_tPvRmT0_T1_T2_T3_T4_T5_mmT6_P12ihipStream_tbEUlT_E_NS1_11comp_targetILNS1_3genE4ELNS1_11target_archE910ELNS1_3gpuE8ELNS1_3repE0EEENS1_30default_config_static_selectorELNS0_4arch9wavefront6targetE1EEEvSQ_,"axG",@progbits,_ZN7rocprim17ROCPRIM_400000_NS6detail17trampoline_kernelINS0_14default_configENS1_21merge_config_selectorIsNS0_10empty_typeEEEZNS1_10merge_implIS3_N6thrust23THRUST_200600_302600_NS6detail15normal_iteratorINS9_10device_ptrIKsEEEESF_NS9_16discard_iteratorINS9_11use_defaultEEEPS5_SJ_SJ_NS9_4lessIsEEEE10hipError_tPvRmT0_T1_T2_T3_T4_T5_mmT6_P12ihipStream_tbEUlT_E_NS1_11comp_targetILNS1_3genE4ELNS1_11target_archE910ELNS1_3gpuE8ELNS1_3repE0EEENS1_30default_config_static_selectorELNS0_4arch9wavefront6targetE1EEEvSQ_,comdat
	.protected	_ZN7rocprim17ROCPRIM_400000_NS6detail17trampoline_kernelINS0_14default_configENS1_21merge_config_selectorIsNS0_10empty_typeEEEZNS1_10merge_implIS3_N6thrust23THRUST_200600_302600_NS6detail15normal_iteratorINS9_10device_ptrIKsEEEESF_NS9_16discard_iteratorINS9_11use_defaultEEEPS5_SJ_SJ_NS9_4lessIsEEEE10hipError_tPvRmT0_T1_T2_T3_T4_T5_mmT6_P12ihipStream_tbEUlT_E_NS1_11comp_targetILNS1_3genE4ELNS1_11target_archE910ELNS1_3gpuE8ELNS1_3repE0EEENS1_30default_config_static_selectorELNS0_4arch9wavefront6targetE1EEEvSQ_ ; -- Begin function _ZN7rocprim17ROCPRIM_400000_NS6detail17trampoline_kernelINS0_14default_configENS1_21merge_config_selectorIsNS0_10empty_typeEEEZNS1_10merge_implIS3_N6thrust23THRUST_200600_302600_NS6detail15normal_iteratorINS9_10device_ptrIKsEEEESF_NS9_16discard_iteratorINS9_11use_defaultEEEPS5_SJ_SJ_NS9_4lessIsEEEE10hipError_tPvRmT0_T1_T2_T3_T4_T5_mmT6_P12ihipStream_tbEUlT_E_NS1_11comp_targetILNS1_3genE4ELNS1_11target_archE910ELNS1_3gpuE8ELNS1_3repE0EEENS1_30default_config_static_selectorELNS0_4arch9wavefront6targetE1EEEvSQ_
	.globl	_ZN7rocprim17ROCPRIM_400000_NS6detail17trampoline_kernelINS0_14default_configENS1_21merge_config_selectorIsNS0_10empty_typeEEEZNS1_10merge_implIS3_N6thrust23THRUST_200600_302600_NS6detail15normal_iteratorINS9_10device_ptrIKsEEEESF_NS9_16discard_iteratorINS9_11use_defaultEEEPS5_SJ_SJ_NS9_4lessIsEEEE10hipError_tPvRmT0_T1_T2_T3_T4_T5_mmT6_P12ihipStream_tbEUlT_E_NS1_11comp_targetILNS1_3genE4ELNS1_11target_archE910ELNS1_3gpuE8ELNS1_3repE0EEENS1_30default_config_static_selectorELNS0_4arch9wavefront6targetE1EEEvSQ_
	.p2align	8
	.type	_ZN7rocprim17ROCPRIM_400000_NS6detail17trampoline_kernelINS0_14default_configENS1_21merge_config_selectorIsNS0_10empty_typeEEEZNS1_10merge_implIS3_N6thrust23THRUST_200600_302600_NS6detail15normal_iteratorINS9_10device_ptrIKsEEEESF_NS9_16discard_iteratorINS9_11use_defaultEEEPS5_SJ_SJ_NS9_4lessIsEEEE10hipError_tPvRmT0_T1_T2_T3_T4_T5_mmT6_P12ihipStream_tbEUlT_E_NS1_11comp_targetILNS1_3genE4ELNS1_11target_archE910ELNS1_3gpuE8ELNS1_3repE0EEENS1_30default_config_static_selectorELNS0_4arch9wavefront6targetE1EEEvSQ_,@function
_ZN7rocprim17ROCPRIM_400000_NS6detail17trampoline_kernelINS0_14default_configENS1_21merge_config_selectorIsNS0_10empty_typeEEEZNS1_10merge_implIS3_N6thrust23THRUST_200600_302600_NS6detail15normal_iteratorINS9_10device_ptrIKsEEEESF_NS9_16discard_iteratorINS9_11use_defaultEEEPS5_SJ_SJ_NS9_4lessIsEEEE10hipError_tPvRmT0_T1_T2_T3_T4_T5_mmT6_P12ihipStream_tbEUlT_E_NS1_11comp_targetILNS1_3genE4ELNS1_11target_archE910ELNS1_3gpuE8ELNS1_3repE0EEENS1_30default_config_static_selectorELNS0_4arch9wavefront6targetE1EEEvSQ_: ; @_ZN7rocprim17ROCPRIM_400000_NS6detail17trampoline_kernelINS0_14default_configENS1_21merge_config_selectorIsNS0_10empty_typeEEEZNS1_10merge_implIS3_N6thrust23THRUST_200600_302600_NS6detail15normal_iteratorINS9_10device_ptrIKsEEEESF_NS9_16discard_iteratorINS9_11use_defaultEEEPS5_SJ_SJ_NS9_4lessIsEEEE10hipError_tPvRmT0_T1_T2_T3_T4_T5_mmT6_P12ihipStream_tbEUlT_E_NS1_11comp_targetILNS1_3genE4ELNS1_11target_archE910ELNS1_3gpuE8ELNS1_3repE0EEENS1_30default_config_static_selectorELNS0_4arch9wavefront6targetE1EEEvSQ_
; %bb.0:
	s_load_dword s7, s[4:5], 0x28
	s_load_dword s0, s[4:5], 0x3c
	s_load_dwordx4 s[8:11], s[4:5], 0x18
	s_waitcnt lgkmcnt(0)
	v_cvt_f32_u32_e32 v1, s7
	s_and_b32 s0, s0, 0xffff
	s_add_u32 s12, s10, s8
	s_addc_u32 s13, s11, s9
	v_rcp_iflag_f32_e32 v1, v1
	s_sub_i32 s1, 0, s7
	s_mul_i32 s6, s6, s0
	s_add_i32 s0, s7, s12
	v_mul_f32_e32 v1, 0x4f7ffffe, v1
	v_cvt_u32_f32_e32 v1, v1
	s_add_i32 s0, s0, -1
	v_add_u32_e32 v0, s6, v0
	v_readfirstlane_b32 s2, v1
	s_mul_i32 s1, s1, s2
	s_mul_hi_u32 s1, s2, s1
	s_add_i32 s2, s2, s1
	s_mul_hi_u32 s1, s0, s2
	s_mul_i32 s2, s1, s7
	s_sub_i32 s0, s0, s2
	s_add_i32 s3, s1, 1
	s_sub_i32 s2, s0, s7
	s_cmp_ge_u32 s0, s7
	s_cselect_b32 s1, s3, s1
	s_cselect_b32 s0, s2, s0
	s_add_i32 s2, s1, 1
	s_cmp_ge_u32 s0, s7
	s_cselect_b32 s0, s2, s1
	v_cmp_ge_u32_e32 vcc, s0, v0
	s_and_saveexec_b64 s[0:1], vcc
	s_cbranch_execz .LBB445_6
; %bb.1:
	v_mul_lo_u32 v2, v0, s7
	v_mov_b32_e32 v3, 0
	v_mov_b32_e32 v1, s13
	v_cmp_gt_u64_e32 vcc, s[12:13], v[2:3]
	v_cndmask_b32_e64 v7, v1, 0, vcc
	v_mov_b32_e32 v1, s12
	v_cndmask_b32_e32 v6, v1, v2, vcc
	v_mov_b32_e32 v1, s11
	v_subrev_co_u32_e32 v2, vcc, s10, v6
	v_subb_co_u32_e32 v3, vcc, v7, v1, vcc
	s_load_dwordx4 s[0:3], s[4:5], 0x0
	v_cmp_gt_u64_e32 vcc, v[2:3], v[6:7]
	v_cndmask_b32_e64 v3, v3, 0, vcc
	v_cndmask_b32_e64 v2, v2, 0, vcc
	v_mov_b32_e32 v1, s9
	v_cmp_gt_u64_e32 vcc, s[8:9], v[6:7]
	v_cndmask_b32_e32 v5, v1, v7, vcc
	v_mov_b32_e32 v1, s8
	v_cndmask_b32_e32 v4, v1, v6, vcc
	v_cmp_lt_u64_e32 vcc, v[2:3], v[4:5]
	s_and_saveexec_b64 s[6:7], vcc
	s_cbranch_execz .LBB445_5
; %bb.2:
	s_load_dwordx2 s[4:5], s[4:5], 0x10
	v_lshlrev_b64 v[6:7], 1, v[6:7]
	s_waitcnt lgkmcnt(0)
	v_mov_b32_e32 v8, s5
	v_add_co_u32_e32 v1, vcc, s4, v6
	v_addc_co_u32_e32 v6, vcc, v8, v7, vcc
	s_mov_b64 s[4:5], 0
	v_mov_b32_e32 v7, s3
.LBB445_3:                              ; =>This Inner Loop Header: Depth=1
	v_add_co_u32_e32 v8, vcc, v4, v2
	v_addc_co_u32_e32 v9, vcc, v5, v3, vcc
	v_lshrrev_b64 v[10:11], 1, v[8:9]
	v_and_b32_e32 v8, -2, v8
	v_add_co_u32_e32 v8, vcc, s2, v8
	v_not_b32_e32 v13, v11
	v_not_b32_e32 v12, v10
	v_addc_co_u32_e32 v9, vcc, v7, v9, vcc
	global_load_ushort v14, v[8:9], off
	v_lshlrev_b64 v[8:9], 1, v[12:13]
	v_add_co_u32_e32 v8, vcc, v1, v8
	v_addc_co_u32_e32 v9, vcc, v6, v9, vcc
	global_load_ushort v8, v[8:9], off
	v_add_co_u32_e32 v9, vcc, 1, v10
	v_addc_co_u32_e32 v12, vcc, 0, v11, vcc
	s_waitcnt vmcnt(0)
	v_cmp_lt_i16_e32 vcc, v8, v14
	v_cndmask_b32_e32 v5, v5, v11, vcc
	v_cndmask_b32_e32 v4, v4, v10, vcc
	v_cndmask_b32_e32 v3, v12, v3, vcc
	v_cndmask_b32_e32 v2, v9, v2, vcc
	v_cmp_ge_u64_e32 vcc, v[2:3], v[4:5]
	s_or_b64 s[4:5], vcc, s[4:5]
	s_andn2_b64 exec, exec, s[4:5]
	s_cbranch_execnz .LBB445_3
; %bb.4:
	s_or_b64 exec, exec, s[4:5]
.LBB445_5:
	s_or_b64 exec, exec, s[6:7]
	v_mov_b32_e32 v1, 0
	v_lshlrev_b64 v[0:1], 2, v[0:1]
	s_waitcnt lgkmcnt(0)
	v_mov_b32_e32 v3, s1
	v_add_co_u32_e32 v0, vcc, s0, v0
	v_addc_co_u32_e32 v1, vcc, v3, v1, vcc
	global_store_dword v[0:1], v2, off
.LBB445_6:
	s_endpgm
	.section	.rodata,"a",@progbits
	.p2align	6, 0x0
	.amdhsa_kernel _ZN7rocprim17ROCPRIM_400000_NS6detail17trampoline_kernelINS0_14default_configENS1_21merge_config_selectorIsNS0_10empty_typeEEEZNS1_10merge_implIS3_N6thrust23THRUST_200600_302600_NS6detail15normal_iteratorINS9_10device_ptrIKsEEEESF_NS9_16discard_iteratorINS9_11use_defaultEEEPS5_SJ_SJ_NS9_4lessIsEEEE10hipError_tPvRmT0_T1_T2_T3_T4_T5_mmT6_P12ihipStream_tbEUlT_E_NS1_11comp_targetILNS1_3genE4ELNS1_11target_archE910ELNS1_3gpuE8ELNS1_3repE0EEENS1_30default_config_static_selectorELNS0_4arch9wavefront6targetE1EEEvSQ_
		.amdhsa_group_segment_fixed_size 0
		.amdhsa_private_segment_fixed_size 0
		.amdhsa_kernarg_size 304
		.amdhsa_user_sgpr_count 6
		.amdhsa_user_sgpr_private_segment_buffer 1
		.amdhsa_user_sgpr_dispatch_ptr 0
		.amdhsa_user_sgpr_queue_ptr 0
		.amdhsa_user_sgpr_kernarg_segment_ptr 1
		.amdhsa_user_sgpr_dispatch_id 0
		.amdhsa_user_sgpr_flat_scratch_init 0
		.amdhsa_user_sgpr_kernarg_preload_length 0
		.amdhsa_user_sgpr_kernarg_preload_offset 0
		.amdhsa_user_sgpr_private_segment_size 0
		.amdhsa_uses_dynamic_stack 0
		.amdhsa_system_sgpr_private_segment_wavefront_offset 0
		.amdhsa_system_sgpr_workgroup_id_x 1
		.amdhsa_system_sgpr_workgroup_id_y 0
		.amdhsa_system_sgpr_workgroup_id_z 0
		.amdhsa_system_sgpr_workgroup_info 0
		.amdhsa_system_vgpr_workitem_id 0
		.amdhsa_next_free_vgpr 15
		.amdhsa_next_free_sgpr 14
		.amdhsa_accum_offset 16
		.amdhsa_reserve_vcc 1
		.amdhsa_reserve_flat_scratch 0
		.amdhsa_float_round_mode_32 0
		.amdhsa_float_round_mode_16_64 0
		.amdhsa_float_denorm_mode_32 3
		.amdhsa_float_denorm_mode_16_64 3
		.amdhsa_dx10_clamp 1
		.amdhsa_ieee_mode 1
		.amdhsa_fp16_overflow 0
		.amdhsa_tg_split 0
		.amdhsa_exception_fp_ieee_invalid_op 0
		.amdhsa_exception_fp_denorm_src 0
		.amdhsa_exception_fp_ieee_div_zero 0
		.amdhsa_exception_fp_ieee_overflow 0
		.amdhsa_exception_fp_ieee_underflow 0
		.amdhsa_exception_fp_ieee_inexact 0
		.amdhsa_exception_int_div_zero 0
	.end_amdhsa_kernel
	.section	.text._ZN7rocprim17ROCPRIM_400000_NS6detail17trampoline_kernelINS0_14default_configENS1_21merge_config_selectorIsNS0_10empty_typeEEEZNS1_10merge_implIS3_N6thrust23THRUST_200600_302600_NS6detail15normal_iteratorINS9_10device_ptrIKsEEEESF_NS9_16discard_iteratorINS9_11use_defaultEEEPS5_SJ_SJ_NS9_4lessIsEEEE10hipError_tPvRmT0_T1_T2_T3_T4_T5_mmT6_P12ihipStream_tbEUlT_E_NS1_11comp_targetILNS1_3genE4ELNS1_11target_archE910ELNS1_3gpuE8ELNS1_3repE0EEENS1_30default_config_static_selectorELNS0_4arch9wavefront6targetE1EEEvSQ_,"axG",@progbits,_ZN7rocprim17ROCPRIM_400000_NS6detail17trampoline_kernelINS0_14default_configENS1_21merge_config_selectorIsNS0_10empty_typeEEEZNS1_10merge_implIS3_N6thrust23THRUST_200600_302600_NS6detail15normal_iteratorINS9_10device_ptrIKsEEEESF_NS9_16discard_iteratorINS9_11use_defaultEEEPS5_SJ_SJ_NS9_4lessIsEEEE10hipError_tPvRmT0_T1_T2_T3_T4_T5_mmT6_P12ihipStream_tbEUlT_E_NS1_11comp_targetILNS1_3genE4ELNS1_11target_archE910ELNS1_3gpuE8ELNS1_3repE0EEENS1_30default_config_static_selectorELNS0_4arch9wavefront6targetE1EEEvSQ_,comdat
.Lfunc_end445:
	.size	_ZN7rocprim17ROCPRIM_400000_NS6detail17trampoline_kernelINS0_14default_configENS1_21merge_config_selectorIsNS0_10empty_typeEEEZNS1_10merge_implIS3_N6thrust23THRUST_200600_302600_NS6detail15normal_iteratorINS9_10device_ptrIKsEEEESF_NS9_16discard_iteratorINS9_11use_defaultEEEPS5_SJ_SJ_NS9_4lessIsEEEE10hipError_tPvRmT0_T1_T2_T3_T4_T5_mmT6_P12ihipStream_tbEUlT_E_NS1_11comp_targetILNS1_3genE4ELNS1_11target_archE910ELNS1_3gpuE8ELNS1_3repE0EEENS1_30default_config_static_selectorELNS0_4arch9wavefront6targetE1EEEvSQ_, .Lfunc_end445-_ZN7rocprim17ROCPRIM_400000_NS6detail17trampoline_kernelINS0_14default_configENS1_21merge_config_selectorIsNS0_10empty_typeEEEZNS1_10merge_implIS3_N6thrust23THRUST_200600_302600_NS6detail15normal_iteratorINS9_10device_ptrIKsEEEESF_NS9_16discard_iteratorINS9_11use_defaultEEEPS5_SJ_SJ_NS9_4lessIsEEEE10hipError_tPvRmT0_T1_T2_T3_T4_T5_mmT6_P12ihipStream_tbEUlT_E_NS1_11comp_targetILNS1_3genE4ELNS1_11target_archE910ELNS1_3gpuE8ELNS1_3repE0EEENS1_30default_config_static_selectorELNS0_4arch9wavefront6targetE1EEEvSQ_
                                        ; -- End function
	.section	.AMDGPU.csdata,"",@progbits
; Kernel info:
; codeLenInByte = 468
; NumSgprs: 18
; NumVgprs: 15
; NumAgprs: 0
; TotalNumVgprs: 15
; ScratchSize: 0
; MemoryBound: 0
; FloatMode: 240
; IeeeMode: 1
; LDSByteSize: 0 bytes/workgroup (compile time only)
; SGPRBlocks: 2
; VGPRBlocks: 1
; NumSGPRsForWavesPerEU: 18
; NumVGPRsForWavesPerEU: 15
; AccumOffset: 16
; Occupancy: 8
; WaveLimiterHint : 0
; COMPUTE_PGM_RSRC2:SCRATCH_EN: 0
; COMPUTE_PGM_RSRC2:USER_SGPR: 6
; COMPUTE_PGM_RSRC2:TRAP_HANDLER: 0
; COMPUTE_PGM_RSRC2:TGID_X_EN: 1
; COMPUTE_PGM_RSRC2:TGID_Y_EN: 0
; COMPUTE_PGM_RSRC2:TGID_Z_EN: 0
; COMPUTE_PGM_RSRC2:TIDIG_COMP_CNT: 0
; COMPUTE_PGM_RSRC3_GFX90A:ACCUM_OFFSET: 3
; COMPUTE_PGM_RSRC3_GFX90A:TG_SPLIT: 0
	.section	.text._ZN7rocprim17ROCPRIM_400000_NS6detail17trampoline_kernelINS0_14default_configENS1_21merge_config_selectorIsNS0_10empty_typeEEEZNS1_10merge_implIS3_N6thrust23THRUST_200600_302600_NS6detail15normal_iteratorINS9_10device_ptrIKsEEEESF_NS9_16discard_iteratorINS9_11use_defaultEEEPS5_SJ_SJ_NS9_4lessIsEEEE10hipError_tPvRmT0_T1_T2_T3_T4_T5_mmT6_P12ihipStream_tbEUlT_E_NS1_11comp_targetILNS1_3genE3ELNS1_11target_archE908ELNS1_3gpuE7ELNS1_3repE0EEENS1_30default_config_static_selectorELNS0_4arch9wavefront6targetE1EEEvSQ_,"axG",@progbits,_ZN7rocprim17ROCPRIM_400000_NS6detail17trampoline_kernelINS0_14default_configENS1_21merge_config_selectorIsNS0_10empty_typeEEEZNS1_10merge_implIS3_N6thrust23THRUST_200600_302600_NS6detail15normal_iteratorINS9_10device_ptrIKsEEEESF_NS9_16discard_iteratorINS9_11use_defaultEEEPS5_SJ_SJ_NS9_4lessIsEEEE10hipError_tPvRmT0_T1_T2_T3_T4_T5_mmT6_P12ihipStream_tbEUlT_E_NS1_11comp_targetILNS1_3genE3ELNS1_11target_archE908ELNS1_3gpuE7ELNS1_3repE0EEENS1_30default_config_static_selectorELNS0_4arch9wavefront6targetE1EEEvSQ_,comdat
	.protected	_ZN7rocprim17ROCPRIM_400000_NS6detail17trampoline_kernelINS0_14default_configENS1_21merge_config_selectorIsNS0_10empty_typeEEEZNS1_10merge_implIS3_N6thrust23THRUST_200600_302600_NS6detail15normal_iteratorINS9_10device_ptrIKsEEEESF_NS9_16discard_iteratorINS9_11use_defaultEEEPS5_SJ_SJ_NS9_4lessIsEEEE10hipError_tPvRmT0_T1_T2_T3_T4_T5_mmT6_P12ihipStream_tbEUlT_E_NS1_11comp_targetILNS1_3genE3ELNS1_11target_archE908ELNS1_3gpuE7ELNS1_3repE0EEENS1_30default_config_static_selectorELNS0_4arch9wavefront6targetE1EEEvSQ_ ; -- Begin function _ZN7rocprim17ROCPRIM_400000_NS6detail17trampoline_kernelINS0_14default_configENS1_21merge_config_selectorIsNS0_10empty_typeEEEZNS1_10merge_implIS3_N6thrust23THRUST_200600_302600_NS6detail15normal_iteratorINS9_10device_ptrIKsEEEESF_NS9_16discard_iteratorINS9_11use_defaultEEEPS5_SJ_SJ_NS9_4lessIsEEEE10hipError_tPvRmT0_T1_T2_T3_T4_T5_mmT6_P12ihipStream_tbEUlT_E_NS1_11comp_targetILNS1_3genE3ELNS1_11target_archE908ELNS1_3gpuE7ELNS1_3repE0EEENS1_30default_config_static_selectorELNS0_4arch9wavefront6targetE1EEEvSQ_
	.globl	_ZN7rocprim17ROCPRIM_400000_NS6detail17trampoline_kernelINS0_14default_configENS1_21merge_config_selectorIsNS0_10empty_typeEEEZNS1_10merge_implIS3_N6thrust23THRUST_200600_302600_NS6detail15normal_iteratorINS9_10device_ptrIKsEEEESF_NS9_16discard_iteratorINS9_11use_defaultEEEPS5_SJ_SJ_NS9_4lessIsEEEE10hipError_tPvRmT0_T1_T2_T3_T4_T5_mmT6_P12ihipStream_tbEUlT_E_NS1_11comp_targetILNS1_3genE3ELNS1_11target_archE908ELNS1_3gpuE7ELNS1_3repE0EEENS1_30default_config_static_selectorELNS0_4arch9wavefront6targetE1EEEvSQ_
	.p2align	8
	.type	_ZN7rocprim17ROCPRIM_400000_NS6detail17trampoline_kernelINS0_14default_configENS1_21merge_config_selectorIsNS0_10empty_typeEEEZNS1_10merge_implIS3_N6thrust23THRUST_200600_302600_NS6detail15normal_iteratorINS9_10device_ptrIKsEEEESF_NS9_16discard_iteratorINS9_11use_defaultEEEPS5_SJ_SJ_NS9_4lessIsEEEE10hipError_tPvRmT0_T1_T2_T3_T4_T5_mmT6_P12ihipStream_tbEUlT_E_NS1_11comp_targetILNS1_3genE3ELNS1_11target_archE908ELNS1_3gpuE7ELNS1_3repE0EEENS1_30default_config_static_selectorELNS0_4arch9wavefront6targetE1EEEvSQ_,@function
_ZN7rocprim17ROCPRIM_400000_NS6detail17trampoline_kernelINS0_14default_configENS1_21merge_config_selectorIsNS0_10empty_typeEEEZNS1_10merge_implIS3_N6thrust23THRUST_200600_302600_NS6detail15normal_iteratorINS9_10device_ptrIKsEEEESF_NS9_16discard_iteratorINS9_11use_defaultEEEPS5_SJ_SJ_NS9_4lessIsEEEE10hipError_tPvRmT0_T1_T2_T3_T4_T5_mmT6_P12ihipStream_tbEUlT_E_NS1_11comp_targetILNS1_3genE3ELNS1_11target_archE908ELNS1_3gpuE7ELNS1_3repE0EEENS1_30default_config_static_selectorELNS0_4arch9wavefront6targetE1EEEvSQ_: ; @_ZN7rocprim17ROCPRIM_400000_NS6detail17trampoline_kernelINS0_14default_configENS1_21merge_config_selectorIsNS0_10empty_typeEEEZNS1_10merge_implIS3_N6thrust23THRUST_200600_302600_NS6detail15normal_iteratorINS9_10device_ptrIKsEEEESF_NS9_16discard_iteratorINS9_11use_defaultEEEPS5_SJ_SJ_NS9_4lessIsEEEE10hipError_tPvRmT0_T1_T2_T3_T4_T5_mmT6_P12ihipStream_tbEUlT_E_NS1_11comp_targetILNS1_3genE3ELNS1_11target_archE908ELNS1_3gpuE7ELNS1_3repE0EEENS1_30default_config_static_selectorELNS0_4arch9wavefront6targetE1EEEvSQ_
; %bb.0:
	.section	.rodata,"a",@progbits
	.p2align	6, 0x0
	.amdhsa_kernel _ZN7rocprim17ROCPRIM_400000_NS6detail17trampoline_kernelINS0_14default_configENS1_21merge_config_selectorIsNS0_10empty_typeEEEZNS1_10merge_implIS3_N6thrust23THRUST_200600_302600_NS6detail15normal_iteratorINS9_10device_ptrIKsEEEESF_NS9_16discard_iteratorINS9_11use_defaultEEEPS5_SJ_SJ_NS9_4lessIsEEEE10hipError_tPvRmT0_T1_T2_T3_T4_T5_mmT6_P12ihipStream_tbEUlT_E_NS1_11comp_targetILNS1_3genE3ELNS1_11target_archE908ELNS1_3gpuE7ELNS1_3repE0EEENS1_30default_config_static_selectorELNS0_4arch9wavefront6targetE1EEEvSQ_
		.amdhsa_group_segment_fixed_size 0
		.amdhsa_private_segment_fixed_size 0
		.amdhsa_kernarg_size 48
		.amdhsa_user_sgpr_count 6
		.amdhsa_user_sgpr_private_segment_buffer 1
		.amdhsa_user_sgpr_dispatch_ptr 0
		.amdhsa_user_sgpr_queue_ptr 0
		.amdhsa_user_sgpr_kernarg_segment_ptr 1
		.amdhsa_user_sgpr_dispatch_id 0
		.amdhsa_user_sgpr_flat_scratch_init 0
		.amdhsa_user_sgpr_kernarg_preload_length 0
		.amdhsa_user_sgpr_kernarg_preload_offset 0
		.amdhsa_user_sgpr_private_segment_size 0
		.amdhsa_uses_dynamic_stack 0
		.amdhsa_system_sgpr_private_segment_wavefront_offset 0
		.amdhsa_system_sgpr_workgroup_id_x 1
		.amdhsa_system_sgpr_workgroup_id_y 0
		.amdhsa_system_sgpr_workgroup_id_z 0
		.amdhsa_system_sgpr_workgroup_info 0
		.amdhsa_system_vgpr_workitem_id 0
		.amdhsa_next_free_vgpr 1
		.amdhsa_next_free_sgpr 0
		.amdhsa_accum_offset 4
		.amdhsa_reserve_vcc 0
		.amdhsa_reserve_flat_scratch 0
		.amdhsa_float_round_mode_32 0
		.amdhsa_float_round_mode_16_64 0
		.amdhsa_float_denorm_mode_32 3
		.amdhsa_float_denorm_mode_16_64 3
		.amdhsa_dx10_clamp 1
		.amdhsa_ieee_mode 1
		.amdhsa_fp16_overflow 0
		.amdhsa_tg_split 0
		.amdhsa_exception_fp_ieee_invalid_op 0
		.amdhsa_exception_fp_denorm_src 0
		.amdhsa_exception_fp_ieee_div_zero 0
		.amdhsa_exception_fp_ieee_overflow 0
		.amdhsa_exception_fp_ieee_underflow 0
		.amdhsa_exception_fp_ieee_inexact 0
		.amdhsa_exception_int_div_zero 0
	.end_amdhsa_kernel
	.section	.text._ZN7rocprim17ROCPRIM_400000_NS6detail17trampoline_kernelINS0_14default_configENS1_21merge_config_selectorIsNS0_10empty_typeEEEZNS1_10merge_implIS3_N6thrust23THRUST_200600_302600_NS6detail15normal_iteratorINS9_10device_ptrIKsEEEESF_NS9_16discard_iteratorINS9_11use_defaultEEEPS5_SJ_SJ_NS9_4lessIsEEEE10hipError_tPvRmT0_T1_T2_T3_T4_T5_mmT6_P12ihipStream_tbEUlT_E_NS1_11comp_targetILNS1_3genE3ELNS1_11target_archE908ELNS1_3gpuE7ELNS1_3repE0EEENS1_30default_config_static_selectorELNS0_4arch9wavefront6targetE1EEEvSQ_,"axG",@progbits,_ZN7rocprim17ROCPRIM_400000_NS6detail17trampoline_kernelINS0_14default_configENS1_21merge_config_selectorIsNS0_10empty_typeEEEZNS1_10merge_implIS3_N6thrust23THRUST_200600_302600_NS6detail15normal_iteratorINS9_10device_ptrIKsEEEESF_NS9_16discard_iteratorINS9_11use_defaultEEEPS5_SJ_SJ_NS9_4lessIsEEEE10hipError_tPvRmT0_T1_T2_T3_T4_T5_mmT6_P12ihipStream_tbEUlT_E_NS1_11comp_targetILNS1_3genE3ELNS1_11target_archE908ELNS1_3gpuE7ELNS1_3repE0EEENS1_30default_config_static_selectorELNS0_4arch9wavefront6targetE1EEEvSQ_,comdat
.Lfunc_end446:
	.size	_ZN7rocprim17ROCPRIM_400000_NS6detail17trampoline_kernelINS0_14default_configENS1_21merge_config_selectorIsNS0_10empty_typeEEEZNS1_10merge_implIS3_N6thrust23THRUST_200600_302600_NS6detail15normal_iteratorINS9_10device_ptrIKsEEEESF_NS9_16discard_iteratorINS9_11use_defaultEEEPS5_SJ_SJ_NS9_4lessIsEEEE10hipError_tPvRmT0_T1_T2_T3_T4_T5_mmT6_P12ihipStream_tbEUlT_E_NS1_11comp_targetILNS1_3genE3ELNS1_11target_archE908ELNS1_3gpuE7ELNS1_3repE0EEENS1_30default_config_static_selectorELNS0_4arch9wavefront6targetE1EEEvSQ_, .Lfunc_end446-_ZN7rocprim17ROCPRIM_400000_NS6detail17trampoline_kernelINS0_14default_configENS1_21merge_config_selectorIsNS0_10empty_typeEEEZNS1_10merge_implIS3_N6thrust23THRUST_200600_302600_NS6detail15normal_iteratorINS9_10device_ptrIKsEEEESF_NS9_16discard_iteratorINS9_11use_defaultEEEPS5_SJ_SJ_NS9_4lessIsEEEE10hipError_tPvRmT0_T1_T2_T3_T4_T5_mmT6_P12ihipStream_tbEUlT_E_NS1_11comp_targetILNS1_3genE3ELNS1_11target_archE908ELNS1_3gpuE7ELNS1_3repE0EEENS1_30default_config_static_selectorELNS0_4arch9wavefront6targetE1EEEvSQ_
                                        ; -- End function
	.section	.AMDGPU.csdata,"",@progbits
; Kernel info:
; codeLenInByte = 0
; NumSgprs: 4
; NumVgprs: 0
; NumAgprs: 0
; TotalNumVgprs: 0
; ScratchSize: 0
; MemoryBound: 0
; FloatMode: 240
; IeeeMode: 1
; LDSByteSize: 0 bytes/workgroup (compile time only)
; SGPRBlocks: 0
; VGPRBlocks: 0
; NumSGPRsForWavesPerEU: 4
; NumVGPRsForWavesPerEU: 1
; AccumOffset: 4
; Occupancy: 8
; WaveLimiterHint : 0
; COMPUTE_PGM_RSRC2:SCRATCH_EN: 0
; COMPUTE_PGM_RSRC2:USER_SGPR: 6
; COMPUTE_PGM_RSRC2:TRAP_HANDLER: 0
; COMPUTE_PGM_RSRC2:TGID_X_EN: 1
; COMPUTE_PGM_RSRC2:TGID_Y_EN: 0
; COMPUTE_PGM_RSRC2:TGID_Z_EN: 0
; COMPUTE_PGM_RSRC2:TIDIG_COMP_CNT: 0
; COMPUTE_PGM_RSRC3_GFX90A:ACCUM_OFFSET: 0
; COMPUTE_PGM_RSRC3_GFX90A:TG_SPLIT: 0
	.section	.text._ZN7rocprim17ROCPRIM_400000_NS6detail17trampoline_kernelINS0_14default_configENS1_21merge_config_selectorIsNS0_10empty_typeEEEZNS1_10merge_implIS3_N6thrust23THRUST_200600_302600_NS6detail15normal_iteratorINS9_10device_ptrIKsEEEESF_NS9_16discard_iteratorINS9_11use_defaultEEEPS5_SJ_SJ_NS9_4lessIsEEEE10hipError_tPvRmT0_T1_T2_T3_T4_T5_mmT6_P12ihipStream_tbEUlT_E_NS1_11comp_targetILNS1_3genE2ELNS1_11target_archE906ELNS1_3gpuE6ELNS1_3repE0EEENS1_30default_config_static_selectorELNS0_4arch9wavefront6targetE1EEEvSQ_,"axG",@progbits,_ZN7rocprim17ROCPRIM_400000_NS6detail17trampoline_kernelINS0_14default_configENS1_21merge_config_selectorIsNS0_10empty_typeEEEZNS1_10merge_implIS3_N6thrust23THRUST_200600_302600_NS6detail15normal_iteratorINS9_10device_ptrIKsEEEESF_NS9_16discard_iteratorINS9_11use_defaultEEEPS5_SJ_SJ_NS9_4lessIsEEEE10hipError_tPvRmT0_T1_T2_T3_T4_T5_mmT6_P12ihipStream_tbEUlT_E_NS1_11comp_targetILNS1_3genE2ELNS1_11target_archE906ELNS1_3gpuE6ELNS1_3repE0EEENS1_30default_config_static_selectorELNS0_4arch9wavefront6targetE1EEEvSQ_,comdat
	.protected	_ZN7rocprim17ROCPRIM_400000_NS6detail17trampoline_kernelINS0_14default_configENS1_21merge_config_selectorIsNS0_10empty_typeEEEZNS1_10merge_implIS3_N6thrust23THRUST_200600_302600_NS6detail15normal_iteratorINS9_10device_ptrIKsEEEESF_NS9_16discard_iteratorINS9_11use_defaultEEEPS5_SJ_SJ_NS9_4lessIsEEEE10hipError_tPvRmT0_T1_T2_T3_T4_T5_mmT6_P12ihipStream_tbEUlT_E_NS1_11comp_targetILNS1_3genE2ELNS1_11target_archE906ELNS1_3gpuE6ELNS1_3repE0EEENS1_30default_config_static_selectorELNS0_4arch9wavefront6targetE1EEEvSQ_ ; -- Begin function _ZN7rocprim17ROCPRIM_400000_NS6detail17trampoline_kernelINS0_14default_configENS1_21merge_config_selectorIsNS0_10empty_typeEEEZNS1_10merge_implIS3_N6thrust23THRUST_200600_302600_NS6detail15normal_iteratorINS9_10device_ptrIKsEEEESF_NS9_16discard_iteratorINS9_11use_defaultEEEPS5_SJ_SJ_NS9_4lessIsEEEE10hipError_tPvRmT0_T1_T2_T3_T4_T5_mmT6_P12ihipStream_tbEUlT_E_NS1_11comp_targetILNS1_3genE2ELNS1_11target_archE906ELNS1_3gpuE6ELNS1_3repE0EEENS1_30default_config_static_selectorELNS0_4arch9wavefront6targetE1EEEvSQ_
	.globl	_ZN7rocprim17ROCPRIM_400000_NS6detail17trampoline_kernelINS0_14default_configENS1_21merge_config_selectorIsNS0_10empty_typeEEEZNS1_10merge_implIS3_N6thrust23THRUST_200600_302600_NS6detail15normal_iteratorINS9_10device_ptrIKsEEEESF_NS9_16discard_iteratorINS9_11use_defaultEEEPS5_SJ_SJ_NS9_4lessIsEEEE10hipError_tPvRmT0_T1_T2_T3_T4_T5_mmT6_P12ihipStream_tbEUlT_E_NS1_11comp_targetILNS1_3genE2ELNS1_11target_archE906ELNS1_3gpuE6ELNS1_3repE0EEENS1_30default_config_static_selectorELNS0_4arch9wavefront6targetE1EEEvSQ_
	.p2align	8
	.type	_ZN7rocprim17ROCPRIM_400000_NS6detail17trampoline_kernelINS0_14default_configENS1_21merge_config_selectorIsNS0_10empty_typeEEEZNS1_10merge_implIS3_N6thrust23THRUST_200600_302600_NS6detail15normal_iteratorINS9_10device_ptrIKsEEEESF_NS9_16discard_iteratorINS9_11use_defaultEEEPS5_SJ_SJ_NS9_4lessIsEEEE10hipError_tPvRmT0_T1_T2_T3_T4_T5_mmT6_P12ihipStream_tbEUlT_E_NS1_11comp_targetILNS1_3genE2ELNS1_11target_archE906ELNS1_3gpuE6ELNS1_3repE0EEENS1_30default_config_static_selectorELNS0_4arch9wavefront6targetE1EEEvSQ_,@function
_ZN7rocprim17ROCPRIM_400000_NS6detail17trampoline_kernelINS0_14default_configENS1_21merge_config_selectorIsNS0_10empty_typeEEEZNS1_10merge_implIS3_N6thrust23THRUST_200600_302600_NS6detail15normal_iteratorINS9_10device_ptrIKsEEEESF_NS9_16discard_iteratorINS9_11use_defaultEEEPS5_SJ_SJ_NS9_4lessIsEEEE10hipError_tPvRmT0_T1_T2_T3_T4_T5_mmT6_P12ihipStream_tbEUlT_E_NS1_11comp_targetILNS1_3genE2ELNS1_11target_archE906ELNS1_3gpuE6ELNS1_3repE0EEENS1_30default_config_static_selectorELNS0_4arch9wavefront6targetE1EEEvSQ_: ; @_ZN7rocprim17ROCPRIM_400000_NS6detail17trampoline_kernelINS0_14default_configENS1_21merge_config_selectorIsNS0_10empty_typeEEEZNS1_10merge_implIS3_N6thrust23THRUST_200600_302600_NS6detail15normal_iteratorINS9_10device_ptrIKsEEEESF_NS9_16discard_iteratorINS9_11use_defaultEEEPS5_SJ_SJ_NS9_4lessIsEEEE10hipError_tPvRmT0_T1_T2_T3_T4_T5_mmT6_P12ihipStream_tbEUlT_E_NS1_11comp_targetILNS1_3genE2ELNS1_11target_archE906ELNS1_3gpuE6ELNS1_3repE0EEENS1_30default_config_static_selectorELNS0_4arch9wavefront6targetE1EEEvSQ_
; %bb.0:
	.section	.rodata,"a",@progbits
	.p2align	6, 0x0
	.amdhsa_kernel _ZN7rocprim17ROCPRIM_400000_NS6detail17trampoline_kernelINS0_14default_configENS1_21merge_config_selectorIsNS0_10empty_typeEEEZNS1_10merge_implIS3_N6thrust23THRUST_200600_302600_NS6detail15normal_iteratorINS9_10device_ptrIKsEEEESF_NS9_16discard_iteratorINS9_11use_defaultEEEPS5_SJ_SJ_NS9_4lessIsEEEE10hipError_tPvRmT0_T1_T2_T3_T4_T5_mmT6_P12ihipStream_tbEUlT_E_NS1_11comp_targetILNS1_3genE2ELNS1_11target_archE906ELNS1_3gpuE6ELNS1_3repE0EEENS1_30default_config_static_selectorELNS0_4arch9wavefront6targetE1EEEvSQ_
		.amdhsa_group_segment_fixed_size 0
		.amdhsa_private_segment_fixed_size 0
		.amdhsa_kernarg_size 48
		.amdhsa_user_sgpr_count 6
		.amdhsa_user_sgpr_private_segment_buffer 1
		.amdhsa_user_sgpr_dispatch_ptr 0
		.amdhsa_user_sgpr_queue_ptr 0
		.amdhsa_user_sgpr_kernarg_segment_ptr 1
		.amdhsa_user_sgpr_dispatch_id 0
		.amdhsa_user_sgpr_flat_scratch_init 0
		.amdhsa_user_sgpr_kernarg_preload_length 0
		.amdhsa_user_sgpr_kernarg_preload_offset 0
		.amdhsa_user_sgpr_private_segment_size 0
		.amdhsa_uses_dynamic_stack 0
		.amdhsa_system_sgpr_private_segment_wavefront_offset 0
		.amdhsa_system_sgpr_workgroup_id_x 1
		.amdhsa_system_sgpr_workgroup_id_y 0
		.amdhsa_system_sgpr_workgroup_id_z 0
		.amdhsa_system_sgpr_workgroup_info 0
		.amdhsa_system_vgpr_workitem_id 0
		.amdhsa_next_free_vgpr 1
		.amdhsa_next_free_sgpr 0
		.amdhsa_accum_offset 4
		.amdhsa_reserve_vcc 0
		.amdhsa_reserve_flat_scratch 0
		.amdhsa_float_round_mode_32 0
		.amdhsa_float_round_mode_16_64 0
		.amdhsa_float_denorm_mode_32 3
		.amdhsa_float_denorm_mode_16_64 3
		.amdhsa_dx10_clamp 1
		.amdhsa_ieee_mode 1
		.amdhsa_fp16_overflow 0
		.amdhsa_tg_split 0
		.amdhsa_exception_fp_ieee_invalid_op 0
		.amdhsa_exception_fp_denorm_src 0
		.amdhsa_exception_fp_ieee_div_zero 0
		.amdhsa_exception_fp_ieee_overflow 0
		.amdhsa_exception_fp_ieee_underflow 0
		.amdhsa_exception_fp_ieee_inexact 0
		.amdhsa_exception_int_div_zero 0
	.end_amdhsa_kernel
	.section	.text._ZN7rocprim17ROCPRIM_400000_NS6detail17trampoline_kernelINS0_14default_configENS1_21merge_config_selectorIsNS0_10empty_typeEEEZNS1_10merge_implIS3_N6thrust23THRUST_200600_302600_NS6detail15normal_iteratorINS9_10device_ptrIKsEEEESF_NS9_16discard_iteratorINS9_11use_defaultEEEPS5_SJ_SJ_NS9_4lessIsEEEE10hipError_tPvRmT0_T1_T2_T3_T4_T5_mmT6_P12ihipStream_tbEUlT_E_NS1_11comp_targetILNS1_3genE2ELNS1_11target_archE906ELNS1_3gpuE6ELNS1_3repE0EEENS1_30default_config_static_selectorELNS0_4arch9wavefront6targetE1EEEvSQ_,"axG",@progbits,_ZN7rocprim17ROCPRIM_400000_NS6detail17trampoline_kernelINS0_14default_configENS1_21merge_config_selectorIsNS0_10empty_typeEEEZNS1_10merge_implIS3_N6thrust23THRUST_200600_302600_NS6detail15normal_iteratorINS9_10device_ptrIKsEEEESF_NS9_16discard_iteratorINS9_11use_defaultEEEPS5_SJ_SJ_NS9_4lessIsEEEE10hipError_tPvRmT0_T1_T2_T3_T4_T5_mmT6_P12ihipStream_tbEUlT_E_NS1_11comp_targetILNS1_3genE2ELNS1_11target_archE906ELNS1_3gpuE6ELNS1_3repE0EEENS1_30default_config_static_selectorELNS0_4arch9wavefront6targetE1EEEvSQ_,comdat
.Lfunc_end447:
	.size	_ZN7rocprim17ROCPRIM_400000_NS6detail17trampoline_kernelINS0_14default_configENS1_21merge_config_selectorIsNS0_10empty_typeEEEZNS1_10merge_implIS3_N6thrust23THRUST_200600_302600_NS6detail15normal_iteratorINS9_10device_ptrIKsEEEESF_NS9_16discard_iteratorINS9_11use_defaultEEEPS5_SJ_SJ_NS9_4lessIsEEEE10hipError_tPvRmT0_T1_T2_T3_T4_T5_mmT6_P12ihipStream_tbEUlT_E_NS1_11comp_targetILNS1_3genE2ELNS1_11target_archE906ELNS1_3gpuE6ELNS1_3repE0EEENS1_30default_config_static_selectorELNS0_4arch9wavefront6targetE1EEEvSQ_, .Lfunc_end447-_ZN7rocprim17ROCPRIM_400000_NS6detail17trampoline_kernelINS0_14default_configENS1_21merge_config_selectorIsNS0_10empty_typeEEEZNS1_10merge_implIS3_N6thrust23THRUST_200600_302600_NS6detail15normal_iteratorINS9_10device_ptrIKsEEEESF_NS9_16discard_iteratorINS9_11use_defaultEEEPS5_SJ_SJ_NS9_4lessIsEEEE10hipError_tPvRmT0_T1_T2_T3_T4_T5_mmT6_P12ihipStream_tbEUlT_E_NS1_11comp_targetILNS1_3genE2ELNS1_11target_archE906ELNS1_3gpuE6ELNS1_3repE0EEENS1_30default_config_static_selectorELNS0_4arch9wavefront6targetE1EEEvSQ_
                                        ; -- End function
	.section	.AMDGPU.csdata,"",@progbits
; Kernel info:
; codeLenInByte = 0
; NumSgprs: 4
; NumVgprs: 0
; NumAgprs: 0
; TotalNumVgprs: 0
; ScratchSize: 0
; MemoryBound: 0
; FloatMode: 240
; IeeeMode: 1
; LDSByteSize: 0 bytes/workgroup (compile time only)
; SGPRBlocks: 0
; VGPRBlocks: 0
; NumSGPRsForWavesPerEU: 4
; NumVGPRsForWavesPerEU: 1
; AccumOffset: 4
; Occupancy: 8
; WaveLimiterHint : 0
; COMPUTE_PGM_RSRC2:SCRATCH_EN: 0
; COMPUTE_PGM_RSRC2:USER_SGPR: 6
; COMPUTE_PGM_RSRC2:TRAP_HANDLER: 0
; COMPUTE_PGM_RSRC2:TGID_X_EN: 1
; COMPUTE_PGM_RSRC2:TGID_Y_EN: 0
; COMPUTE_PGM_RSRC2:TGID_Z_EN: 0
; COMPUTE_PGM_RSRC2:TIDIG_COMP_CNT: 0
; COMPUTE_PGM_RSRC3_GFX90A:ACCUM_OFFSET: 0
; COMPUTE_PGM_RSRC3_GFX90A:TG_SPLIT: 0
	.section	.text._ZN7rocprim17ROCPRIM_400000_NS6detail17trampoline_kernelINS0_14default_configENS1_21merge_config_selectorIsNS0_10empty_typeEEEZNS1_10merge_implIS3_N6thrust23THRUST_200600_302600_NS6detail15normal_iteratorINS9_10device_ptrIKsEEEESF_NS9_16discard_iteratorINS9_11use_defaultEEEPS5_SJ_SJ_NS9_4lessIsEEEE10hipError_tPvRmT0_T1_T2_T3_T4_T5_mmT6_P12ihipStream_tbEUlT_E_NS1_11comp_targetILNS1_3genE10ELNS1_11target_archE1201ELNS1_3gpuE5ELNS1_3repE0EEENS1_30default_config_static_selectorELNS0_4arch9wavefront6targetE1EEEvSQ_,"axG",@progbits,_ZN7rocprim17ROCPRIM_400000_NS6detail17trampoline_kernelINS0_14default_configENS1_21merge_config_selectorIsNS0_10empty_typeEEEZNS1_10merge_implIS3_N6thrust23THRUST_200600_302600_NS6detail15normal_iteratorINS9_10device_ptrIKsEEEESF_NS9_16discard_iteratorINS9_11use_defaultEEEPS5_SJ_SJ_NS9_4lessIsEEEE10hipError_tPvRmT0_T1_T2_T3_T4_T5_mmT6_P12ihipStream_tbEUlT_E_NS1_11comp_targetILNS1_3genE10ELNS1_11target_archE1201ELNS1_3gpuE5ELNS1_3repE0EEENS1_30default_config_static_selectorELNS0_4arch9wavefront6targetE1EEEvSQ_,comdat
	.protected	_ZN7rocprim17ROCPRIM_400000_NS6detail17trampoline_kernelINS0_14default_configENS1_21merge_config_selectorIsNS0_10empty_typeEEEZNS1_10merge_implIS3_N6thrust23THRUST_200600_302600_NS6detail15normal_iteratorINS9_10device_ptrIKsEEEESF_NS9_16discard_iteratorINS9_11use_defaultEEEPS5_SJ_SJ_NS9_4lessIsEEEE10hipError_tPvRmT0_T1_T2_T3_T4_T5_mmT6_P12ihipStream_tbEUlT_E_NS1_11comp_targetILNS1_3genE10ELNS1_11target_archE1201ELNS1_3gpuE5ELNS1_3repE0EEENS1_30default_config_static_selectorELNS0_4arch9wavefront6targetE1EEEvSQ_ ; -- Begin function _ZN7rocprim17ROCPRIM_400000_NS6detail17trampoline_kernelINS0_14default_configENS1_21merge_config_selectorIsNS0_10empty_typeEEEZNS1_10merge_implIS3_N6thrust23THRUST_200600_302600_NS6detail15normal_iteratorINS9_10device_ptrIKsEEEESF_NS9_16discard_iteratorINS9_11use_defaultEEEPS5_SJ_SJ_NS9_4lessIsEEEE10hipError_tPvRmT0_T1_T2_T3_T4_T5_mmT6_P12ihipStream_tbEUlT_E_NS1_11comp_targetILNS1_3genE10ELNS1_11target_archE1201ELNS1_3gpuE5ELNS1_3repE0EEENS1_30default_config_static_selectorELNS0_4arch9wavefront6targetE1EEEvSQ_
	.globl	_ZN7rocprim17ROCPRIM_400000_NS6detail17trampoline_kernelINS0_14default_configENS1_21merge_config_selectorIsNS0_10empty_typeEEEZNS1_10merge_implIS3_N6thrust23THRUST_200600_302600_NS6detail15normal_iteratorINS9_10device_ptrIKsEEEESF_NS9_16discard_iteratorINS9_11use_defaultEEEPS5_SJ_SJ_NS9_4lessIsEEEE10hipError_tPvRmT0_T1_T2_T3_T4_T5_mmT6_P12ihipStream_tbEUlT_E_NS1_11comp_targetILNS1_3genE10ELNS1_11target_archE1201ELNS1_3gpuE5ELNS1_3repE0EEENS1_30default_config_static_selectorELNS0_4arch9wavefront6targetE1EEEvSQ_
	.p2align	8
	.type	_ZN7rocprim17ROCPRIM_400000_NS6detail17trampoline_kernelINS0_14default_configENS1_21merge_config_selectorIsNS0_10empty_typeEEEZNS1_10merge_implIS3_N6thrust23THRUST_200600_302600_NS6detail15normal_iteratorINS9_10device_ptrIKsEEEESF_NS9_16discard_iteratorINS9_11use_defaultEEEPS5_SJ_SJ_NS9_4lessIsEEEE10hipError_tPvRmT0_T1_T2_T3_T4_T5_mmT6_P12ihipStream_tbEUlT_E_NS1_11comp_targetILNS1_3genE10ELNS1_11target_archE1201ELNS1_3gpuE5ELNS1_3repE0EEENS1_30default_config_static_selectorELNS0_4arch9wavefront6targetE1EEEvSQ_,@function
_ZN7rocprim17ROCPRIM_400000_NS6detail17trampoline_kernelINS0_14default_configENS1_21merge_config_selectorIsNS0_10empty_typeEEEZNS1_10merge_implIS3_N6thrust23THRUST_200600_302600_NS6detail15normal_iteratorINS9_10device_ptrIKsEEEESF_NS9_16discard_iteratorINS9_11use_defaultEEEPS5_SJ_SJ_NS9_4lessIsEEEE10hipError_tPvRmT0_T1_T2_T3_T4_T5_mmT6_P12ihipStream_tbEUlT_E_NS1_11comp_targetILNS1_3genE10ELNS1_11target_archE1201ELNS1_3gpuE5ELNS1_3repE0EEENS1_30default_config_static_selectorELNS0_4arch9wavefront6targetE1EEEvSQ_: ; @_ZN7rocprim17ROCPRIM_400000_NS6detail17trampoline_kernelINS0_14default_configENS1_21merge_config_selectorIsNS0_10empty_typeEEEZNS1_10merge_implIS3_N6thrust23THRUST_200600_302600_NS6detail15normal_iteratorINS9_10device_ptrIKsEEEESF_NS9_16discard_iteratorINS9_11use_defaultEEEPS5_SJ_SJ_NS9_4lessIsEEEE10hipError_tPvRmT0_T1_T2_T3_T4_T5_mmT6_P12ihipStream_tbEUlT_E_NS1_11comp_targetILNS1_3genE10ELNS1_11target_archE1201ELNS1_3gpuE5ELNS1_3repE0EEENS1_30default_config_static_selectorELNS0_4arch9wavefront6targetE1EEEvSQ_
; %bb.0:
	.section	.rodata,"a",@progbits
	.p2align	6, 0x0
	.amdhsa_kernel _ZN7rocprim17ROCPRIM_400000_NS6detail17trampoline_kernelINS0_14default_configENS1_21merge_config_selectorIsNS0_10empty_typeEEEZNS1_10merge_implIS3_N6thrust23THRUST_200600_302600_NS6detail15normal_iteratorINS9_10device_ptrIKsEEEESF_NS9_16discard_iteratorINS9_11use_defaultEEEPS5_SJ_SJ_NS9_4lessIsEEEE10hipError_tPvRmT0_T1_T2_T3_T4_T5_mmT6_P12ihipStream_tbEUlT_E_NS1_11comp_targetILNS1_3genE10ELNS1_11target_archE1201ELNS1_3gpuE5ELNS1_3repE0EEENS1_30default_config_static_selectorELNS0_4arch9wavefront6targetE1EEEvSQ_
		.amdhsa_group_segment_fixed_size 0
		.amdhsa_private_segment_fixed_size 0
		.amdhsa_kernarg_size 48
		.amdhsa_user_sgpr_count 6
		.amdhsa_user_sgpr_private_segment_buffer 1
		.amdhsa_user_sgpr_dispatch_ptr 0
		.amdhsa_user_sgpr_queue_ptr 0
		.amdhsa_user_sgpr_kernarg_segment_ptr 1
		.amdhsa_user_sgpr_dispatch_id 0
		.amdhsa_user_sgpr_flat_scratch_init 0
		.amdhsa_user_sgpr_kernarg_preload_length 0
		.amdhsa_user_sgpr_kernarg_preload_offset 0
		.amdhsa_user_sgpr_private_segment_size 0
		.amdhsa_uses_dynamic_stack 0
		.amdhsa_system_sgpr_private_segment_wavefront_offset 0
		.amdhsa_system_sgpr_workgroup_id_x 1
		.amdhsa_system_sgpr_workgroup_id_y 0
		.amdhsa_system_sgpr_workgroup_id_z 0
		.amdhsa_system_sgpr_workgroup_info 0
		.amdhsa_system_vgpr_workitem_id 0
		.amdhsa_next_free_vgpr 1
		.amdhsa_next_free_sgpr 0
		.amdhsa_accum_offset 4
		.amdhsa_reserve_vcc 0
		.amdhsa_reserve_flat_scratch 0
		.amdhsa_float_round_mode_32 0
		.amdhsa_float_round_mode_16_64 0
		.amdhsa_float_denorm_mode_32 3
		.amdhsa_float_denorm_mode_16_64 3
		.amdhsa_dx10_clamp 1
		.amdhsa_ieee_mode 1
		.amdhsa_fp16_overflow 0
		.amdhsa_tg_split 0
		.amdhsa_exception_fp_ieee_invalid_op 0
		.amdhsa_exception_fp_denorm_src 0
		.amdhsa_exception_fp_ieee_div_zero 0
		.amdhsa_exception_fp_ieee_overflow 0
		.amdhsa_exception_fp_ieee_underflow 0
		.amdhsa_exception_fp_ieee_inexact 0
		.amdhsa_exception_int_div_zero 0
	.end_amdhsa_kernel
	.section	.text._ZN7rocprim17ROCPRIM_400000_NS6detail17trampoline_kernelINS0_14default_configENS1_21merge_config_selectorIsNS0_10empty_typeEEEZNS1_10merge_implIS3_N6thrust23THRUST_200600_302600_NS6detail15normal_iteratorINS9_10device_ptrIKsEEEESF_NS9_16discard_iteratorINS9_11use_defaultEEEPS5_SJ_SJ_NS9_4lessIsEEEE10hipError_tPvRmT0_T1_T2_T3_T4_T5_mmT6_P12ihipStream_tbEUlT_E_NS1_11comp_targetILNS1_3genE10ELNS1_11target_archE1201ELNS1_3gpuE5ELNS1_3repE0EEENS1_30default_config_static_selectorELNS0_4arch9wavefront6targetE1EEEvSQ_,"axG",@progbits,_ZN7rocprim17ROCPRIM_400000_NS6detail17trampoline_kernelINS0_14default_configENS1_21merge_config_selectorIsNS0_10empty_typeEEEZNS1_10merge_implIS3_N6thrust23THRUST_200600_302600_NS6detail15normal_iteratorINS9_10device_ptrIKsEEEESF_NS9_16discard_iteratorINS9_11use_defaultEEEPS5_SJ_SJ_NS9_4lessIsEEEE10hipError_tPvRmT0_T1_T2_T3_T4_T5_mmT6_P12ihipStream_tbEUlT_E_NS1_11comp_targetILNS1_3genE10ELNS1_11target_archE1201ELNS1_3gpuE5ELNS1_3repE0EEENS1_30default_config_static_selectorELNS0_4arch9wavefront6targetE1EEEvSQ_,comdat
.Lfunc_end448:
	.size	_ZN7rocprim17ROCPRIM_400000_NS6detail17trampoline_kernelINS0_14default_configENS1_21merge_config_selectorIsNS0_10empty_typeEEEZNS1_10merge_implIS3_N6thrust23THRUST_200600_302600_NS6detail15normal_iteratorINS9_10device_ptrIKsEEEESF_NS9_16discard_iteratorINS9_11use_defaultEEEPS5_SJ_SJ_NS9_4lessIsEEEE10hipError_tPvRmT0_T1_T2_T3_T4_T5_mmT6_P12ihipStream_tbEUlT_E_NS1_11comp_targetILNS1_3genE10ELNS1_11target_archE1201ELNS1_3gpuE5ELNS1_3repE0EEENS1_30default_config_static_selectorELNS0_4arch9wavefront6targetE1EEEvSQ_, .Lfunc_end448-_ZN7rocprim17ROCPRIM_400000_NS6detail17trampoline_kernelINS0_14default_configENS1_21merge_config_selectorIsNS0_10empty_typeEEEZNS1_10merge_implIS3_N6thrust23THRUST_200600_302600_NS6detail15normal_iteratorINS9_10device_ptrIKsEEEESF_NS9_16discard_iteratorINS9_11use_defaultEEEPS5_SJ_SJ_NS9_4lessIsEEEE10hipError_tPvRmT0_T1_T2_T3_T4_T5_mmT6_P12ihipStream_tbEUlT_E_NS1_11comp_targetILNS1_3genE10ELNS1_11target_archE1201ELNS1_3gpuE5ELNS1_3repE0EEENS1_30default_config_static_selectorELNS0_4arch9wavefront6targetE1EEEvSQ_
                                        ; -- End function
	.section	.AMDGPU.csdata,"",@progbits
; Kernel info:
; codeLenInByte = 0
; NumSgprs: 4
; NumVgprs: 0
; NumAgprs: 0
; TotalNumVgprs: 0
; ScratchSize: 0
; MemoryBound: 0
; FloatMode: 240
; IeeeMode: 1
; LDSByteSize: 0 bytes/workgroup (compile time only)
; SGPRBlocks: 0
; VGPRBlocks: 0
; NumSGPRsForWavesPerEU: 4
; NumVGPRsForWavesPerEU: 1
; AccumOffset: 4
; Occupancy: 8
; WaveLimiterHint : 0
; COMPUTE_PGM_RSRC2:SCRATCH_EN: 0
; COMPUTE_PGM_RSRC2:USER_SGPR: 6
; COMPUTE_PGM_RSRC2:TRAP_HANDLER: 0
; COMPUTE_PGM_RSRC2:TGID_X_EN: 1
; COMPUTE_PGM_RSRC2:TGID_Y_EN: 0
; COMPUTE_PGM_RSRC2:TGID_Z_EN: 0
; COMPUTE_PGM_RSRC2:TIDIG_COMP_CNT: 0
; COMPUTE_PGM_RSRC3_GFX90A:ACCUM_OFFSET: 0
; COMPUTE_PGM_RSRC3_GFX90A:TG_SPLIT: 0
	.section	.text._ZN7rocprim17ROCPRIM_400000_NS6detail17trampoline_kernelINS0_14default_configENS1_21merge_config_selectorIsNS0_10empty_typeEEEZNS1_10merge_implIS3_N6thrust23THRUST_200600_302600_NS6detail15normal_iteratorINS9_10device_ptrIKsEEEESF_NS9_16discard_iteratorINS9_11use_defaultEEEPS5_SJ_SJ_NS9_4lessIsEEEE10hipError_tPvRmT0_T1_T2_T3_T4_T5_mmT6_P12ihipStream_tbEUlT_E_NS1_11comp_targetILNS1_3genE10ELNS1_11target_archE1200ELNS1_3gpuE4ELNS1_3repE0EEENS1_30default_config_static_selectorELNS0_4arch9wavefront6targetE1EEEvSQ_,"axG",@progbits,_ZN7rocprim17ROCPRIM_400000_NS6detail17trampoline_kernelINS0_14default_configENS1_21merge_config_selectorIsNS0_10empty_typeEEEZNS1_10merge_implIS3_N6thrust23THRUST_200600_302600_NS6detail15normal_iteratorINS9_10device_ptrIKsEEEESF_NS9_16discard_iteratorINS9_11use_defaultEEEPS5_SJ_SJ_NS9_4lessIsEEEE10hipError_tPvRmT0_T1_T2_T3_T4_T5_mmT6_P12ihipStream_tbEUlT_E_NS1_11comp_targetILNS1_3genE10ELNS1_11target_archE1200ELNS1_3gpuE4ELNS1_3repE0EEENS1_30default_config_static_selectorELNS0_4arch9wavefront6targetE1EEEvSQ_,comdat
	.protected	_ZN7rocprim17ROCPRIM_400000_NS6detail17trampoline_kernelINS0_14default_configENS1_21merge_config_selectorIsNS0_10empty_typeEEEZNS1_10merge_implIS3_N6thrust23THRUST_200600_302600_NS6detail15normal_iteratorINS9_10device_ptrIKsEEEESF_NS9_16discard_iteratorINS9_11use_defaultEEEPS5_SJ_SJ_NS9_4lessIsEEEE10hipError_tPvRmT0_T1_T2_T3_T4_T5_mmT6_P12ihipStream_tbEUlT_E_NS1_11comp_targetILNS1_3genE10ELNS1_11target_archE1200ELNS1_3gpuE4ELNS1_3repE0EEENS1_30default_config_static_selectorELNS0_4arch9wavefront6targetE1EEEvSQ_ ; -- Begin function _ZN7rocprim17ROCPRIM_400000_NS6detail17trampoline_kernelINS0_14default_configENS1_21merge_config_selectorIsNS0_10empty_typeEEEZNS1_10merge_implIS3_N6thrust23THRUST_200600_302600_NS6detail15normal_iteratorINS9_10device_ptrIKsEEEESF_NS9_16discard_iteratorINS9_11use_defaultEEEPS5_SJ_SJ_NS9_4lessIsEEEE10hipError_tPvRmT0_T1_T2_T3_T4_T5_mmT6_P12ihipStream_tbEUlT_E_NS1_11comp_targetILNS1_3genE10ELNS1_11target_archE1200ELNS1_3gpuE4ELNS1_3repE0EEENS1_30default_config_static_selectorELNS0_4arch9wavefront6targetE1EEEvSQ_
	.globl	_ZN7rocprim17ROCPRIM_400000_NS6detail17trampoline_kernelINS0_14default_configENS1_21merge_config_selectorIsNS0_10empty_typeEEEZNS1_10merge_implIS3_N6thrust23THRUST_200600_302600_NS6detail15normal_iteratorINS9_10device_ptrIKsEEEESF_NS9_16discard_iteratorINS9_11use_defaultEEEPS5_SJ_SJ_NS9_4lessIsEEEE10hipError_tPvRmT0_T1_T2_T3_T4_T5_mmT6_P12ihipStream_tbEUlT_E_NS1_11comp_targetILNS1_3genE10ELNS1_11target_archE1200ELNS1_3gpuE4ELNS1_3repE0EEENS1_30default_config_static_selectorELNS0_4arch9wavefront6targetE1EEEvSQ_
	.p2align	8
	.type	_ZN7rocprim17ROCPRIM_400000_NS6detail17trampoline_kernelINS0_14default_configENS1_21merge_config_selectorIsNS0_10empty_typeEEEZNS1_10merge_implIS3_N6thrust23THRUST_200600_302600_NS6detail15normal_iteratorINS9_10device_ptrIKsEEEESF_NS9_16discard_iteratorINS9_11use_defaultEEEPS5_SJ_SJ_NS9_4lessIsEEEE10hipError_tPvRmT0_T1_T2_T3_T4_T5_mmT6_P12ihipStream_tbEUlT_E_NS1_11comp_targetILNS1_3genE10ELNS1_11target_archE1200ELNS1_3gpuE4ELNS1_3repE0EEENS1_30default_config_static_selectorELNS0_4arch9wavefront6targetE1EEEvSQ_,@function
_ZN7rocprim17ROCPRIM_400000_NS6detail17trampoline_kernelINS0_14default_configENS1_21merge_config_selectorIsNS0_10empty_typeEEEZNS1_10merge_implIS3_N6thrust23THRUST_200600_302600_NS6detail15normal_iteratorINS9_10device_ptrIKsEEEESF_NS9_16discard_iteratorINS9_11use_defaultEEEPS5_SJ_SJ_NS9_4lessIsEEEE10hipError_tPvRmT0_T1_T2_T3_T4_T5_mmT6_P12ihipStream_tbEUlT_E_NS1_11comp_targetILNS1_3genE10ELNS1_11target_archE1200ELNS1_3gpuE4ELNS1_3repE0EEENS1_30default_config_static_selectorELNS0_4arch9wavefront6targetE1EEEvSQ_: ; @_ZN7rocprim17ROCPRIM_400000_NS6detail17trampoline_kernelINS0_14default_configENS1_21merge_config_selectorIsNS0_10empty_typeEEEZNS1_10merge_implIS3_N6thrust23THRUST_200600_302600_NS6detail15normal_iteratorINS9_10device_ptrIKsEEEESF_NS9_16discard_iteratorINS9_11use_defaultEEEPS5_SJ_SJ_NS9_4lessIsEEEE10hipError_tPvRmT0_T1_T2_T3_T4_T5_mmT6_P12ihipStream_tbEUlT_E_NS1_11comp_targetILNS1_3genE10ELNS1_11target_archE1200ELNS1_3gpuE4ELNS1_3repE0EEENS1_30default_config_static_selectorELNS0_4arch9wavefront6targetE1EEEvSQ_
; %bb.0:
	.section	.rodata,"a",@progbits
	.p2align	6, 0x0
	.amdhsa_kernel _ZN7rocprim17ROCPRIM_400000_NS6detail17trampoline_kernelINS0_14default_configENS1_21merge_config_selectorIsNS0_10empty_typeEEEZNS1_10merge_implIS3_N6thrust23THRUST_200600_302600_NS6detail15normal_iteratorINS9_10device_ptrIKsEEEESF_NS9_16discard_iteratorINS9_11use_defaultEEEPS5_SJ_SJ_NS9_4lessIsEEEE10hipError_tPvRmT0_T1_T2_T3_T4_T5_mmT6_P12ihipStream_tbEUlT_E_NS1_11comp_targetILNS1_3genE10ELNS1_11target_archE1200ELNS1_3gpuE4ELNS1_3repE0EEENS1_30default_config_static_selectorELNS0_4arch9wavefront6targetE1EEEvSQ_
		.amdhsa_group_segment_fixed_size 0
		.amdhsa_private_segment_fixed_size 0
		.amdhsa_kernarg_size 48
		.amdhsa_user_sgpr_count 6
		.amdhsa_user_sgpr_private_segment_buffer 1
		.amdhsa_user_sgpr_dispatch_ptr 0
		.amdhsa_user_sgpr_queue_ptr 0
		.amdhsa_user_sgpr_kernarg_segment_ptr 1
		.amdhsa_user_sgpr_dispatch_id 0
		.amdhsa_user_sgpr_flat_scratch_init 0
		.amdhsa_user_sgpr_kernarg_preload_length 0
		.amdhsa_user_sgpr_kernarg_preload_offset 0
		.amdhsa_user_sgpr_private_segment_size 0
		.amdhsa_uses_dynamic_stack 0
		.amdhsa_system_sgpr_private_segment_wavefront_offset 0
		.amdhsa_system_sgpr_workgroup_id_x 1
		.amdhsa_system_sgpr_workgroup_id_y 0
		.amdhsa_system_sgpr_workgroup_id_z 0
		.amdhsa_system_sgpr_workgroup_info 0
		.amdhsa_system_vgpr_workitem_id 0
		.amdhsa_next_free_vgpr 1
		.amdhsa_next_free_sgpr 0
		.amdhsa_accum_offset 4
		.amdhsa_reserve_vcc 0
		.amdhsa_reserve_flat_scratch 0
		.amdhsa_float_round_mode_32 0
		.amdhsa_float_round_mode_16_64 0
		.amdhsa_float_denorm_mode_32 3
		.amdhsa_float_denorm_mode_16_64 3
		.amdhsa_dx10_clamp 1
		.amdhsa_ieee_mode 1
		.amdhsa_fp16_overflow 0
		.amdhsa_tg_split 0
		.amdhsa_exception_fp_ieee_invalid_op 0
		.amdhsa_exception_fp_denorm_src 0
		.amdhsa_exception_fp_ieee_div_zero 0
		.amdhsa_exception_fp_ieee_overflow 0
		.amdhsa_exception_fp_ieee_underflow 0
		.amdhsa_exception_fp_ieee_inexact 0
		.amdhsa_exception_int_div_zero 0
	.end_amdhsa_kernel
	.section	.text._ZN7rocprim17ROCPRIM_400000_NS6detail17trampoline_kernelINS0_14default_configENS1_21merge_config_selectorIsNS0_10empty_typeEEEZNS1_10merge_implIS3_N6thrust23THRUST_200600_302600_NS6detail15normal_iteratorINS9_10device_ptrIKsEEEESF_NS9_16discard_iteratorINS9_11use_defaultEEEPS5_SJ_SJ_NS9_4lessIsEEEE10hipError_tPvRmT0_T1_T2_T3_T4_T5_mmT6_P12ihipStream_tbEUlT_E_NS1_11comp_targetILNS1_3genE10ELNS1_11target_archE1200ELNS1_3gpuE4ELNS1_3repE0EEENS1_30default_config_static_selectorELNS0_4arch9wavefront6targetE1EEEvSQ_,"axG",@progbits,_ZN7rocprim17ROCPRIM_400000_NS6detail17trampoline_kernelINS0_14default_configENS1_21merge_config_selectorIsNS0_10empty_typeEEEZNS1_10merge_implIS3_N6thrust23THRUST_200600_302600_NS6detail15normal_iteratorINS9_10device_ptrIKsEEEESF_NS9_16discard_iteratorINS9_11use_defaultEEEPS5_SJ_SJ_NS9_4lessIsEEEE10hipError_tPvRmT0_T1_T2_T3_T4_T5_mmT6_P12ihipStream_tbEUlT_E_NS1_11comp_targetILNS1_3genE10ELNS1_11target_archE1200ELNS1_3gpuE4ELNS1_3repE0EEENS1_30default_config_static_selectorELNS0_4arch9wavefront6targetE1EEEvSQ_,comdat
.Lfunc_end449:
	.size	_ZN7rocprim17ROCPRIM_400000_NS6detail17trampoline_kernelINS0_14default_configENS1_21merge_config_selectorIsNS0_10empty_typeEEEZNS1_10merge_implIS3_N6thrust23THRUST_200600_302600_NS6detail15normal_iteratorINS9_10device_ptrIKsEEEESF_NS9_16discard_iteratorINS9_11use_defaultEEEPS5_SJ_SJ_NS9_4lessIsEEEE10hipError_tPvRmT0_T1_T2_T3_T4_T5_mmT6_P12ihipStream_tbEUlT_E_NS1_11comp_targetILNS1_3genE10ELNS1_11target_archE1200ELNS1_3gpuE4ELNS1_3repE0EEENS1_30default_config_static_selectorELNS0_4arch9wavefront6targetE1EEEvSQ_, .Lfunc_end449-_ZN7rocprim17ROCPRIM_400000_NS6detail17trampoline_kernelINS0_14default_configENS1_21merge_config_selectorIsNS0_10empty_typeEEEZNS1_10merge_implIS3_N6thrust23THRUST_200600_302600_NS6detail15normal_iteratorINS9_10device_ptrIKsEEEESF_NS9_16discard_iteratorINS9_11use_defaultEEEPS5_SJ_SJ_NS9_4lessIsEEEE10hipError_tPvRmT0_T1_T2_T3_T4_T5_mmT6_P12ihipStream_tbEUlT_E_NS1_11comp_targetILNS1_3genE10ELNS1_11target_archE1200ELNS1_3gpuE4ELNS1_3repE0EEENS1_30default_config_static_selectorELNS0_4arch9wavefront6targetE1EEEvSQ_
                                        ; -- End function
	.section	.AMDGPU.csdata,"",@progbits
; Kernel info:
; codeLenInByte = 0
; NumSgprs: 4
; NumVgprs: 0
; NumAgprs: 0
; TotalNumVgprs: 0
; ScratchSize: 0
; MemoryBound: 0
; FloatMode: 240
; IeeeMode: 1
; LDSByteSize: 0 bytes/workgroup (compile time only)
; SGPRBlocks: 0
; VGPRBlocks: 0
; NumSGPRsForWavesPerEU: 4
; NumVGPRsForWavesPerEU: 1
; AccumOffset: 4
; Occupancy: 8
; WaveLimiterHint : 0
; COMPUTE_PGM_RSRC2:SCRATCH_EN: 0
; COMPUTE_PGM_RSRC2:USER_SGPR: 6
; COMPUTE_PGM_RSRC2:TRAP_HANDLER: 0
; COMPUTE_PGM_RSRC2:TGID_X_EN: 1
; COMPUTE_PGM_RSRC2:TGID_Y_EN: 0
; COMPUTE_PGM_RSRC2:TGID_Z_EN: 0
; COMPUTE_PGM_RSRC2:TIDIG_COMP_CNT: 0
; COMPUTE_PGM_RSRC3_GFX90A:ACCUM_OFFSET: 0
; COMPUTE_PGM_RSRC3_GFX90A:TG_SPLIT: 0
	.section	.text._ZN7rocprim17ROCPRIM_400000_NS6detail17trampoline_kernelINS0_14default_configENS1_21merge_config_selectorIsNS0_10empty_typeEEEZNS1_10merge_implIS3_N6thrust23THRUST_200600_302600_NS6detail15normal_iteratorINS9_10device_ptrIKsEEEESF_NS9_16discard_iteratorINS9_11use_defaultEEEPS5_SJ_SJ_NS9_4lessIsEEEE10hipError_tPvRmT0_T1_T2_T3_T4_T5_mmT6_P12ihipStream_tbEUlT_E_NS1_11comp_targetILNS1_3genE9ELNS1_11target_archE1100ELNS1_3gpuE3ELNS1_3repE0EEENS1_30default_config_static_selectorELNS0_4arch9wavefront6targetE1EEEvSQ_,"axG",@progbits,_ZN7rocprim17ROCPRIM_400000_NS6detail17trampoline_kernelINS0_14default_configENS1_21merge_config_selectorIsNS0_10empty_typeEEEZNS1_10merge_implIS3_N6thrust23THRUST_200600_302600_NS6detail15normal_iteratorINS9_10device_ptrIKsEEEESF_NS9_16discard_iteratorINS9_11use_defaultEEEPS5_SJ_SJ_NS9_4lessIsEEEE10hipError_tPvRmT0_T1_T2_T3_T4_T5_mmT6_P12ihipStream_tbEUlT_E_NS1_11comp_targetILNS1_3genE9ELNS1_11target_archE1100ELNS1_3gpuE3ELNS1_3repE0EEENS1_30default_config_static_selectorELNS0_4arch9wavefront6targetE1EEEvSQ_,comdat
	.protected	_ZN7rocprim17ROCPRIM_400000_NS6detail17trampoline_kernelINS0_14default_configENS1_21merge_config_selectorIsNS0_10empty_typeEEEZNS1_10merge_implIS3_N6thrust23THRUST_200600_302600_NS6detail15normal_iteratorINS9_10device_ptrIKsEEEESF_NS9_16discard_iteratorINS9_11use_defaultEEEPS5_SJ_SJ_NS9_4lessIsEEEE10hipError_tPvRmT0_T1_T2_T3_T4_T5_mmT6_P12ihipStream_tbEUlT_E_NS1_11comp_targetILNS1_3genE9ELNS1_11target_archE1100ELNS1_3gpuE3ELNS1_3repE0EEENS1_30default_config_static_selectorELNS0_4arch9wavefront6targetE1EEEvSQ_ ; -- Begin function _ZN7rocprim17ROCPRIM_400000_NS6detail17trampoline_kernelINS0_14default_configENS1_21merge_config_selectorIsNS0_10empty_typeEEEZNS1_10merge_implIS3_N6thrust23THRUST_200600_302600_NS6detail15normal_iteratorINS9_10device_ptrIKsEEEESF_NS9_16discard_iteratorINS9_11use_defaultEEEPS5_SJ_SJ_NS9_4lessIsEEEE10hipError_tPvRmT0_T1_T2_T3_T4_T5_mmT6_P12ihipStream_tbEUlT_E_NS1_11comp_targetILNS1_3genE9ELNS1_11target_archE1100ELNS1_3gpuE3ELNS1_3repE0EEENS1_30default_config_static_selectorELNS0_4arch9wavefront6targetE1EEEvSQ_
	.globl	_ZN7rocprim17ROCPRIM_400000_NS6detail17trampoline_kernelINS0_14default_configENS1_21merge_config_selectorIsNS0_10empty_typeEEEZNS1_10merge_implIS3_N6thrust23THRUST_200600_302600_NS6detail15normal_iteratorINS9_10device_ptrIKsEEEESF_NS9_16discard_iteratorINS9_11use_defaultEEEPS5_SJ_SJ_NS9_4lessIsEEEE10hipError_tPvRmT0_T1_T2_T3_T4_T5_mmT6_P12ihipStream_tbEUlT_E_NS1_11comp_targetILNS1_3genE9ELNS1_11target_archE1100ELNS1_3gpuE3ELNS1_3repE0EEENS1_30default_config_static_selectorELNS0_4arch9wavefront6targetE1EEEvSQ_
	.p2align	8
	.type	_ZN7rocprim17ROCPRIM_400000_NS6detail17trampoline_kernelINS0_14default_configENS1_21merge_config_selectorIsNS0_10empty_typeEEEZNS1_10merge_implIS3_N6thrust23THRUST_200600_302600_NS6detail15normal_iteratorINS9_10device_ptrIKsEEEESF_NS9_16discard_iteratorINS9_11use_defaultEEEPS5_SJ_SJ_NS9_4lessIsEEEE10hipError_tPvRmT0_T1_T2_T3_T4_T5_mmT6_P12ihipStream_tbEUlT_E_NS1_11comp_targetILNS1_3genE9ELNS1_11target_archE1100ELNS1_3gpuE3ELNS1_3repE0EEENS1_30default_config_static_selectorELNS0_4arch9wavefront6targetE1EEEvSQ_,@function
_ZN7rocprim17ROCPRIM_400000_NS6detail17trampoline_kernelINS0_14default_configENS1_21merge_config_selectorIsNS0_10empty_typeEEEZNS1_10merge_implIS3_N6thrust23THRUST_200600_302600_NS6detail15normal_iteratorINS9_10device_ptrIKsEEEESF_NS9_16discard_iteratorINS9_11use_defaultEEEPS5_SJ_SJ_NS9_4lessIsEEEE10hipError_tPvRmT0_T1_T2_T3_T4_T5_mmT6_P12ihipStream_tbEUlT_E_NS1_11comp_targetILNS1_3genE9ELNS1_11target_archE1100ELNS1_3gpuE3ELNS1_3repE0EEENS1_30default_config_static_selectorELNS0_4arch9wavefront6targetE1EEEvSQ_: ; @_ZN7rocprim17ROCPRIM_400000_NS6detail17trampoline_kernelINS0_14default_configENS1_21merge_config_selectorIsNS0_10empty_typeEEEZNS1_10merge_implIS3_N6thrust23THRUST_200600_302600_NS6detail15normal_iteratorINS9_10device_ptrIKsEEEESF_NS9_16discard_iteratorINS9_11use_defaultEEEPS5_SJ_SJ_NS9_4lessIsEEEE10hipError_tPvRmT0_T1_T2_T3_T4_T5_mmT6_P12ihipStream_tbEUlT_E_NS1_11comp_targetILNS1_3genE9ELNS1_11target_archE1100ELNS1_3gpuE3ELNS1_3repE0EEENS1_30default_config_static_selectorELNS0_4arch9wavefront6targetE1EEEvSQ_
; %bb.0:
	.section	.rodata,"a",@progbits
	.p2align	6, 0x0
	.amdhsa_kernel _ZN7rocprim17ROCPRIM_400000_NS6detail17trampoline_kernelINS0_14default_configENS1_21merge_config_selectorIsNS0_10empty_typeEEEZNS1_10merge_implIS3_N6thrust23THRUST_200600_302600_NS6detail15normal_iteratorINS9_10device_ptrIKsEEEESF_NS9_16discard_iteratorINS9_11use_defaultEEEPS5_SJ_SJ_NS9_4lessIsEEEE10hipError_tPvRmT0_T1_T2_T3_T4_T5_mmT6_P12ihipStream_tbEUlT_E_NS1_11comp_targetILNS1_3genE9ELNS1_11target_archE1100ELNS1_3gpuE3ELNS1_3repE0EEENS1_30default_config_static_selectorELNS0_4arch9wavefront6targetE1EEEvSQ_
		.amdhsa_group_segment_fixed_size 0
		.amdhsa_private_segment_fixed_size 0
		.amdhsa_kernarg_size 48
		.amdhsa_user_sgpr_count 6
		.amdhsa_user_sgpr_private_segment_buffer 1
		.amdhsa_user_sgpr_dispatch_ptr 0
		.amdhsa_user_sgpr_queue_ptr 0
		.amdhsa_user_sgpr_kernarg_segment_ptr 1
		.amdhsa_user_sgpr_dispatch_id 0
		.amdhsa_user_sgpr_flat_scratch_init 0
		.amdhsa_user_sgpr_kernarg_preload_length 0
		.amdhsa_user_sgpr_kernarg_preload_offset 0
		.amdhsa_user_sgpr_private_segment_size 0
		.amdhsa_uses_dynamic_stack 0
		.amdhsa_system_sgpr_private_segment_wavefront_offset 0
		.amdhsa_system_sgpr_workgroup_id_x 1
		.amdhsa_system_sgpr_workgroup_id_y 0
		.amdhsa_system_sgpr_workgroup_id_z 0
		.amdhsa_system_sgpr_workgroup_info 0
		.amdhsa_system_vgpr_workitem_id 0
		.amdhsa_next_free_vgpr 1
		.amdhsa_next_free_sgpr 0
		.amdhsa_accum_offset 4
		.amdhsa_reserve_vcc 0
		.amdhsa_reserve_flat_scratch 0
		.amdhsa_float_round_mode_32 0
		.amdhsa_float_round_mode_16_64 0
		.amdhsa_float_denorm_mode_32 3
		.amdhsa_float_denorm_mode_16_64 3
		.amdhsa_dx10_clamp 1
		.amdhsa_ieee_mode 1
		.amdhsa_fp16_overflow 0
		.amdhsa_tg_split 0
		.amdhsa_exception_fp_ieee_invalid_op 0
		.amdhsa_exception_fp_denorm_src 0
		.amdhsa_exception_fp_ieee_div_zero 0
		.amdhsa_exception_fp_ieee_overflow 0
		.amdhsa_exception_fp_ieee_underflow 0
		.amdhsa_exception_fp_ieee_inexact 0
		.amdhsa_exception_int_div_zero 0
	.end_amdhsa_kernel
	.section	.text._ZN7rocprim17ROCPRIM_400000_NS6detail17trampoline_kernelINS0_14default_configENS1_21merge_config_selectorIsNS0_10empty_typeEEEZNS1_10merge_implIS3_N6thrust23THRUST_200600_302600_NS6detail15normal_iteratorINS9_10device_ptrIKsEEEESF_NS9_16discard_iteratorINS9_11use_defaultEEEPS5_SJ_SJ_NS9_4lessIsEEEE10hipError_tPvRmT0_T1_T2_T3_T4_T5_mmT6_P12ihipStream_tbEUlT_E_NS1_11comp_targetILNS1_3genE9ELNS1_11target_archE1100ELNS1_3gpuE3ELNS1_3repE0EEENS1_30default_config_static_selectorELNS0_4arch9wavefront6targetE1EEEvSQ_,"axG",@progbits,_ZN7rocprim17ROCPRIM_400000_NS6detail17trampoline_kernelINS0_14default_configENS1_21merge_config_selectorIsNS0_10empty_typeEEEZNS1_10merge_implIS3_N6thrust23THRUST_200600_302600_NS6detail15normal_iteratorINS9_10device_ptrIKsEEEESF_NS9_16discard_iteratorINS9_11use_defaultEEEPS5_SJ_SJ_NS9_4lessIsEEEE10hipError_tPvRmT0_T1_T2_T3_T4_T5_mmT6_P12ihipStream_tbEUlT_E_NS1_11comp_targetILNS1_3genE9ELNS1_11target_archE1100ELNS1_3gpuE3ELNS1_3repE0EEENS1_30default_config_static_selectorELNS0_4arch9wavefront6targetE1EEEvSQ_,comdat
.Lfunc_end450:
	.size	_ZN7rocprim17ROCPRIM_400000_NS6detail17trampoline_kernelINS0_14default_configENS1_21merge_config_selectorIsNS0_10empty_typeEEEZNS1_10merge_implIS3_N6thrust23THRUST_200600_302600_NS6detail15normal_iteratorINS9_10device_ptrIKsEEEESF_NS9_16discard_iteratorINS9_11use_defaultEEEPS5_SJ_SJ_NS9_4lessIsEEEE10hipError_tPvRmT0_T1_T2_T3_T4_T5_mmT6_P12ihipStream_tbEUlT_E_NS1_11comp_targetILNS1_3genE9ELNS1_11target_archE1100ELNS1_3gpuE3ELNS1_3repE0EEENS1_30default_config_static_selectorELNS0_4arch9wavefront6targetE1EEEvSQ_, .Lfunc_end450-_ZN7rocprim17ROCPRIM_400000_NS6detail17trampoline_kernelINS0_14default_configENS1_21merge_config_selectorIsNS0_10empty_typeEEEZNS1_10merge_implIS3_N6thrust23THRUST_200600_302600_NS6detail15normal_iteratorINS9_10device_ptrIKsEEEESF_NS9_16discard_iteratorINS9_11use_defaultEEEPS5_SJ_SJ_NS9_4lessIsEEEE10hipError_tPvRmT0_T1_T2_T3_T4_T5_mmT6_P12ihipStream_tbEUlT_E_NS1_11comp_targetILNS1_3genE9ELNS1_11target_archE1100ELNS1_3gpuE3ELNS1_3repE0EEENS1_30default_config_static_selectorELNS0_4arch9wavefront6targetE1EEEvSQ_
                                        ; -- End function
	.section	.AMDGPU.csdata,"",@progbits
; Kernel info:
; codeLenInByte = 0
; NumSgprs: 4
; NumVgprs: 0
; NumAgprs: 0
; TotalNumVgprs: 0
; ScratchSize: 0
; MemoryBound: 0
; FloatMode: 240
; IeeeMode: 1
; LDSByteSize: 0 bytes/workgroup (compile time only)
; SGPRBlocks: 0
; VGPRBlocks: 0
; NumSGPRsForWavesPerEU: 4
; NumVGPRsForWavesPerEU: 1
; AccumOffset: 4
; Occupancy: 8
; WaveLimiterHint : 0
; COMPUTE_PGM_RSRC2:SCRATCH_EN: 0
; COMPUTE_PGM_RSRC2:USER_SGPR: 6
; COMPUTE_PGM_RSRC2:TRAP_HANDLER: 0
; COMPUTE_PGM_RSRC2:TGID_X_EN: 1
; COMPUTE_PGM_RSRC2:TGID_Y_EN: 0
; COMPUTE_PGM_RSRC2:TGID_Z_EN: 0
; COMPUTE_PGM_RSRC2:TIDIG_COMP_CNT: 0
; COMPUTE_PGM_RSRC3_GFX90A:ACCUM_OFFSET: 0
; COMPUTE_PGM_RSRC3_GFX90A:TG_SPLIT: 0
	.section	.text._ZN7rocprim17ROCPRIM_400000_NS6detail17trampoline_kernelINS0_14default_configENS1_21merge_config_selectorIsNS0_10empty_typeEEEZNS1_10merge_implIS3_N6thrust23THRUST_200600_302600_NS6detail15normal_iteratorINS9_10device_ptrIKsEEEESF_NS9_16discard_iteratorINS9_11use_defaultEEEPS5_SJ_SJ_NS9_4lessIsEEEE10hipError_tPvRmT0_T1_T2_T3_T4_T5_mmT6_P12ihipStream_tbEUlT_E_NS1_11comp_targetILNS1_3genE8ELNS1_11target_archE1030ELNS1_3gpuE2ELNS1_3repE0EEENS1_30default_config_static_selectorELNS0_4arch9wavefront6targetE1EEEvSQ_,"axG",@progbits,_ZN7rocprim17ROCPRIM_400000_NS6detail17trampoline_kernelINS0_14default_configENS1_21merge_config_selectorIsNS0_10empty_typeEEEZNS1_10merge_implIS3_N6thrust23THRUST_200600_302600_NS6detail15normal_iteratorINS9_10device_ptrIKsEEEESF_NS9_16discard_iteratorINS9_11use_defaultEEEPS5_SJ_SJ_NS9_4lessIsEEEE10hipError_tPvRmT0_T1_T2_T3_T4_T5_mmT6_P12ihipStream_tbEUlT_E_NS1_11comp_targetILNS1_3genE8ELNS1_11target_archE1030ELNS1_3gpuE2ELNS1_3repE0EEENS1_30default_config_static_selectorELNS0_4arch9wavefront6targetE1EEEvSQ_,comdat
	.protected	_ZN7rocprim17ROCPRIM_400000_NS6detail17trampoline_kernelINS0_14default_configENS1_21merge_config_selectorIsNS0_10empty_typeEEEZNS1_10merge_implIS3_N6thrust23THRUST_200600_302600_NS6detail15normal_iteratorINS9_10device_ptrIKsEEEESF_NS9_16discard_iteratorINS9_11use_defaultEEEPS5_SJ_SJ_NS9_4lessIsEEEE10hipError_tPvRmT0_T1_T2_T3_T4_T5_mmT6_P12ihipStream_tbEUlT_E_NS1_11comp_targetILNS1_3genE8ELNS1_11target_archE1030ELNS1_3gpuE2ELNS1_3repE0EEENS1_30default_config_static_selectorELNS0_4arch9wavefront6targetE1EEEvSQ_ ; -- Begin function _ZN7rocprim17ROCPRIM_400000_NS6detail17trampoline_kernelINS0_14default_configENS1_21merge_config_selectorIsNS0_10empty_typeEEEZNS1_10merge_implIS3_N6thrust23THRUST_200600_302600_NS6detail15normal_iteratorINS9_10device_ptrIKsEEEESF_NS9_16discard_iteratorINS9_11use_defaultEEEPS5_SJ_SJ_NS9_4lessIsEEEE10hipError_tPvRmT0_T1_T2_T3_T4_T5_mmT6_P12ihipStream_tbEUlT_E_NS1_11comp_targetILNS1_3genE8ELNS1_11target_archE1030ELNS1_3gpuE2ELNS1_3repE0EEENS1_30default_config_static_selectorELNS0_4arch9wavefront6targetE1EEEvSQ_
	.globl	_ZN7rocprim17ROCPRIM_400000_NS6detail17trampoline_kernelINS0_14default_configENS1_21merge_config_selectorIsNS0_10empty_typeEEEZNS1_10merge_implIS3_N6thrust23THRUST_200600_302600_NS6detail15normal_iteratorINS9_10device_ptrIKsEEEESF_NS9_16discard_iteratorINS9_11use_defaultEEEPS5_SJ_SJ_NS9_4lessIsEEEE10hipError_tPvRmT0_T1_T2_T3_T4_T5_mmT6_P12ihipStream_tbEUlT_E_NS1_11comp_targetILNS1_3genE8ELNS1_11target_archE1030ELNS1_3gpuE2ELNS1_3repE0EEENS1_30default_config_static_selectorELNS0_4arch9wavefront6targetE1EEEvSQ_
	.p2align	8
	.type	_ZN7rocprim17ROCPRIM_400000_NS6detail17trampoline_kernelINS0_14default_configENS1_21merge_config_selectorIsNS0_10empty_typeEEEZNS1_10merge_implIS3_N6thrust23THRUST_200600_302600_NS6detail15normal_iteratorINS9_10device_ptrIKsEEEESF_NS9_16discard_iteratorINS9_11use_defaultEEEPS5_SJ_SJ_NS9_4lessIsEEEE10hipError_tPvRmT0_T1_T2_T3_T4_T5_mmT6_P12ihipStream_tbEUlT_E_NS1_11comp_targetILNS1_3genE8ELNS1_11target_archE1030ELNS1_3gpuE2ELNS1_3repE0EEENS1_30default_config_static_selectorELNS0_4arch9wavefront6targetE1EEEvSQ_,@function
_ZN7rocprim17ROCPRIM_400000_NS6detail17trampoline_kernelINS0_14default_configENS1_21merge_config_selectorIsNS0_10empty_typeEEEZNS1_10merge_implIS3_N6thrust23THRUST_200600_302600_NS6detail15normal_iteratorINS9_10device_ptrIKsEEEESF_NS9_16discard_iteratorINS9_11use_defaultEEEPS5_SJ_SJ_NS9_4lessIsEEEE10hipError_tPvRmT0_T1_T2_T3_T4_T5_mmT6_P12ihipStream_tbEUlT_E_NS1_11comp_targetILNS1_3genE8ELNS1_11target_archE1030ELNS1_3gpuE2ELNS1_3repE0EEENS1_30default_config_static_selectorELNS0_4arch9wavefront6targetE1EEEvSQ_: ; @_ZN7rocprim17ROCPRIM_400000_NS6detail17trampoline_kernelINS0_14default_configENS1_21merge_config_selectorIsNS0_10empty_typeEEEZNS1_10merge_implIS3_N6thrust23THRUST_200600_302600_NS6detail15normal_iteratorINS9_10device_ptrIKsEEEESF_NS9_16discard_iteratorINS9_11use_defaultEEEPS5_SJ_SJ_NS9_4lessIsEEEE10hipError_tPvRmT0_T1_T2_T3_T4_T5_mmT6_P12ihipStream_tbEUlT_E_NS1_11comp_targetILNS1_3genE8ELNS1_11target_archE1030ELNS1_3gpuE2ELNS1_3repE0EEENS1_30default_config_static_selectorELNS0_4arch9wavefront6targetE1EEEvSQ_
; %bb.0:
	.section	.rodata,"a",@progbits
	.p2align	6, 0x0
	.amdhsa_kernel _ZN7rocprim17ROCPRIM_400000_NS6detail17trampoline_kernelINS0_14default_configENS1_21merge_config_selectorIsNS0_10empty_typeEEEZNS1_10merge_implIS3_N6thrust23THRUST_200600_302600_NS6detail15normal_iteratorINS9_10device_ptrIKsEEEESF_NS9_16discard_iteratorINS9_11use_defaultEEEPS5_SJ_SJ_NS9_4lessIsEEEE10hipError_tPvRmT0_T1_T2_T3_T4_T5_mmT6_P12ihipStream_tbEUlT_E_NS1_11comp_targetILNS1_3genE8ELNS1_11target_archE1030ELNS1_3gpuE2ELNS1_3repE0EEENS1_30default_config_static_selectorELNS0_4arch9wavefront6targetE1EEEvSQ_
		.amdhsa_group_segment_fixed_size 0
		.amdhsa_private_segment_fixed_size 0
		.amdhsa_kernarg_size 48
		.amdhsa_user_sgpr_count 6
		.amdhsa_user_sgpr_private_segment_buffer 1
		.amdhsa_user_sgpr_dispatch_ptr 0
		.amdhsa_user_sgpr_queue_ptr 0
		.amdhsa_user_sgpr_kernarg_segment_ptr 1
		.amdhsa_user_sgpr_dispatch_id 0
		.amdhsa_user_sgpr_flat_scratch_init 0
		.amdhsa_user_sgpr_kernarg_preload_length 0
		.amdhsa_user_sgpr_kernarg_preload_offset 0
		.amdhsa_user_sgpr_private_segment_size 0
		.amdhsa_uses_dynamic_stack 0
		.amdhsa_system_sgpr_private_segment_wavefront_offset 0
		.amdhsa_system_sgpr_workgroup_id_x 1
		.amdhsa_system_sgpr_workgroup_id_y 0
		.amdhsa_system_sgpr_workgroup_id_z 0
		.amdhsa_system_sgpr_workgroup_info 0
		.amdhsa_system_vgpr_workitem_id 0
		.amdhsa_next_free_vgpr 1
		.amdhsa_next_free_sgpr 0
		.amdhsa_accum_offset 4
		.amdhsa_reserve_vcc 0
		.amdhsa_reserve_flat_scratch 0
		.amdhsa_float_round_mode_32 0
		.amdhsa_float_round_mode_16_64 0
		.amdhsa_float_denorm_mode_32 3
		.amdhsa_float_denorm_mode_16_64 3
		.amdhsa_dx10_clamp 1
		.amdhsa_ieee_mode 1
		.amdhsa_fp16_overflow 0
		.amdhsa_tg_split 0
		.amdhsa_exception_fp_ieee_invalid_op 0
		.amdhsa_exception_fp_denorm_src 0
		.amdhsa_exception_fp_ieee_div_zero 0
		.amdhsa_exception_fp_ieee_overflow 0
		.amdhsa_exception_fp_ieee_underflow 0
		.amdhsa_exception_fp_ieee_inexact 0
		.amdhsa_exception_int_div_zero 0
	.end_amdhsa_kernel
	.section	.text._ZN7rocprim17ROCPRIM_400000_NS6detail17trampoline_kernelINS0_14default_configENS1_21merge_config_selectorIsNS0_10empty_typeEEEZNS1_10merge_implIS3_N6thrust23THRUST_200600_302600_NS6detail15normal_iteratorINS9_10device_ptrIKsEEEESF_NS9_16discard_iteratorINS9_11use_defaultEEEPS5_SJ_SJ_NS9_4lessIsEEEE10hipError_tPvRmT0_T1_T2_T3_T4_T5_mmT6_P12ihipStream_tbEUlT_E_NS1_11comp_targetILNS1_3genE8ELNS1_11target_archE1030ELNS1_3gpuE2ELNS1_3repE0EEENS1_30default_config_static_selectorELNS0_4arch9wavefront6targetE1EEEvSQ_,"axG",@progbits,_ZN7rocprim17ROCPRIM_400000_NS6detail17trampoline_kernelINS0_14default_configENS1_21merge_config_selectorIsNS0_10empty_typeEEEZNS1_10merge_implIS3_N6thrust23THRUST_200600_302600_NS6detail15normal_iteratorINS9_10device_ptrIKsEEEESF_NS9_16discard_iteratorINS9_11use_defaultEEEPS5_SJ_SJ_NS9_4lessIsEEEE10hipError_tPvRmT0_T1_T2_T3_T4_T5_mmT6_P12ihipStream_tbEUlT_E_NS1_11comp_targetILNS1_3genE8ELNS1_11target_archE1030ELNS1_3gpuE2ELNS1_3repE0EEENS1_30default_config_static_selectorELNS0_4arch9wavefront6targetE1EEEvSQ_,comdat
.Lfunc_end451:
	.size	_ZN7rocprim17ROCPRIM_400000_NS6detail17trampoline_kernelINS0_14default_configENS1_21merge_config_selectorIsNS0_10empty_typeEEEZNS1_10merge_implIS3_N6thrust23THRUST_200600_302600_NS6detail15normal_iteratorINS9_10device_ptrIKsEEEESF_NS9_16discard_iteratorINS9_11use_defaultEEEPS5_SJ_SJ_NS9_4lessIsEEEE10hipError_tPvRmT0_T1_T2_T3_T4_T5_mmT6_P12ihipStream_tbEUlT_E_NS1_11comp_targetILNS1_3genE8ELNS1_11target_archE1030ELNS1_3gpuE2ELNS1_3repE0EEENS1_30default_config_static_selectorELNS0_4arch9wavefront6targetE1EEEvSQ_, .Lfunc_end451-_ZN7rocprim17ROCPRIM_400000_NS6detail17trampoline_kernelINS0_14default_configENS1_21merge_config_selectorIsNS0_10empty_typeEEEZNS1_10merge_implIS3_N6thrust23THRUST_200600_302600_NS6detail15normal_iteratorINS9_10device_ptrIKsEEEESF_NS9_16discard_iteratorINS9_11use_defaultEEEPS5_SJ_SJ_NS9_4lessIsEEEE10hipError_tPvRmT0_T1_T2_T3_T4_T5_mmT6_P12ihipStream_tbEUlT_E_NS1_11comp_targetILNS1_3genE8ELNS1_11target_archE1030ELNS1_3gpuE2ELNS1_3repE0EEENS1_30default_config_static_selectorELNS0_4arch9wavefront6targetE1EEEvSQ_
                                        ; -- End function
	.section	.AMDGPU.csdata,"",@progbits
; Kernel info:
; codeLenInByte = 0
; NumSgprs: 4
; NumVgprs: 0
; NumAgprs: 0
; TotalNumVgprs: 0
; ScratchSize: 0
; MemoryBound: 0
; FloatMode: 240
; IeeeMode: 1
; LDSByteSize: 0 bytes/workgroup (compile time only)
; SGPRBlocks: 0
; VGPRBlocks: 0
; NumSGPRsForWavesPerEU: 4
; NumVGPRsForWavesPerEU: 1
; AccumOffset: 4
; Occupancy: 8
; WaveLimiterHint : 0
; COMPUTE_PGM_RSRC2:SCRATCH_EN: 0
; COMPUTE_PGM_RSRC2:USER_SGPR: 6
; COMPUTE_PGM_RSRC2:TRAP_HANDLER: 0
; COMPUTE_PGM_RSRC2:TGID_X_EN: 1
; COMPUTE_PGM_RSRC2:TGID_Y_EN: 0
; COMPUTE_PGM_RSRC2:TGID_Z_EN: 0
; COMPUTE_PGM_RSRC2:TIDIG_COMP_CNT: 0
; COMPUTE_PGM_RSRC3_GFX90A:ACCUM_OFFSET: 0
; COMPUTE_PGM_RSRC3_GFX90A:TG_SPLIT: 0
	.section	.text._ZN7rocprim17ROCPRIM_400000_NS6detail17trampoline_kernelINS0_14default_configENS1_21merge_config_selectorIsNS0_10empty_typeEEEZNS1_10merge_implIS3_N6thrust23THRUST_200600_302600_NS6detail15normal_iteratorINS9_10device_ptrIKsEEEESF_NS9_16discard_iteratorINS9_11use_defaultEEEPS5_SJ_SJ_NS9_4lessIsEEEE10hipError_tPvRmT0_T1_T2_T3_T4_T5_mmT6_P12ihipStream_tbEUlT_E0_NS1_11comp_targetILNS1_3genE0ELNS1_11target_archE4294967295ELNS1_3gpuE0ELNS1_3repE0EEENS1_30default_config_static_selectorELNS0_4arch9wavefront6targetE1EEEvSQ_,"axG",@progbits,_ZN7rocprim17ROCPRIM_400000_NS6detail17trampoline_kernelINS0_14default_configENS1_21merge_config_selectorIsNS0_10empty_typeEEEZNS1_10merge_implIS3_N6thrust23THRUST_200600_302600_NS6detail15normal_iteratorINS9_10device_ptrIKsEEEESF_NS9_16discard_iteratorINS9_11use_defaultEEEPS5_SJ_SJ_NS9_4lessIsEEEE10hipError_tPvRmT0_T1_T2_T3_T4_T5_mmT6_P12ihipStream_tbEUlT_E0_NS1_11comp_targetILNS1_3genE0ELNS1_11target_archE4294967295ELNS1_3gpuE0ELNS1_3repE0EEENS1_30default_config_static_selectorELNS0_4arch9wavefront6targetE1EEEvSQ_,comdat
	.protected	_ZN7rocprim17ROCPRIM_400000_NS6detail17trampoline_kernelINS0_14default_configENS1_21merge_config_selectorIsNS0_10empty_typeEEEZNS1_10merge_implIS3_N6thrust23THRUST_200600_302600_NS6detail15normal_iteratorINS9_10device_ptrIKsEEEESF_NS9_16discard_iteratorINS9_11use_defaultEEEPS5_SJ_SJ_NS9_4lessIsEEEE10hipError_tPvRmT0_T1_T2_T3_T4_T5_mmT6_P12ihipStream_tbEUlT_E0_NS1_11comp_targetILNS1_3genE0ELNS1_11target_archE4294967295ELNS1_3gpuE0ELNS1_3repE0EEENS1_30default_config_static_selectorELNS0_4arch9wavefront6targetE1EEEvSQ_ ; -- Begin function _ZN7rocprim17ROCPRIM_400000_NS6detail17trampoline_kernelINS0_14default_configENS1_21merge_config_selectorIsNS0_10empty_typeEEEZNS1_10merge_implIS3_N6thrust23THRUST_200600_302600_NS6detail15normal_iteratorINS9_10device_ptrIKsEEEESF_NS9_16discard_iteratorINS9_11use_defaultEEEPS5_SJ_SJ_NS9_4lessIsEEEE10hipError_tPvRmT0_T1_T2_T3_T4_T5_mmT6_P12ihipStream_tbEUlT_E0_NS1_11comp_targetILNS1_3genE0ELNS1_11target_archE4294967295ELNS1_3gpuE0ELNS1_3repE0EEENS1_30default_config_static_selectorELNS0_4arch9wavefront6targetE1EEEvSQ_
	.globl	_ZN7rocprim17ROCPRIM_400000_NS6detail17trampoline_kernelINS0_14default_configENS1_21merge_config_selectorIsNS0_10empty_typeEEEZNS1_10merge_implIS3_N6thrust23THRUST_200600_302600_NS6detail15normal_iteratorINS9_10device_ptrIKsEEEESF_NS9_16discard_iteratorINS9_11use_defaultEEEPS5_SJ_SJ_NS9_4lessIsEEEE10hipError_tPvRmT0_T1_T2_T3_T4_T5_mmT6_P12ihipStream_tbEUlT_E0_NS1_11comp_targetILNS1_3genE0ELNS1_11target_archE4294967295ELNS1_3gpuE0ELNS1_3repE0EEENS1_30default_config_static_selectorELNS0_4arch9wavefront6targetE1EEEvSQ_
	.p2align	8
	.type	_ZN7rocprim17ROCPRIM_400000_NS6detail17trampoline_kernelINS0_14default_configENS1_21merge_config_selectorIsNS0_10empty_typeEEEZNS1_10merge_implIS3_N6thrust23THRUST_200600_302600_NS6detail15normal_iteratorINS9_10device_ptrIKsEEEESF_NS9_16discard_iteratorINS9_11use_defaultEEEPS5_SJ_SJ_NS9_4lessIsEEEE10hipError_tPvRmT0_T1_T2_T3_T4_T5_mmT6_P12ihipStream_tbEUlT_E0_NS1_11comp_targetILNS1_3genE0ELNS1_11target_archE4294967295ELNS1_3gpuE0ELNS1_3repE0EEENS1_30default_config_static_selectorELNS0_4arch9wavefront6targetE1EEEvSQ_,@function
_ZN7rocprim17ROCPRIM_400000_NS6detail17trampoline_kernelINS0_14default_configENS1_21merge_config_selectorIsNS0_10empty_typeEEEZNS1_10merge_implIS3_N6thrust23THRUST_200600_302600_NS6detail15normal_iteratorINS9_10device_ptrIKsEEEESF_NS9_16discard_iteratorINS9_11use_defaultEEEPS5_SJ_SJ_NS9_4lessIsEEEE10hipError_tPvRmT0_T1_T2_T3_T4_T5_mmT6_P12ihipStream_tbEUlT_E0_NS1_11comp_targetILNS1_3genE0ELNS1_11target_archE4294967295ELNS1_3gpuE0ELNS1_3repE0EEENS1_30default_config_static_selectorELNS0_4arch9wavefront6targetE1EEEvSQ_: ; @_ZN7rocprim17ROCPRIM_400000_NS6detail17trampoline_kernelINS0_14default_configENS1_21merge_config_selectorIsNS0_10empty_typeEEEZNS1_10merge_implIS3_N6thrust23THRUST_200600_302600_NS6detail15normal_iteratorINS9_10device_ptrIKsEEEESF_NS9_16discard_iteratorINS9_11use_defaultEEEPS5_SJ_SJ_NS9_4lessIsEEEE10hipError_tPvRmT0_T1_T2_T3_T4_T5_mmT6_P12ihipStream_tbEUlT_E0_NS1_11comp_targetILNS1_3genE0ELNS1_11target_archE4294967295ELNS1_3gpuE0ELNS1_3repE0EEENS1_30default_config_static_selectorELNS0_4arch9wavefront6targetE1EEEvSQ_
; %bb.0:
	.section	.rodata,"a",@progbits
	.p2align	6, 0x0
	.amdhsa_kernel _ZN7rocprim17ROCPRIM_400000_NS6detail17trampoline_kernelINS0_14default_configENS1_21merge_config_selectorIsNS0_10empty_typeEEEZNS1_10merge_implIS3_N6thrust23THRUST_200600_302600_NS6detail15normal_iteratorINS9_10device_ptrIKsEEEESF_NS9_16discard_iteratorINS9_11use_defaultEEEPS5_SJ_SJ_NS9_4lessIsEEEE10hipError_tPvRmT0_T1_T2_T3_T4_T5_mmT6_P12ihipStream_tbEUlT_E0_NS1_11comp_targetILNS1_3genE0ELNS1_11target_archE4294967295ELNS1_3gpuE0ELNS1_3repE0EEENS1_30default_config_static_selectorELNS0_4arch9wavefront6targetE1EEEvSQ_
		.amdhsa_group_segment_fixed_size 0
		.amdhsa_private_segment_fixed_size 0
		.amdhsa_kernarg_size 96
		.amdhsa_user_sgpr_count 6
		.amdhsa_user_sgpr_private_segment_buffer 1
		.amdhsa_user_sgpr_dispatch_ptr 0
		.amdhsa_user_sgpr_queue_ptr 0
		.amdhsa_user_sgpr_kernarg_segment_ptr 1
		.amdhsa_user_sgpr_dispatch_id 0
		.amdhsa_user_sgpr_flat_scratch_init 0
		.amdhsa_user_sgpr_kernarg_preload_length 0
		.amdhsa_user_sgpr_kernarg_preload_offset 0
		.amdhsa_user_sgpr_private_segment_size 0
		.amdhsa_uses_dynamic_stack 0
		.amdhsa_system_sgpr_private_segment_wavefront_offset 0
		.amdhsa_system_sgpr_workgroup_id_x 1
		.amdhsa_system_sgpr_workgroup_id_y 0
		.amdhsa_system_sgpr_workgroup_id_z 0
		.amdhsa_system_sgpr_workgroup_info 0
		.amdhsa_system_vgpr_workitem_id 0
		.amdhsa_next_free_vgpr 1
		.amdhsa_next_free_sgpr 0
		.amdhsa_accum_offset 4
		.amdhsa_reserve_vcc 0
		.amdhsa_reserve_flat_scratch 0
		.amdhsa_float_round_mode_32 0
		.amdhsa_float_round_mode_16_64 0
		.amdhsa_float_denorm_mode_32 3
		.amdhsa_float_denorm_mode_16_64 3
		.amdhsa_dx10_clamp 1
		.amdhsa_ieee_mode 1
		.amdhsa_fp16_overflow 0
		.amdhsa_tg_split 0
		.amdhsa_exception_fp_ieee_invalid_op 0
		.amdhsa_exception_fp_denorm_src 0
		.amdhsa_exception_fp_ieee_div_zero 0
		.amdhsa_exception_fp_ieee_overflow 0
		.amdhsa_exception_fp_ieee_underflow 0
		.amdhsa_exception_fp_ieee_inexact 0
		.amdhsa_exception_int_div_zero 0
	.end_amdhsa_kernel
	.section	.text._ZN7rocprim17ROCPRIM_400000_NS6detail17trampoline_kernelINS0_14default_configENS1_21merge_config_selectorIsNS0_10empty_typeEEEZNS1_10merge_implIS3_N6thrust23THRUST_200600_302600_NS6detail15normal_iteratorINS9_10device_ptrIKsEEEESF_NS9_16discard_iteratorINS9_11use_defaultEEEPS5_SJ_SJ_NS9_4lessIsEEEE10hipError_tPvRmT0_T1_T2_T3_T4_T5_mmT6_P12ihipStream_tbEUlT_E0_NS1_11comp_targetILNS1_3genE0ELNS1_11target_archE4294967295ELNS1_3gpuE0ELNS1_3repE0EEENS1_30default_config_static_selectorELNS0_4arch9wavefront6targetE1EEEvSQ_,"axG",@progbits,_ZN7rocprim17ROCPRIM_400000_NS6detail17trampoline_kernelINS0_14default_configENS1_21merge_config_selectorIsNS0_10empty_typeEEEZNS1_10merge_implIS3_N6thrust23THRUST_200600_302600_NS6detail15normal_iteratorINS9_10device_ptrIKsEEEESF_NS9_16discard_iteratorINS9_11use_defaultEEEPS5_SJ_SJ_NS9_4lessIsEEEE10hipError_tPvRmT0_T1_T2_T3_T4_T5_mmT6_P12ihipStream_tbEUlT_E0_NS1_11comp_targetILNS1_3genE0ELNS1_11target_archE4294967295ELNS1_3gpuE0ELNS1_3repE0EEENS1_30default_config_static_selectorELNS0_4arch9wavefront6targetE1EEEvSQ_,comdat
.Lfunc_end452:
	.size	_ZN7rocprim17ROCPRIM_400000_NS6detail17trampoline_kernelINS0_14default_configENS1_21merge_config_selectorIsNS0_10empty_typeEEEZNS1_10merge_implIS3_N6thrust23THRUST_200600_302600_NS6detail15normal_iteratorINS9_10device_ptrIKsEEEESF_NS9_16discard_iteratorINS9_11use_defaultEEEPS5_SJ_SJ_NS9_4lessIsEEEE10hipError_tPvRmT0_T1_T2_T3_T4_T5_mmT6_P12ihipStream_tbEUlT_E0_NS1_11comp_targetILNS1_3genE0ELNS1_11target_archE4294967295ELNS1_3gpuE0ELNS1_3repE0EEENS1_30default_config_static_selectorELNS0_4arch9wavefront6targetE1EEEvSQ_, .Lfunc_end452-_ZN7rocprim17ROCPRIM_400000_NS6detail17trampoline_kernelINS0_14default_configENS1_21merge_config_selectorIsNS0_10empty_typeEEEZNS1_10merge_implIS3_N6thrust23THRUST_200600_302600_NS6detail15normal_iteratorINS9_10device_ptrIKsEEEESF_NS9_16discard_iteratorINS9_11use_defaultEEEPS5_SJ_SJ_NS9_4lessIsEEEE10hipError_tPvRmT0_T1_T2_T3_T4_T5_mmT6_P12ihipStream_tbEUlT_E0_NS1_11comp_targetILNS1_3genE0ELNS1_11target_archE4294967295ELNS1_3gpuE0ELNS1_3repE0EEENS1_30default_config_static_selectorELNS0_4arch9wavefront6targetE1EEEvSQ_
                                        ; -- End function
	.section	.AMDGPU.csdata,"",@progbits
; Kernel info:
; codeLenInByte = 0
; NumSgprs: 4
; NumVgprs: 0
; NumAgprs: 0
; TotalNumVgprs: 0
; ScratchSize: 0
; MemoryBound: 0
; FloatMode: 240
; IeeeMode: 1
; LDSByteSize: 0 bytes/workgroup (compile time only)
; SGPRBlocks: 0
; VGPRBlocks: 0
; NumSGPRsForWavesPerEU: 4
; NumVGPRsForWavesPerEU: 1
; AccumOffset: 4
; Occupancy: 8
; WaveLimiterHint : 0
; COMPUTE_PGM_RSRC2:SCRATCH_EN: 0
; COMPUTE_PGM_RSRC2:USER_SGPR: 6
; COMPUTE_PGM_RSRC2:TRAP_HANDLER: 0
; COMPUTE_PGM_RSRC2:TGID_X_EN: 1
; COMPUTE_PGM_RSRC2:TGID_Y_EN: 0
; COMPUTE_PGM_RSRC2:TGID_Z_EN: 0
; COMPUTE_PGM_RSRC2:TIDIG_COMP_CNT: 0
; COMPUTE_PGM_RSRC3_GFX90A:ACCUM_OFFSET: 0
; COMPUTE_PGM_RSRC3_GFX90A:TG_SPLIT: 0
	.section	.text._ZN7rocprim17ROCPRIM_400000_NS6detail17trampoline_kernelINS0_14default_configENS1_21merge_config_selectorIsNS0_10empty_typeEEEZNS1_10merge_implIS3_N6thrust23THRUST_200600_302600_NS6detail15normal_iteratorINS9_10device_ptrIKsEEEESF_NS9_16discard_iteratorINS9_11use_defaultEEEPS5_SJ_SJ_NS9_4lessIsEEEE10hipError_tPvRmT0_T1_T2_T3_T4_T5_mmT6_P12ihipStream_tbEUlT_E0_NS1_11comp_targetILNS1_3genE5ELNS1_11target_archE942ELNS1_3gpuE9ELNS1_3repE0EEENS1_30default_config_static_selectorELNS0_4arch9wavefront6targetE1EEEvSQ_,"axG",@progbits,_ZN7rocprim17ROCPRIM_400000_NS6detail17trampoline_kernelINS0_14default_configENS1_21merge_config_selectorIsNS0_10empty_typeEEEZNS1_10merge_implIS3_N6thrust23THRUST_200600_302600_NS6detail15normal_iteratorINS9_10device_ptrIKsEEEESF_NS9_16discard_iteratorINS9_11use_defaultEEEPS5_SJ_SJ_NS9_4lessIsEEEE10hipError_tPvRmT0_T1_T2_T3_T4_T5_mmT6_P12ihipStream_tbEUlT_E0_NS1_11comp_targetILNS1_3genE5ELNS1_11target_archE942ELNS1_3gpuE9ELNS1_3repE0EEENS1_30default_config_static_selectorELNS0_4arch9wavefront6targetE1EEEvSQ_,comdat
	.protected	_ZN7rocprim17ROCPRIM_400000_NS6detail17trampoline_kernelINS0_14default_configENS1_21merge_config_selectorIsNS0_10empty_typeEEEZNS1_10merge_implIS3_N6thrust23THRUST_200600_302600_NS6detail15normal_iteratorINS9_10device_ptrIKsEEEESF_NS9_16discard_iteratorINS9_11use_defaultEEEPS5_SJ_SJ_NS9_4lessIsEEEE10hipError_tPvRmT0_T1_T2_T3_T4_T5_mmT6_P12ihipStream_tbEUlT_E0_NS1_11comp_targetILNS1_3genE5ELNS1_11target_archE942ELNS1_3gpuE9ELNS1_3repE0EEENS1_30default_config_static_selectorELNS0_4arch9wavefront6targetE1EEEvSQ_ ; -- Begin function _ZN7rocprim17ROCPRIM_400000_NS6detail17trampoline_kernelINS0_14default_configENS1_21merge_config_selectorIsNS0_10empty_typeEEEZNS1_10merge_implIS3_N6thrust23THRUST_200600_302600_NS6detail15normal_iteratorINS9_10device_ptrIKsEEEESF_NS9_16discard_iteratorINS9_11use_defaultEEEPS5_SJ_SJ_NS9_4lessIsEEEE10hipError_tPvRmT0_T1_T2_T3_T4_T5_mmT6_P12ihipStream_tbEUlT_E0_NS1_11comp_targetILNS1_3genE5ELNS1_11target_archE942ELNS1_3gpuE9ELNS1_3repE0EEENS1_30default_config_static_selectorELNS0_4arch9wavefront6targetE1EEEvSQ_
	.globl	_ZN7rocprim17ROCPRIM_400000_NS6detail17trampoline_kernelINS0_14default_configENS1_21merge_config_selectorIsNS0_10empty_typeEEEZNS1_10merge_implIS3_N6thrust23THRUST_200600_302600_NS6detail15normal_iteratorINS9_10device_ptrIKsEEEESF_NS9_16discard_iteratorINS9_11use_defaultEEEPS5_SJ_SJ_NS9_4lessIsEEEE10hipError_tPvRmT0_T1_T2_T3_T4_T5_mmT6_P12ihipStream_tbEUlT_E0_NS1_11comp_targetILNS1_3genE5ELNS1_11target_archE942ELNS1_3gpuE9ELNS1_3repE0EEENS1_30default_config_static_selectorELNS0_4arch9wavefront6targetE1EEEvSQ_
	.p2align	8
	.type	_ZN7rocprim17ROCPRIM_400000_NS6detail17trampoline_kernelINS0_14default_configENS1_21merge_config_selectorIsNS0_10empty_typeEEEZNS1_10merge_implIS3_N6thrust23THRUST_200600_302600_NS6detail15normal_iteratorINS9_10device_ptrIKsEEEESF_NS9_16discard_iteratorINS9_11use_defaultEEEPS5_SJ_SJ_NS9_4lessIsEEEE10hipError_tPvRmT0_T1_T2_T3_T4_T5_mmT6_P12ihipStream_tbEUlT_E0_NS1_11comp_targetILNS1_3genE5ELNS1_11target_archE942ELNS1_3gpuE9ELNS1_3repE0EEENS1_30default_config_static_selectorELNS0_4arch9wavefront6targetE1EEEvSQ_,@function
_ZN7rocprim17ROCPRIM_400000_NS6detail17trampoline_kernelINS0_14default_configENS1_21merge_config_selectorIsNS0_10empty_typeEEEZNS1_10merge_implIS3_N6thrust23THRUST_200600_302600_NS6detail15normal_iteratorINS9_10device_ptrIKsEEEESF_NS9_16discard_iteratorINS9_11use_defaultEEEPS5_SJ_SJ_NS9_4lessIsEEEE10hipError_tPvRmT0_T1_T2_T3_T4_T5_mmT6_P12ihipStream_tbEUlT_E0_NS1_11comp_targetILNS1_3genE5ELNS1_11target_archE942ELNS1_3gpuE9ELNS1_3repE0EEENS1_30default_config_static_selectorELNS0_4arch9wavefront6targetE1EEEvSQ_: ; @_ZN7rocprim17ROCPRIM_400000_NS6detail17trampoline_kernelINS0_14default_configENS1_21merge_config_selectorIsNS0_10empty_typeEEEZNS1_10merge_implIS3_N6thrust23THRUST_200600_302600_NS6detail15normal_iteratorINS9_10device_ptrIKsEEEESF_NS9_16discard_iteratorINS9_11use_defaultEEEPS5_SJ_SJ_NS9_4lessIsEEEE10hipError_tPvRmT0_T1_T2_T3_T4_T5_mmT6_P12ihipStream_tbEUlT_E0_NS1_11comp_targetILNS1_3genE5ELNS1_11target_archE942ELNS1_3gpuE9ELNS1_3repE0EEENS1_30default_config_static_selectorELNS0_4arch9wavefront6targetE1EEEvSQ_
; %bb.0:
	.section	.rodata,"a",@progbits
	.p2align	6, 0x0
	.amdhsa_kernel _ZN7rocprim17ROCPRIM_400000_NS6detail17trampoline_kernelINS0_14default_configENS1_21merge_config_selectorIsNS0_10empty_typeEEEZNS1_10merge_implIS3_N6thrust23THRUST_200600_302600_NS6detail15normal_iteratorINS9_10device_ptrIKsEEEESF_NS9_16discard_iteratorINS9_11use_defaultEEEPS5_SJ_SJ_NS9_4lessIsEEEE10hipError_tPvRmT0_T1_T2_T3_T4_T5_mmT6_P12ihipStream_tbEUlT_E0_NS1_11comp_targetILNS1_3genE5ELNS1_11target_archE942ELNS1_3gpuE9ELNS1_3repE0EEENS1_30default_config_static_selectorELNS0_4arch9wavefront6targetE1EEEvSQ_
		.amdhsa_group_segment_fixed_size 0
		.amdhsa_private_segment_fixed_size 0
		.amdhsa_kernarg_size 96
		.amdhsa_user_sgpr_count 6
		.amdhsa_user_sgpr_private_segment_buffer 1
		.amdhsa_user_sgpr_dispatch_ptr 0
		.amdhsa_user_sgpr_queue_ptr 0
		.amdhsa_user_sgpr_kernarg_segment_ptr 1
		.amdhsa_user_sgpr_dispatch_id 0
		.amdhsa_user_sgpr_flat_scratch_init 0
		.amdhsa_user_sgpr_kernarg_preload_length 0
		.amdhsa_user_sgpr_kernarg_preload_offset 0
		.amdhsa_user_sgpr_private_segment_size 0
		.amdhsa_uses_dynamic_stack 0
		.amdhsa_system_sgpr_private_segment_wavefront_offset 0
		.amdhsa_system_sgpr_workgroup_id_x 1
		.amdhsa_system_sgpr_workgroup_id_y 0
		.amdhsa_system_sgpr_workgroup_id_z 0
		.amdhsa_system_sgpr_workgroup_info 0
		.amdhsa_system_vgpr_workitem_id 0
		.amdhsa_next_free_vgpr 1
		.amdhsa_next_free_sgpr 0
		.amdhsa_accum_offset 4
		.amdhsa_reserve_vcc 0
		.amdhsa_reserve_flat_scratch 0
		.amdhsa_float_round_mode_32 0
		.amdhsa_float_round_mode_16_64 0
		.amdhsa_float_denorm_mode_32 3
		.amdhsa_float_denorm_mode_16_64 3
		.amdhsa_dx10_clamp 1
		.amdhsa_ieee_mode 1
		.amdhsa_fp16_overflow 0
		.amdhsa_tg_split 0
		.amdhsa_exception_fp_ieee_invalid_op 0
		.amdhsa_exception_fp_denorm_src 0
		.amdhsa_exception_fp_ieee_div_zero 0
		.amdhsa_exception_fp_ieee_overflow 0
		.amdhsa_exception_fp_ieee_underflow 0
		.amdhsa_exception_fp_ieee_inexact 0
		.amdhsa_exception_int_div_zero 0
	.end_amdhsa_kernel
	.section	.text._ZN7rocprim17ROCPRIM_400000_NS6detail17trampoline_kernelINS0_14default_configENS1_21merge_config_selectorIsNS0_10empty_typeEEEZNS1_10merge_implIS3_N6thrust23THRUST_200600_302600_NS6detail15normal_iteratorINS9_10device_ptrIKsEEEESF_NS9_16discard_iteratorINS9_11use_defaultEEEPS5_SJ_SJ_NS9_4lessIsEEEE10hipError_tPvRmT0_T1_T2_T3_T4_T5_mmT6_P12ihipStream_tbEUlT_E0_NS1_11comp_targetILNS1_3genE5ELNS1_11target_archE942ELNS1_3gpuE9ELNS1_3repE0EEENS1_30default_config_static_selectorELNS0_4arch9wavefront6targetE1EEEvSQ_,"axG",@progbits,_ZN7rocprim17ROCPRIM_400000_NS6detail17trampoline_kernelINS0_14default_configENS1_21merge_config_selectorIsNS0_10empty_typeEEEZNS1_10merge_implIS3_N6thrust23THRUST_200600_302600_NS6detail15normal_iteratorINS9_10device_ptrIKsEEEESF_NS9_16discard_iteratorINS9_11use_defaultEEEPS5_SJ_SJ_NS9_4lessIsEEEE10hipError_tPvRmT0_T1_T2_T3_T4_T5_mmT6_P12ihipStream_tbEUlT_E0_NS1_11comp_targetILNS1_3genE5ELNS1_11target_archE942ELNS1_3gpuE9ELNS1_3repE0EEENS1_30default_config_static_selectorELNS0_4arch9wavefront6targetE1EEEvSQ_,comdat
.Lfunc_end453:
	.size	_ZN7rocprim17ROCPRIM_400000_NS6detail17trampoline_kernelINS0_14default_configENS1_21merge_config_selectorIsNS0_10empty_typeEEEZNS1_10merge_implIS3_N6thrust23THRUST_200600_302600_NS6detail15normal_iteratorINS9_10device_ptrIKsEEEESF_NS9_16discard_iteratorINS9_11use_defaultEEEPS5_SJ_SJ_NS9_4lessIsEEEE10hipError_tPvRmT0_T1_T2_T3_T4_T5_mmT6_P12ihipStream_tbEUlT_E0_NS1_11comp_targetILNS1_3genE5ELNS1_11target_archE942ELNS1_3gpuE9ELNS1_3repE0EEENS1_30default_config_static_selectorELNS0_4arch9wavefront6targetE1EEEvSQ_, .Lfunc_end453-_ZN7rocprim17ROCPRIM_400000_NS6detail17trampoline_kernelINS0_14default_configENS1_21merge_config_selectorIsNS0_10empty_typeEEEZNS1_10merge_implIS3_N6thrust23THRUST_200600_302600_NS6detail15normal_iteratorINS9_10device_ptrIKsEEEESF_NS9_16discard_iteratorINS9_11use_defaultEEEPS5_SJ_SJ_NS9_4lessIsEEEE10hipError_tPvRmT0_T1_T2_T3_T4_T5_mmT6_P12ihipStream_tbEUlT_E0_NS1_11comp_targetILNS1_3genE5ELNS1_11target_archE942ELNS1_3gpuE9ELNS1_3repE0EEENS1_30default_config_static_selectorELNS0_4arch9wavefront6targetE1EEEvSQ_
                                        ; -- End function
	.section	.AMDGPU.csdata,"",@progbits
; Kernel info:
; codeLenInByte = 0
; NumSgprs: 4
; NumVgprs: 0
; NumAgprs: 0
; TotalNumVgprs: 0
; ScratchSize: 0
; MemoryBound: 0
; FloatMode: 240
; IeeeMode: 1
; LDSByteSize: 0 bytes/workgroup (compile time only)
; SGPRBlocks: 0
; VGPRBlocks: 0
; NumSGPRsForWavesPerEU: 4
; NumVGPRsForWavesPerEU: 1
; AccumOffset: 4
; Occupancy: 8
; WaveLimiterHint : 0
; COMPUTE_PGM_RSRC2:SCRATCH_EN: 0
; COMPUTE_PGM_RSRC2:USER_SGPR: 6
; COMPUTE_PGM_RSRC2:TRAP_HANDLER: 0
; COMPUTE_PGM_RSRC2:TGID_X_EN: 1
; COMPUTE_PGM_RSRC2:TGID_Y_EN: 0
; COMPUTE_PGM_RSRC2:TGID_Z_EN: 0
; COMPUTE_PGM_RSRC2:TIDIG_COMP_CNT: 0
; COMPUTE_PGM_RSRC3_GFX90A:ACCUM_OFFSET: 0
; COMPUTE_PGM_RSRC3_GFX90A:TG_SPLIT: 0
	.section	.text._ZN7rocprim17ROCPRIM_400000_NS6detail17trampoline_kernelINS0_14default_configENS1_21merge_config_selectorIsNS0_10empty_typeEEEZNS1_10merge_implIS3_N6thrust23THRUST_200600_302600_NS6detail15normal_iteratorINS9_10device_ptrIKsEEEESF_NS9_16discard_iteratorINS9_11use_defaultEEEPS5_SJ_SJ_NS9_4lessIsEEEE10hipError_tPvRmT0_T1_T2_T3_T4_T5_mmT6_P12ihipStream_tbEUlT_E0_NS1_11comp_targetILNS1_3genE4ELNS1_11target_archE910ELNS1_3gpuE8ELNS1_3repE0EEENS1_30default_config_static_selectorELNS0_4arch9wavefront6targetE1EEEvSQ_,"axG",@progbits,_ZN7rocprim17ROCPRIM_400000_NS6detail17trampoline_kernelINS0_14default_configENS1_21merge_config_selectorIsNS0_10empty_typeEEEZNS1_10merge_implIS3_N6thrust23THRUST_200600_302600_NS6detail15normal_iteratorINS9_10device_ptrIKsEEEESF_NS9_16discard_iteratorINS9_11use_defaultEEEPS5_SJ_SJ_NS9_4lessIsEEEE10hipError_tPvRmT0_T1_T2_T3_T4_T5_mmT6_P12ihipStream_tbEUlT_E0_NS1_11comp_targetILNS1_3genE4ELNS1_11target_archE910ELNS1_3gpuE8ELNS1_3repE0EEENS1_30default_config_static_selectorELNS0_4arch9wavefront6targetE1EEEvSQ_,comdat
	.protected	_ZN7rocprim17ROCPRIM_400000_NS6detail17trampoline_kernelINS0_14default_configENS1_21merge_config_selectorIsNS0_10empty_typeEEEZNS1_10merge_implIS3_N6thrust23THRUST_200600_302600_NS6detail15normal_iteratorINS9_10device_ptrIKsEEEESF_NS9_16discard_iteratorINS9_11use_defaultEEEPS5_SJ_SJ_NS9_4lessIsEEEE10hipError_tPvRmT0_T1_T2_T3_T4_T5_mmT6_P12ihipStream_tbEUlT_E0_NS1_11comp_targetILNS1_3genE4ELNS1_11target_archE910ELNS1_3gpuE8ELNS1_3repE0EEENS1_30default_config_static_selectorELNS0_4arch9wavefront6targetE1EEEvSQ_ ; -- Begin function _ZN7rocprim17ROCPRIM_400000_NS6detail17trampoline_kernelINS0_14default_configENS1_21merge_config_selectorIsNS0_10empty_typeEEEZNS1_10merge_implIS3_N6thrust23THRUST_200600_302600_NS6detail15normal_iteratorINS9_10device_ptrIKsEEEESF_NS9_16discard_iteratorINS9_11use_defaultEEEPS5_SJ_SJ_NS9_4lessIsEEEE10hipError_tPvRmT0_T1_T2_T3_T4_T5_mmT6_P12ihipStream_tbEUlT_E0_NS1_11comp_targetILNS1_3genE4ELNS1_11target_archE910ELNS1_3gpuE8ELNS1_3repE0EEENS1_30default_config_static_selectorELNS0_4arch9wavefront6targetE1EEEvSQ_
	.globl	_ZN7rocprim17ROCPRIM_400000_NS6detail17trampoline_kernelINS0_14default_configENS1_21merge_config_selectorIsNS0_10empty_typeEEEZNS1_10merge_implIS3_N6thrust23THRUST_200600_302600_NS6detail15normal_iteratorINS9_10device_ptrIKsEEEESF_NS9_16discard_iteratorINS9_11use_defaultEEEPS5_SJ_SJ_NS9_4lessIsEEEE10hipError_tPvRmT0_T1_T2_T3_T4_T5_mmT6_P12ihipStream_tbEUlT_E0_NS1_11comp_targetILNS1_3genE4ELNS1_11target_archE910ELNS1_3gpuE8ELNS1_3repE0EEENS1_30default_config_static_selectorELNS0_4arch9wavefront6targetE1EEEvSQ_
	.p2align	8
	.type	_ZN7rocprim17ROCPRIM_400000_NS6detail17trampoline_kernelINS0_14default_configENS1_21merge_config_selectorIsNS0_10empty_typeEEEZNS1_10merge_implIS3_N6thrust23THRUST_200600_302600_NS6detail15normal_iteratorINS9_10device_ptrIKsEEEESF_NS9_16discard_iteratorINS9_11use_defaultEEEPS5_SJ_SJ_NS9_4lessIsEEEE10hipError_tPvRmT0_T1_T2_T3_T4_T5_mmT6_P12ihipStream_tbEUlT_E0_NS1_11comp_targetILNS1_3genE4ELNS1_11target_archE910ELNS1_3gpuE8ELNS1_3repE0EEENS1_30default_config_static_selectorELNS0_4arch9wavefront6targetE1EEEvSQ_,@function
_ZN7rocprim17ROCPRIM_400000_NS6detail17trampoline_kernelINS0_14default_configENS1_21merge_config_selectorIsNS0_10empty_typeEEEZNS1_10merge_implIS3_N6thrust23THRUST_200600_302600_NS6detail15normal_iteratorINS9_10device_ptrIKsEEEESF_NS9_16discard_iteratorINS9_11use_defaultEEEPS5_SJ_SJ_NS9_4lessIsEEEE10hipError_tPvRmT0_T1_T2_T3_T4_T5_mmT6_P12ihipStream_tbEUlT_E0_NS1_11comp_targetILNS1_3genE4ELNS1_11target_archE910ELNS1_3gpuE8ELNS1_3repE0EEENS1_30default_config_static_selectorELNS0_4arch9wavefront6targetE1EEEvSQ_: ; @_ZN7rocprim17ROCPRIM_400000_NS6detail17trampoline_kernelINS0_14default_configENS1_21merge_config_selectorIsNS0_10empty_typeEEEZNS1_10merge_implIS3_N6thrust23THRUST_200600_302600_NS6detail15normal_iteratorINS9_10device_ptrIKsEEEESF_NS9_16discard_iteratorINS9_11use_defaultEEEPS5_SJ_SJ_NS9_4lessIsEEEE10hipError_tPvRmT0_T1_T2_T3_T4_T5_mmT6_P12ihipStream_tbEUlT_E0_NS1_11comp_targetILNS1_3genE4ELNS1_11target_archE910ELNS1_3gpuE8ELNS1_3repE0EEENS1_30default_config_static_selectorELNS0_4arch9wavefront6targetE1EEEvSQ_
; %bb.0:
	s_load_dwordx4 s[0:3], s[4:5], 0x48
	s_load_dwordx4 s[8:11], s[4:5], 0x8
	s_load_dwordx2 s[12:13], s[4:5], 0x18
	s_lshl_b32 s30, s6, 12
	s_mov_b32 s27, 0
	s_waitcnt lgkmcnt(0)
	s_add_i32 s31, s2, s0
	s_add_i32 s0, s31, 0xfff
	s_lshr_b32 s0, s0, 12
	s_min_u32 s1, s6, s0
	s_lshl_b32 s1, s1, 2
	s_load_dword s26, s[8:9], s1 offset:0x0
	s_add_i32 s6, s6, 1
	s_min_u32 s0, s6, s0
	s_lshl_b32 s0, s0, 2
	s_load_dword s6, s[8:9], s0 offset:0x0
	s_add_i32 s0, s30, 0x1000
	s_min_u32 s7, s31, s0
	s_waitcnt lgkmcnt(0)
	s_sub_i32 s2, s30, s26
	s_lshl_b64 s[0:1], s[26:27], 1
	s_add_u32 s0, s10, s0
	s_mov_b32 s3, s27
	s_addc_u32 s1, s11, s1
	s_lshl_b64 s[4:5], s[2:3], 1
	s_add_u32 s9, s12, s4
	s_addc_u32 s10, s13, s5
	s_add_i32 s2, s2, s6
	s_sub_i32 s26, s6, s26
	s_sub_i32 s8, s7, s2
	s_add_u32 s2, s8, s26
	s_addc_u32 s3, 0, 0
	v_mov_b32_e32 v1, 0
	v_cmp_le_u32_e32 vcc, s26, v0
	s_and_saveexec_b64 s[4:5], vcc
	s_xor_b64 s[4:5], exec, s[4:5]
	s_cbranch_execz .LBB454_4
; %bb.1:
	v_cmp_gt_u64_e32 vcc, s[2:3], v[0:1]
	s_and_saveexec_b64 s[6:7], vcc
	s_cbranch_execz .LBB454_3
; %bb.2:
	v_mov_b32_e32 v1, s27
	v_subrev_co_u32_e32 v2, vcc, s26, v0
	v_subb_co_u32_e32 v3, vcc, 0, v1, vcc
	v_lshlrev_b64 v[2:3], 1, v[2:3]
	v_mov_b32_e32 v1, s10
	v_add_co_u32_e32 v2, vcc, s9, v2
	v_addc_co_u32_e32 v3, vcc, v1, v3, vcc
	global_load_ushort v1, v[2:3], off
	v_lshlrev_b32_e32 v2, 1, v0
	s_waitcnt vmcnt(0)
	ds_write_b16 v2, v1
.LBB454_3:
	s_or_b64 exec, exec, s[6:7]
.LBB454_4:
	s_or_saveexec_b64 s[4:5], s[4:5]
	v_lshlrev_b32_e32 v1, 1, v0
	s_xor_b64 exec, exec, s[4:5]
	s_cbranch_execz .LBB454_6
; %bb.5:
	global_load_ushort v2, v1, s[0:1]
	s_waitcnt vmcnt(0)
	ds_write_b16 v1, v2
.LBB454_6:
	s_or_b64 exec, exec, s[4:5]
	v_or_b32_e32 v2, 0x100, v0
	v_cmp_le_u32_e32 vcc, s26, v2
	s_and_saveexec_b64 s[4:5], vcc
	s_xor_b64 s[4:5], exec, s[4:5]
	s_cbranch_execz .LBB454_10
; %bb.7:
	v_mov_b32_e32 v3, 0
	v_cmp_gt_u64_e32 vcc, s[2:3], v[2:3]
	s_and_saveexec_b64 s[6:7], vcc
	s_cbranch_execz .LBB454_9
; %bb.8:
	v_mov_b32_e32 v3, s27
	v_subrev_co_u32_e32 v2, vcc, s26, v0
	v_subb_co_u32_e32 v3, vcc, 0, v3, vcc
	v_lshlrev_b64 v[2:3], 1, v[2:3]
	v_mov_b32_e32 v4, s10
	v_add_co_u32_e32 v2, vcc, s9, v2
	v_addc_co_u32_e32 v3, vcc, v4, v3, vcc
	global_load_ushort v2, v[2:3], off offset:512
	s_waitcnt vmcnt(0)
	ds_write_b16 v1, v2 offset:512
.LBB454_9:
	s_or_b64 exec, exec, s[6:7]
.LBB454_10:
	s_andn2_saveexec_b64 s[4:5], s[4:5]
	s_cbranch_execz .LBB454_12
; %bb.11:
	global_load_ushort v2, v1, s[0:1] offset:512
	s_waitcnt vmcnt(0)
	ds_write_b16 v1, v2 offset:512
.LBB454_12:
	s_or_b64 exec, exec, s[4:5]
	v_or_b32_e32 v2, 0x200, v0
	v_cmp_le_u32_e32 vcc, s26, v2
	s_and_saveexec_b64 s[4:5], vcc
	s_xor_b64 s[4:5], exec, s[4:5]
	s_cbranch_execz .LBB454_16
; %bb.13:
	v_mov_b32_e32 v3, 0
	v_cmp_gt_u64_e32 vcc, s[2:3], v[2:3]
	s_and_saveexec_b64 s[6:7], vcc
	s_cbranch_execz .LBB454_15
; %bb.14:
	v_mov_b32_e32 v3, s27
	v_subrev_co_u32_e32 v2, vcc, s26, v0
	v_subb_co_u32_e32 v3, vcc, 0, v3, vcc
	v_lshlrev_b64 v[2:3], 1, v[2:3]
	v_mov_b32_e32 v4, s10
	v_add_co_u32_e32 v2, vcc, s9, v2
	v_addc_co_u32_e32 v3, vcc, v4, v3, vcc
	global_load_ushort v2, v[2:3], off offset:1024
	s_waitcnt vmcnt(0)
	ds_write_b16 v1, v2 offset:1024
.LBB454_15:
	s_or_b64 exec, exec, s[6:7]
.LBB454_16:
	s_andn2_saveexec_b64 s[4:5], s[4:5]
	s_cbranch_execz .LBB454_18
; %bb.17:
	global_load_ushort v2, v1, s[0:1] offset:1024
	s_waitcnt vmcnt(0)
	ds_write_b16 v1, v2 offset:1024
.LBB454_18:
	;; [unrolled: 32-line block ×7, first 2 shown]
	s_or_b64 exec, exec, s[4:5]
	v_or_b32_e32 v2, 0x800, v0
	v_mov_b32_e32 v3, 0
	v_cmp_le_u32_e32 vcc, s26, v2
	s_and_saveexec_b64 s[4:5], vcc
	s_xor_b64 s[4:5], exec, s[4:5]
	s_cbranch_execz .LBB454_52
; %bb.49:
	v_cmp_gt_u64_e32 vcc, s[2:3], v[2:3]
	s_and_saveexec_b64 s[6:7], vcc
	s_cbranch_execz .LBB454_51
; %bb.50:
	v_mov_b32_e32 v3, s27
	v_subrev_co_u32_e32 v2, vcc, s26, v2
	v_subb_co_u32_e32 v3, vcc, 0, v3, vcc
	v_lshlrev_b64 v[2:3], 1, v[2:3]
	v_mov_b32_e32 v4, s10
	v_add_co_u32_e32 v2, vcc, s9, v2
	v_addc_co_u32_e32 v3, vcc, v4, v3, vcc
	global_load_ushort v2, v[2:3], off
	s_waitcnt vmcnt(0)
	ds_write_b16 v1, v2 offset:4096
.LBB454_51:
	s_or_b64 exec, exec, s[6:7]
                                        ; implicit-def: $vgpr2_vgpr3
.LBB454_52:
	s_andn2_saveexec_b64 s[4:5], s[4:5]
	s_cbranch_execz .LBB454_54
; %bb.53:
	v_lshlrev_b32_e32 v2, 1, v2
	global_load_ushort v2, v2, s[0:1]
	s_waitcnt vmcnt(0)
	ds_write_b16 v1, v2 offset:4096
.LBB454_54:
	s_or_b64 exec, exec, s[4:5]
	v_or_b32_e32 v2, 0x900, v0
	v_mov_b32_e32 v3, 0
	v_cmp_le_u32_e32 vcc, s26, v2
	s_and_saveexec_b64 s[4:5], vcc
	s_xor_b64 s[4:5], exec, s[4:5]
	s_cbranch_execz .LBB454_58
; %bb.55:
	v_cmp_gt_u64_e32 vcc, s[2:3], v[2:3]
	s_and_saveexec_b64 s[6:7], vcc
	s_cbranch_execz .LBB454_57
; %bb.56:
	v_mov_b32_e32 v3, s27
	v_subrev_co_u32_e32 v2, vcc, s26, v2
	v_subb_co_u32_e32 v3, vcc, 0, v3, vcc
	v_lshlrev_b64 v[2:3], 1, v[2:3]
	v_mov_b32_e32 v4, s10
	v_add_co_u32_e32 v2, vcc, s9, v2
	v_addc_co_u32_e32 v3, vcc, v4, v3, vcc
	global_load_ushort v2, v[2:3], off
	s_waitcnt vmcnt(0)
	ds_write_b16 v1, v2 offset:4608
.LBB454_57:
	s_or_b64 exec, exec, s[6:7]
                                        ; implicit-def: $vgpr2_vgpr3
.LBB454_58:
	s_andn2_saveexec_b64 s[4:5], s[4:5]
	s_cbranch_execz .LBB454_60
; %bb.59:
	v_lshlrev_b32_e32 v2, 1, v2
	global_load_ushort v2, v2, s[0:1]
	s_waitcnt vmcnt(0)
	ds_write_b16 v1, v2 offset:4608
.LBB454_60:
	;; [unrolled: 34-line block ×7, first 2 shown]
	s_or_b64 exec, exec, s[4:5]
	v_or_b32_e32 v2, 0xf00, v0
	v_mov_b32_e32 v3, 0
	v_cmp_le_u32_e32 vcc, s26, v2
	s_and_saveexec_b64 s[4:5], vcc
	s_xor_b64 s[4:5], exec, s[4:5]
	s_cbranch_execz .LBB454_94
; %bb.91:
	v_cmp_gt_u64_e32 vcc, s[2:3], v[2:3]
	s_and_saveexec_b64 s[2:3], vcc
	s_cbranch_execz .LBB454_93
; %bb.92:
	v_mov_b32_e32 v3, s27
	v_subrev_co_u32_e32 v2, vcc, s26, v2
	v_subb_co_u32_e32 v3, vcc, 0, v3, vcc
	v_lshlrev_b64 v[2:3], 1, v[2:3]
	v_mov_b32_e32 v4, s10
	v_add_co_u32_e32 v2, vcc, s9, v2
	v_addc_co_u32_e32 v3, vcc, v4, v3, vcc
	global_load_ushort v2, v[2:3], off
	s_waitcnt vmcnt(0)
	ds_write_b16 v1, v2 offset:7680
.LBB454_93:
	s_or_b64 exec, exec, s[2:3]
                                        ; implicit-def: $vgpr2_vgpr3
                                        ; implicit-def: $vgpr1
.LBB454_94:
	s_andn2_saveexec_b64 s[2:3], s[4:5]
	s_cbranch_execz .LBB454_96
; %bb.95:
	v_lshlrev_b32_e32 v2, 1, v2
	global_load_ushort v2, v2, s[0:1]
	s_waitcnt vmcnt(0)
	ds_write_b16 v1, v2 offset:7680
.LBB454_96:
	s_or_b64 exec, exec, s[2:3]
	v_lshlrev_b32_e32 v1, 4, v0
	v_sub_u32_e64 v4, v1, s8 clamp
	v_min_u32_e32 v2, s26, v1
	v_cmp_lt_u32_e32 vcc, v4, v2
	s_waitcnt lgkmcnt(0)
	s_barrier
	s_and_saveexec_b64 s[0:1], vcc
	s_cbranch_execz .LBB454_100
; %bb.97:
	v_lshlrev_b32_e32 v3, 1, v1
	v_lshl_add_u32 v3, s26, 1, v3
	s_mov_b64 s[2:3], 0
.LBB454_98:                             ; =>This Inner Loop Header: Depth=1
	v_add_u32_e32 v5, v2, v4
	v_lshrrev_b32_e32 v6, 1, v5
	v_not_b32_e32 v7, v6
	v_and_b32_e32 v5, -2, v5
	v_lshl_add_u32 v7, v7, 1, v3
	ds_read_u16 v5, v5
	ds_read_u16 v7, v7
	v_add_u32_e32 v8, 1, v6
	s_waitcnt lgkmcnt(0)
	v_cmp_lt_i16_e32 vcc, v7, v5
	v_cndmask_b32_e32 v2, v2, v6, vcc
	v_cndmask_b32_e32 v4, v8, v4, vcc
	v_cmp_ge_u32_e32 vcc, v4, v2
	s_or_b64 s[2:3], vcc, s[2:3]
	s_andn2_b64 exec, exec, s[2:3]
	s_cbranch_execnz .LBB454_98
; %bb.99:
	s_or_b64 exec, exec, s[2:3]
.LBB454_100:
	s_or_b64 exec, exec, s[0:1]
	v_add_u32_e32 v2, s26, v1
	s_add_i32 s27, s8, s26
	v_sub_u32_e32 v5, v2, v4
	v_cmp_ge_u32_e32 vcc, s26, v4
	v_cmp_ge_u32_e64 s[0:1], s27, v5
	s_or_b64 s[0:1], vcc, s[0:1]
                                        ; implicit-def: $vgpr2
                                        ; implicit-def: $vgpr3
                                        ; implicit-def: $vgpr6
                                        ; implicit-def: $vgpr7
                                        ; implicit-def: $vgpr8
                                        ; implicit-def: $vgpr9
                                        ; implicit-def: $vgpr10
                                        ; implicit-def: $vgpr11
	s_and_saveexec_b64 s[28:29], s[0:1]
	s_cbranch_execz .LBB454_106
; %bb.101:
	v_cmp_gt_u32_e32 vcc, s26, v4
                                        ; implicit-def: $vgpr2
	s_and_saveexec_b64 s[0:1], vcc
	s_cbranch_execz .LBB454_103
; %bb.102:
	v_lshlrev_b32_e32 v2, 1, v4
	ds_read_u16 v2, v2
.LBB454_103:
	s_or_b64 exec, exec, s[0:1]
	v_cmp_le_u32_e64 s[0:1], s27, v5
	v_cmp_gt_u32_e64 s[2:3], s27, v5
                                        ; implicit-def: $vgpr3
	s_and_saveexec_b64 s[4:5], s[2:3]
	s_cbranch_execz .LBB454_105
; %bb.104:
	v_lshlrev_b32_e32 v3, 1, v5
	ds_read_u16 v3, v3
.LBB454_105:
	s_or_b64 exec, exec, s[4:5]
	s_waitcnt lgkmcnt(0)
	v_cmp_ge_i16_e64 s[2:3], v3, v2
	s_and_b64 s[2:3], vcc, s[2:3]
	s_or_b64 vcc, s[0:1], s[2:3]
	v_mov_b32_e32 v7, s27
	v_mov_b32_e32 v8, s26
	v_cndmask_b32_e32 v6, v5, v4, vcc
	v_cndmask_b32_e32 v9, v7, v8, vcc
	v_add_u32_e32 v6, 1, v6
	v_add_u32_e32 v9, -1, v9
	v_min_u32_e32 v9, v6, v9
	v_lshlrev_b32_e32 v9, 1, v9
	ds_read_u16 v9, v9
	v_cndmask_b32_e32 v4, v4, v6, vcc
	v_cndmask_b32_e32 v5, v6, v5, vcc
	v_cmp_gt_u32_e64 s[2:3], s26, v4
	v_cmp_le_u32_e64 s[0:1], s27, v5
	s_waitcnt lgkmcnt(0)
	v_cndmask_b32_e32 v10, v9, v3, vcc
	v_cndmask_b32_e32 v9, v2, v9, vcc
	v_cmp_ge_i16_e64 s[4:5], v10, v9
	s_and_b64 s[2:3], s[2:3], s[4:5]
	s_or_b64 s[0:1], s[0:1], s[2:3]
	v_cndmask_b32_e64 v6, v5, v4, s[0:1]
	v_cndmask_b32_e64 v11, v7, v8, s[0:1]
	v_add_u32_e32 v6, 1, v6
	v_add_u32_e32 v11, -1, v11
	v_min_u32_e32 v11, v6, v11
	v_lshlrev_b32_e32 v11, 1, v11
	ds_read_u16 v11, v11
	v_cndmask_b32_e64 v4, v4, v6, s[0:1]
	v_cndmask_b32_e64 v5, v6, v5, s[0:1]
	v_cmp_gt_u32_e64 s[4:5], s26, v4
	v_cmp_le_u32_e64 s[2:3], s27, v5
	s_waitcnt lgkmcnt(0)
	v_cndmask_b32_e64 v12, v11, v10, s[0:1]
	v_cndmask_b32_e64 v11, v9, v11, s[0:1]
	v_cmp_ge_i16_e64 s[6:7], v12, v11
	s_and_b64 s[4:5], s[4:5], s[6:7]
	s_or_b64 s[4:5], s[2:3], s[4:5]
	v_cndmask_b32_e64 v6, v5, v4, s[4:5]
	v_cndmask_b32_e64 v13, v7, v8, s[4:5]
	v_add_u32_e32 v6, 1, v6
	v_add_u32_e32 v13, -1, v13
	v_min_u32_e32 v13, v6, v13
	v_lshlrev_b32_e32 v13, 1, v13
	ds_read_u16 v13, v13
	v_cndmask_b32_e64 v4, v4, v6, s[4:5]
	v_cndmask_b32_e64 v5, v6, v5, s[4:5]
	v_cmp_gt_u32_e64 s[6:7], s26, v4
	v_cmp_le_u32_e64 s[2:3], s27, v5
	s_waitcnt lgkmcnt(0)
	v_cndmask_b32_e64 v14, v13, v12, s[4:5]
	v_cndmask_b32_e64 v13, v11, v13, s[4:5]
	;; [unrolled: 17-line block ×10, first 2 shown]
	v_cmp_ge_i16_e64 s[24:25], v30, v29
	s_and_b64 s[22:23], s[22:23], s[24:25]
	s_or_b64 s[20:21], s[20:21], s[22:23]
	v_cndmask_b32_e64 v6, v5, v4, s[20:21]
	v_cndmask_b32_e64 v31, v7, v8, s[20:21]
	v_add_u32_e32 v6, 1, v6
	v_add_u32_e32 v31, -1, v31
	v_min_u32_e32 v31, v6, v31
	v_lshlrev_b32_e32 v31, 1, v31
	ds_read_u16 v31, v31
	v_cndmask_b32_e32 v2, v3, v2, vcc
	v_cndmask_b32_e64 v3, v10, v9, s[0:1]
	v_cndmask_b32_e64 v9, v12, v11, s[4:5]
	;; [unrolled: 1-line block ×3, first 2 shown]
	s_waitcnt lgkmcnt(0)
	v_cndmask_b32_e64 v10, v31, v30, s[20:21]
	v_cndmask_b32_e64 v11, v29, v31, s[20:21]
	;; [unrolled: 1-line block ×3, first 2 shown]
	v_cmp_gt_u32_e64 s[0:1], s26, v4
	v_cmp_ge_i16_e64 s[4:5], v10, v11
	v_cmp_le_u32_e32 vcc, s27, v5
	s_and_b64 s[0:1], s[0:1], s[4:5]
	s_or_b64 vcc, vcc, s[0:1]
	v_cndmask_b32_e32 v6, v5, v4, vcc
	v_cndmask_b32_e32 v12, v7, v8, vcc
	v_add_u32_e32 v6, 1, v6
	v_add_u32_e32 v12, -1, v12
	v_min_u32_e32 v12, v6, v12
	v_lshlrev_b32_e32 v12, 1, v12
	ds_read_u16 v12, v12
	v_cndmask_b32_e64 v13, v14, v13, s[2:3]
	v_cndmask_b32_e64 v14, v16, v15, s[6:7]
	;; [unrolled: 1-line block ×3, first 2 shown]
	v_cndmask_b32_e32 v4, v4, v6, vcc
	s_waitcnt lgkmcnt(0)
	v_cndmask_b32_e32 v17, v12, v10, vcc
	v_cndmask_b32_e32 v12, v11, v12, vcc
	;; [unrolled: 1-line block ×3, first 2 shown]
	v_cmp_gt_u32_e64 s[2:3], s26, v4
	v_cmp_ge_i16_e64 s[4:5], v17, v12
	v_cmp_le_u32_e64 s[0:1], s27, v5
	s_and_b64 s[2:3], s[2:3], s[4:5]
	s_or_b64 s[0:1], s[0:1], s[2:3]
	v_cndmask_b32_e64 v6, v5, v4, s[0:1]
	v_cndmask_b32_e64 v18, v7, v8, s[0:1]
	v_add_u32_e32 v6, 1, v6
	v_add_u32_e32 v18, -1, v18
	v_min_u32_e32 v18, v6, v18
	v_lshlrev_b32_e32 v18, 1, v18
	ds_read_u16 v18, v18
	v_cndmask_b32_e64 v16, v20, v19, s[12:13]
	v_cndmask_b32_e64 v20, v24, v23, s[14:15]
	;; [unrolled: 1-line block ×4, first 2 shown]
	s_waitcnt lgkmcnt(0)
	v_cndmask_b32_e64 v23, v18, v17, s[0:1]
	v_cndmask_b32_e64 v18, v12, v18, s[0:1]
	v_cmp_gt_u32_e64 s[4:5], s26, v4
	v_cmp_ge_i16_e64 s[6:7], v23, v18
	v_cmp_le_u32_e64 s[2:3], s27, v5
	s_and_b64 s[4:5], s[4:5], s[6:7]
	s_or_b64 s[2:3], s[2:3], s[4:5]
	v_cndmask_b32_e64 v6, v5, v4, s[2:3]
	v_cndmask_b32_e64 v7, v7, v8, s[2:3]
	v_add_u32_e32 v6, 1, v6
	v_add_u32_e32 v7, -1, v7
	v_min_u32_e32 v7, v6, v7
	v_lshlrev_b32_e32 v7, 1, v7
	ds_read_u16 v7, v7
	v_cndmask_b32_e64 v4, v4, v6, s[2:3]
	v_cndmask_b32_e64 v12, v17, v12, s[0:1]
	;; [unrolled: 1-line block ×4, first 2 shown]
	s_waitcnt lgkmcnt(0)
	v_cndmask_b32_e64 v8, v7, v23, s[2:3]
	v_cndmask_b32_e64 v7, v18, v7, s[2:3]
	v_cmp_gt_u32_e64 s[0:1], s26, v4
	v_cmp_ge_i16_e64 s[2:3], v8, v7
	v_cndmask_b32_e64 v19, v22, v21, s[10:11]
	v_cndmask_b32_e64 v21, v26, v25, s[16:17]
	v_cndmask_b32_e32 v25, v10, v11, vcc
	v_cmp_le_u32_e32 vcc, s27, v5
	s_and_b64 s[0:1], s[0:1], s[2:3]
	s_or_b64 vcc, vcc, s[0:1]
	v_cndmask_b32_e64 v22, v28, v27, s[18:19]
	v_cndmask_b32_e64 v24, v30, v29, s[20:21]
	v_cndmask_b32_e32 v4, v8, v7, vcc
	s_mov_b32 s0, 0x5040100
	v_perm_b32 v11, v3, v2, s0
	v_perm_b32 v10, v13, v9, s0
	;; [unrolled: 1-line block ×8, first 2 shown]
.LBB454_106:
	s_or_b64 exec, exec, s[28:29]
	s_sub_i32 s0, s31, s30
	v_and_b32_e32 v0, 0xfc, v0
	s_cmpk_gt_u32 s0, 0xfff
	v_lshl_add_u32 v0, v1, 1, v0
	s_mov_b64 s[0:1], -1
	s_barrier
	ds_write2_b32 v0, v11, v10 offset1:1
	ds_write2_b32 v0, v9, v8 offset0:2 offset1:3
	ds_write2_b32 v0, v7, v6 offset0:4 offset1:5
	;; [unrolled: 1-line block ×3, first 2 shown]
	s_waitcnt lgkmcnt(0)
	s_cbranch_scc1 .LBB454_109
; %bb.107:
	s_andn2_b64 vcc, exec, s[0:1]
	s_cbranch_vccz .LBB454_110
.LBB454_108:
	s_endpgm
.LBB454_109:
	s_barrier
	s_cbranch_execnz .LBB454_108
.LBB454_110:
	s_barrier
	s_endpgm
	.section	.rodata,"a",@progbits
	.p2align	6, 0x0
	.amdhsa_kernel _ZN7rocprim17ROCPRIM_400000_NS6detail17trampoline_kernelINS0_14default_configENS1_21merge_config_selectorIsNS0_10empty_typeEEEZNS1_10merge_implIS3_N6thrust23THRUST_200600_302600_NS6detail15normal_iteratorINS9_10device_ptrIKsEEEESF_NS9_16discard_iteratorINS9_11use_defaultEEEPS5_SJ_SJ_NS9_4lessIsEEEE10hipError_tPvRmT0_T1_T2_T3_T4_T5_mmT6_P12ihipStream_tbEUlT_E0_NS1_11comp_targetILNS1_3genE4ELNS1_11target_archE910ELNS1_3gpuE8ELNS1_3repE0EEENS1_30default_config_static_selectorELNS0_4arch9wavefront6targetE1EEEvSQ_
		.amdhsa_group_segment_fixed_size 8448
		.amdhsa_private_segment_fixed_size 0
		.amdhsa_kernarg_size 96
		.amdhsa_user_sgpr_count 6
		.amdhsa_user_sgpr_private_segment_buffer 1
		.amdhsa_user_sgpr_dispatch_ptr 0
		.amdhsa_user_sgpr_queue_ptr 0
		.amdhsa_user_sgpr_kernarg_segment_ptr 1
		.amdhsa_user_sgpr_dispatch_id 0
		.amdhsa_user_sgpr_flat_scratch_init 0
		.amdhsa_user_sgpr_kernarg_preload_length 0
		.amdhsa_user_sgpr_kernarg_preload_offset 0
		.amdhsa_user_sgpr_private_segment_size 0
		.amdhsa_uses_dynamic_stack 0
		.amdhsa_system_sgpr_private_segment_wavefront_offset 0
		.amdhsa_system_sgpr_workgroup_id_x 1
		.amdhsa_system_sgpr_workgroup_id_y 0
		.amdhsa_system_sgpr_workgroup_id_z 0
		.amdhsa_system_sgpr_workgroup_info 0
		.amdhsa_system_vgpr_workitem_id 0
		.amdhsa_next_free_vgpr 32
		.amdhsa_next_free_sgpr 32
		.amdhsa_accum_offset 32
		.amdhsa_reserve_vcc 1
		.amdhsa_reserve_flat_scratch 0
		.amdhsa_float_round_mode_32 0
		.amdhsa_float_round_mode_16_64 0
		.amdhsa_float_denorm_mode_32 3
		.amdhsa_float_denorm_mode_16_64 3
		.amdhsa_dx10_clamp 1
		.amdhsa_ieee_mode 1
		.amdhsa_fp16_overflow 0
		.amdhsa_tg_split 0
		.amdhsa_exception_fp_ieee_invalid_op 0
		.amdhsa_exception_fp_denorm_src 0
		.amdhsa_exception_fp_ieee_div_zero 0
		.amdhsa_exception_fp_ieee_overflow 0
		.amdhsa_exception_fp_ieee_underflow 0
		.amdhsa_exception_fp_ieee_inexact 0
		.amdhsa_exception_int_div_zero 0
	.end_amdhsa_kernel
	.section	.text._ZN7rocprim17ROCPRIM_400000_NS6detail17trampoline_kernelINS0_14default_configENS1_21merge_config_selectorIsNS0_10empty_typeEEEZNS1_10merge_implIS3_N6thrust23THRUST_200600_302600_NS6detail15normal_iteratorINS9_10device_ptrIKsEEEESF_NS9_16discard_iteratorINS9_11use_defaultEEEPS5_SJ_SJ_NS9_4lessIsEEEE10hipError_tPvRmT0_T1_T2_T3_T4_T5_mmT6_P12ihipStream_tbEUlT_E0_NS1_11comp_targetILNS1_3genE4ELNS1_11target_archE910ELNS1_3gpuE8ELNS1_3repE0EEENS1_30default_config_static_selectorELNS0_4arch9wavefront6targetE1EEEvSQ_,"axG",@progbits,_ZN7rocprim17ROCPRIM_400000_NS6detail17trampoline_kernelINS0_14default_configENS1_21merge_config_selectorIsNS0_10empty_typeEEEZNS1_10merge_implIS3_N6thrust23THRUST_200600_302600_NS6detail15normal_iteratorINS9_10device_ptrIKsEEEESF_NS9_16discard_iteratorINS9_11use_defaultEEEPS5_SJ_SJ_NS9_4lessIsEEEE10hipError_tPvRmT0_T1_T2_T3_T4_T5_mmT6_P12ihipStream_tbEUlT_E0_NS1_11comp_targetILNS1_3genE4ELNS1_11target_archE910ELNS1_3gpuE8ELNS1_3repE0EEENS1_30default_config_static_selectorELNS0_4arch9wavefront6targetE1EEEvSQ_,comdat
.Lfunc_end454:
	.size	_ZN7rocprim17ROCPRIM_400000_NS6detail17trampoline_kernelINS0_14default_configENS1_21merge_config_selectorIsNS0_10empty_typeEEEZNS1_10merge_implIS3_N6thrust23THRUST_200600_302600_NS6detail15normal_iteratorINS9_10device_ptrIKsEEEESF_NS9_16discard_iteratorINS9_11use_defaultEEEPS5_SJ_SJ_NS9_4lessIsEEEE10hipError_tPvRmT0_T1_T2_T3_T4_T5_mmT6_P12ihipStream_tbEUlT_E0_NS1_11comp_targetILNS1_3genE4ELNS1_11target_archE910ELNS1_3gpuE8ELNS1_3repE0EEENS1_30default_config_static_selectorELNS0_4arch9wavefront6targetE1EEEvSQ_, .Lfunc_end454-_ZN7rocprim17ROCPRIM_400000_NS6detail17trampoline_kernelINS0_14default_configENS1_21merge_config_selectorIsNS0_10empty_typeEEEZNS1_10merge_implIS3_N6thrust23THRUST_200600_302600_NS6detail15normal_iteratorINS9_10device_ptrIKsEEEESF_NS9_16discard_iteratorINS9_11use_defaultEEEPS5_SJ_SJ_NS9_4lessIsEEEE10hipError_tPvRmT0_T1_T2_T3_T4_T5_mmT6_P12ihipStream_tbEUlT_E0_NS1_11comp_targetILNS1_3genE4ELNS1_11target_archE910ELNS1_3gpuE8ELNS1_3repE0EEENS1_30default_config_static_selectorELNS0_4arch9wavefront6targetE1EEEvSQ_
                                        ; -- End function
	.section	.AMDGPU.csdata,"",@progbits
; Kernel info:
; codeLenInByte = 4364
; NumSgprs: 36
; NumVgprs: 32
; NumAgprs: 0
; TotalNumVgprs: 32
; ScratchSize: 0
; MemoryBound: 0
; FloatMode: 240
; IeeeMode: 1
; LDSByteSize: 8448 bytes/workgroup (compile time only)
; SGPRBlocks: 4
; VGPRBlocks: 3
; NumSGPRsForWavesPerEU: 36
; NumVGPRsForWavesPerEU: 32
; AccumOffset: 32
; Occupancy: 7
; WaveLimiterHint : 1
; COMPUTE_PGM_RSRC2:SCRATCH_EN: 0
; COMPUTE_PGM_RSRC2:USER_SGPR: 6
; COMPUTE_PGM_RSRC2:TRAP_HANDLER: 0
; COMPUTE_PGM_RSRC2:TGID_X_EN: 1
; COMPUTE_PGM_RSRC2:TGID_Y_EN: 0
; COMPUTE_PGM_RSRC2:TGID_Z_EN: 0
; COMPUTE_PGM_RSRC2:TIDIG_COMP_CNT: 0
; COMPUTE_PGM_RSRC3_GFX90A:ACCUM_OFFSET: 7
; COMPUTE_PGM_RSRC3_GFX90A:TG_SPLIT: 0
	.section	.text._ZN7rocprim17ROCPRIM_400000_NS6detail17trampoline_kernelINS0_14default_configENS1_21merge_config_selectorIsNS0_10empty_typeEEEZNS1_10merge_implIS3_N6thrust23THRUST_200600_302600_NS6detail15normal_iteratorINS9_10device_ptrIKsEEEESF_NS9_16discard_iteratorINS9_11use_defaultEEEPS5_SJ_SJ_NS9_4lessIsEEEE10hipError_tPvRmT0_T1_T2_T3_T4_T5_mmT6_P12ihipStream_tbEUlT_E0_NS1_11comp_targetILNS1_3genE3ELNS1_11target_archE908ELNS1_3gpuE7ELNS1_3repE0EEENS1_30default_config_static_selectorELNS0_4arch9wavefront6targetE1EEEvSQ_,"axG",@progbits,_ZN7rocprim17ROCPRIM_400000_NS6detail17trampoline_kernelINS0_14default_configENS1_21merge_config_selectorIsNS0_10empty_typeEEEZNS1_10merge_implIS3_N6thrust23THRUST_200600_302600_NS6detail15normal_iteratorINS9_10device_ptrIKsEEEESF_NS9_16discard_iteratorINS9_11use_defaultEEEPS5_SJ_SJ_NS9_4lessIsEEEE10hipError_tPvRmT0_T1_T2_T3_T4_T5_mmT6_P12ihipStream_tbEUlT_E0_NS1_11comp_targetILNS1_3genE3ELNS1_11target_archE908ELNS1_3gpuE7ELNS1_3repE0EEENS1_30default_config_static_selectorELNS0_4arch9wavefront6targetE1EEEvSQ_,comdat
	.protected	_ZN7rocprim17ROCPRIM_400000_NS6detail17trampoline_kernelINS0_14default_configENS1_21merge_config_selectorIsNS0_10empty_typeEEEZNS1_10merge_implIS3_N6thrust23THRUST_200600_302600_NS6detail15normal_iteratorINS9_10device_ptrIKsEEEESF_NS9_16discard_iteratorINS9_11use_defaultEEEPS5_SJ_SJ_NS9_4lessIsEEEE10hipError_tPvRmT0_T1_T2_T3_T4_T5_mmT6_P12ihipStream_tbEUlT_E0_NS1_11comp_targetILNS1_3genE3ELNS1_11target_archE908ELNS1_3gpuE7ELNS1_3repE0EEENS1_30default_config_static_selectorELNS0_4arch9wavefront6targetE1EEEvSQ_ ; -- Begin function _ZN7rocprim17ROCPRIM_400000_NS6detail17trampoline_kernelINS0_14default_configENS1_21merge_config_selectorIsNS0_10empty_typeEEEZNS1_10merge_implIS3_N6thrust23THRUST_200600_302600_NS6detail15normal_iteratorINS9_10device_ptrIKsEEEESF_NS9_16discard_iteratorINS9_11use_defaultEEEPS5_SJ_SJ_NS9_4lessIsEEEE10hipError_tPvRmT0_T1_T2_T3_T4_T5_mmT6_P12ihipStream_tbEUlT_E0_NS1_11comp_targetILNS1_3genE3ELNS1_11target_archE908ELNS1_3gpuE7ELNS1_3repE0EEENS1_30default_config_static_selectorELNS0_4arch9wavefront6targetE1EEEvSQ_
	.globl	_ZN7rocprim17ROCPRIM_400000_NS6detail17trampoline_kernelINS0_14default_configENS1_21merge_config_selectorIsNS0_10empty_typeEEEZNS1_10merge_implIS3_N6thrust23THRUST_200600_302600_NS6detail15normal_iteratorINS9_10device_ptrIKsEEEESF_NS9_16discard_iteratorINS9_11use_defaultEEEPS5_SJ_SJ_NS9_4lessIsEEEE10hipError_tPvRmT0_T1_T2_T3_T4_T5_mmT6_P12ihipStream_tbEUlT_E0_NS1_11comp_targetILNS1_3genE3ELNS1_11target_archE908ELNS1_3gpuE7ELNS1_3repE0EEENS1_30default_config_static_selectorELNS0_4arch9wavefront6targetE1EEEvSQ_
	.p2align	8
	.type	_ZN7rocprim17ROCPRIM_400000_NS6detail17trampoline_kernelINS0_14default_configENS1_21merge_config_selectorIsNS0_10empty_typeEEEZNS1_10merge_implIS3_N6thrust23THRUST_200600_302600_NS6detail15normal_iteratorINS9_10device_ptrIKsEEEESF_NS9_16discard_iteratorINS9_11use_defaultEEEPS5_SJ_SJ_NS9_4lessIsEEEE10hipError_tPvRmT0_T1_T2_T3_T4_T5_mmT6_P12ihipStream_tbEUlT_E0_NS1_11comp_targetILNS1_3genE3ELNS1_11target_archE908ELNS1_3gpuE7ELNS1_3repE0EEENS1_30default_config_static_selectorELNS0_4arch9wavefront6targetE1EEEvSQ_,@function
_ZN7rocprim17ROCPRIM_400000_NS6detail17trampoline_kernelINS0_14default_configENS1_21merge_config_selectorIsNS0_10empty_typeEEEZNS1_10merge_implIS3_N6thrust23THRUST_200600_302600_NS6detail15normal_iteratorINS9_10device_ptrIKsEEEESF_NS9_16discard_iteratorINS9_11use_defaultEEEPS5_SJ_SJ_NS9_4lessIsEEEE10hipError_tPvRmT0_T1_T2_T3_T4_T5_mmT6_P12ihipStream_tbEUlT_E0_NS1_11comp_targetILNS1_3genE3ELNS1_11target_archE908ELNS1_3gpuE7ELNS1_3repE0EEENS1_30default_config_static_selectorELNS0_4arch9wavefront6targetE1EEEvSQ_: ; @_ZN7rocprim17ROCPRIM_400000_NS6detail17trampoline_kernelINS0_14default_configENS1_21merge_config_selectorIsNS0_10empty_typeEEEZNS1_10merge_implIS3_N6thrust23THRUST_200600_302600_NS6detail15normal_iteratorINS9_10device_ptrIKsEEEESF_NS9_16discard_iteratorINS9_11use_defaultEEEPS5_SJ_SJ_NS9_4lessIsEEEE10hipError_tPvRmT0_T1_T2_T3_T4_T5_mmT6_P12ihipStream_tbEUlT_E0_NS1_11comp_targetILNS1_3genE3ELNS1_11target_archE908ELNS1_3gpuE7ELNS1_3repE0EEENS1_30default_config_static_selectorELNS0_4arch9wavefront6targetE1EEEvSQ_
; %bb.0:
	.section	.rodata,"a",@progbits
	.p2align	6, 0x0
	.amdhsa_kernel _ZN7rocprim17ROCPRIM_400000_NS6detail17trampoline_kernelINS0_14default_configENS1_21merge_config_selectorIsNS0_10empty_typeEEEZNS1_10merge_implIS3_N6thrust23THRUST_200600_302600_NS6detail15normal_iteratorINS9_10device_ptrIKsEEEESF_NS9_16discard_iteratorINS9_11use_defaultEEEPS5_SJ_SJ_NS9_4lessIsEEEE10hipError_tPvRmT0_T1_T2_T3_T4_T5_mmT6_P12ihipStream_tbEUlT_E0_NS1_11comp_targetILNS1_3genE3ELNS1_11target_archE908ELNS1_3gpuE7ELNS1_3repE0EEENS1_30default_config_static_selectorELNS0_4arch9wavefront6targetE1EEEvSQ_
		.amdhsa_group_segment_fixed_size 0
		.amdhsa_private_segment_fixed_size 0
		.amdhsa_kernarg_size 96
		.amdhsa_user_sgpr_count 6
		.amdhsa_user_sgpr_private_segment_buffer 1
		.amdhsa_user_sgpr_dispatch_ptr 0
		.amdhsa_user_sgpr_queue_ptr 0
		.amdhsa_user_sgpr_kernarg_segment_ptr 1
		.amdhsa_user_sgpr_dispatch_id 0
		.amdhsa_user_sgpr_flat_scratch_init 0
		.amdhsa_user_sgpr_kernarg_preload_length 0
		.amdhsa_user_sgpr_kernarg_preload_offset 0
		.amdhsa_user_sgpr_private_segment_size 0
		.amdhsa_uses_dynamic_stack 0
		.amdhsa_system_sgpr_private_segment_wavefront_offset 0
		.amdhsa_system_sgpr_workgroup_id_x 1
		.amdhsa_system_sgpr_workgroup_id_y 0
		.amdhsa_system_sgpr_workgroup_id_z 0
		.amdhsa_system_sgpr_workgroup_info 0
		.amdhsa_system_vgpr_workitem_id 0
		.amdhsa_next_free_vgpr 1
		.amdhsa_next_free_sgpr 0
		.amdhsa_accum_offset 4
		.amdhsa_reserve_vcc 0
		.amdhsa_reserve_flat_scratch 0
		.amdhsa_float_round_mode_32 0
		.amdhsa_float_round_mode_16_64 0
		.amdhsa_float_denorm_mode_32 3
		.amdhsa_float_denorm_mode_16_64 3
		.amdhsa_dx10_clamp 1
		.amdhsa_ieee_mode 1
		.amdhsa_fp16_overflow 0
		.amdhsa_tg_split 0
		.amdhsa_exception_fp_ieee_invalid_op 0
		.amdhsa_exception_fp_denorm_src 0
		.amdhsa_exception_fp_ieee_div_zero 0
		.amdhsa_exception_fp_ieee_overflow 0
		.amdhsa_exception_fp_ieee_underflow 0
		.amdhsa_exception_fp_ieee_inexact 0
		.amdhsa_exception_int_div_zero 0
	.end_amdhsa_kernel
	.section	.text._ZN7rocprim17ROCPRIM_400000_NS6detail17trampoline_kernelINS0_14default_configENS1_21merge_config_selectorIsNS0_10empty_typeEEEZNS1_10merge_implIS3_N6thrust23THRUST_200600_302600_NS6detail15normal_iteratorINS9_10device_ptrIKsEEEESF_NS9_16discard_iteratorINS9_11use_defaultEEEPS5_SJ_SJ_NS9_4lessIsEEEE10hipError_tPvRmT0_T1_T2_T3_T4_T5_mmT6_P12ihipStream_tbEUlT_E0_NS1_11comp_targetILNS1_3genE3ELNS1_11target_archE908ELNS1_3gpuE7ELNS1_3repE0EEENS1_30default_config_static_selectorELNS0_4arch9wavefront6targetE1EEEvSQ_,"axG",@progbits,_ZN7rocprim17ROCPRIM_400000_NS6detail17trampoline_kernelINS0_14default_configENS1_21merge_config_selectorIsNS0_10empty_typeEEEZNS1_10merge_implIS3_N6thrust23THRUST_200600_302600_NS6detail15normal_iteratorINS9_10device_ptrIKsEEEESF_NS9_16discard_iteratorINS9_11use_defaultEEEPS5_SJ_SJ_NS9_4lessIsEEEE10hipError_tPvRmT0_T1_T2_T3_T4_T5_mmT6_P12ihipStream_tbEUlT_E0_NS1_11comp_targetILNS1_3genE3ELNS1_11target_archE908ELNS1_3gpuE7ELNS1_3repE0EEENS1_30default_config_static_selectorELNS0_4arch9wavefront6targetE1EEEvSQ_,comdat
.Lfunc_end455:
	.size	_ZN7rocprim17ROCPRIM_400000_NS6detail17trampoline_kernelINS0_14default_configENS1_21merge_config_selectorIsNS0_10empty_typeEEEZNS1_10merge_implIS3_N6thrust23THRUST_200600_302600_NS6detail15normal_iteratorINS9_10device_ptrIKsEEEESF_NS9_16discard_iteratorINS9_11use_defaultEEEPS5_SJ_SJ_NS9_4lessIsEEEE10hipError_tPvRmT0_T1_T2_T3_T4_T5_mmT6_P12ihipStream_tbEUlT_E0_NS1_11comp_targetILNS1_3genE3ELNS1_11target_archE908ELNS1_3gpuE7ELNS1_3repE0EEENS1_30default_config_static_selectorELNS0_4arch9wavefront6targetE1EEEvSQ_, .Lfunc_end455-_ZN7rocprim17ROCPRIM_400000_NS6detail17trampoline_kernelINS0_14default_configENS1_21merge_config_selectorIsNS0_10empty_typeEEEZNS1_10merge_implIS3_N6thrust23THRUST_200600_302600_NS6detail15normal_iteratorINS9_10device_ptrIKsEEEESF_NS9_16discard_iteratorINS9_11use_defaultEEEPS5_SJ_SJ_NS9_4lessIsEEEE10hipError_tPvRmT0_T1_T2_T3_T4_T5_mmT6_P12ihipStream_tbEUlT_E0_NS1_11comp_targetILNS1_3genE3ELNS1_11target_archE908ELNS1_3gpuE7ELNS1_3repE0EEENS1_30default_config_static_selectorELNS0_4arch9wavefront6targetE1EEEvSQ_
                                        ; -- End function
	.section	.AMDGPU.csdata,"",@progbits
; Kernel info:
; codeLenInByte = 0
; NumSgprs: 4
; NumVgprs: 0
; NumAgprs: 0
; TotalNumVgprs: 0
; ScratchSize: 0
; MemoryBound: 0
; FloatMode: 240
; IeeeMode: 1
; LDSByteSize: 0 bytes/workgroup (compile time only)
; SGPRBlocks: 0
; VGPRBlocks: 0
; NumSGPRsForWavesPerEU: 4
; NumVGPRsForWavesPerEU: 1
; AccumOffset: 4
; Occupancy: 8
; WaveLimiterHint : 0
; COMPUTE_PGM_RSRC2:SCRATCH_EN: 0
; COMPUTE_PGM_RSRC2:USER_SGPR: 6
; COMPUTE_PGM_RSRC2:TRAP_HANDLER: 0
; COMPUTE_PGM_RSRC2:TGID_X_EN: 1
; COMPUTE_PGM_RSRC2:TGID_Y_EN: 0
; COMPUTE_PGM_RSRC2:TGID_Z_EN: 0
; COMPUTE_PGM_RSRC2:TIDIG_COMP_CNT: 0
; COMPUTE_PGM_RSRC3_GFX90A:ACCUM_OFFSET: 0
; COMPUTE_PGM_RSRC3_GFX90A:TG_SPLIT: 0
	.section	.text._ZN7rocprim17ROCPRIM_400000_NS6detail17trampoline_kernelINS0_14default_configENS1_21merge_config_selectorIsNS0_10empty_typeEEEZNS1_10merge_implIS3_N6thrust23THRUST_200600_302600_NS6detail15normal_iteratorINS9_10device_ptrIKsEEEESF_NS9_16discard_iteratorINS9_11use_defaultEEEPS5_SJ_SJ_NS9_4lessIsEEEE10hipError_tPvRmT0_T1_T2_T3_T4_T5_mmT6_P12ihipStream_tbEUlT_E0_NS1_11comp_targetILNS1_3genE2ELNS1_11target_archE906ELNS1_3gpuE6ELNS1_3repE0EEENS1_30default_config_static_selectorELNS0_4arch9wavefront6targetE1EEEvSQ_,"axG",@progbits,_ZN7rocprim17ROCPRIM_400000_NS6detail17trampoline_kernelINS0_14default_configENS1_21merge_config_selectorIsNS0_10empty_typeEEEZNS1_10merge_implIS3_N6thrust23THRUST_200600_302600_NS6detail15normal_iteratorINS9_10device_ptrIKsEEEESF_NS9_16discard_iteratorINS9_11use_defaultEEEPS5_SJ_SJ_NS9_4lessIsEEEE10hipError_tPvRmT0_T1_T2_T3_T4_T5_mmT6_P12ihipStream_tbEUlT_E0_NS1_11comp_targetILNS1_3genE2ELNS1_11target_archE906ELNS1_3gpuE6ELNS1_3repE0EEENS1_30default_config_static_selectorELNS0_4arch9wavefront6targetE1EEEvSQ_,comdat
	.protected	_ZN7rocprim17ROCPRIM_400000_NS6detail17trampoline_kernelINS0_14default_configENS1_21merge_config_selectorIsNS0_10empty_typeEEEZNS1_10merge_implIS3_N6thrust23THRUST_200600_302600_NS6detail15normal_iteratorINS9_10device_ptrIKsEEEESF_NS9_16discard_iteratorINS9_11use_defaultEEEPS5_SJ_SJ_NS9_4lessIsEEEE10hipError_tPvRmT0_T1_T2_T3_T4_T5_mmT6_P12ihipStream_tbEUlT_E0_NS1_11comp_targetILNS1_3genE2ELNS1_11target_archE906ELNS1_3gpuE6ELNS1_3repE0EEENS1_30default_config_static_selectorELNS0_4arch9wavefront6targetE1EEEvSQ_ ; -- Begin function _ZN7rocprim17ROCPRIM_400000_NS6detail17trampoline_kernelINS0_14default_configENS1_21merge_config_selectorIsNS0_10empty_typeEEEZNS1_10merge_implIS3_N6thrust23THRUST_200600_302600_NS6detail15normal_iteratorINS9_10device_ptrIKsEEEESF_NS9_16discard_iteratorINS9_11use_defaultEEEPS5_SJ_SJ_NS9_4lessIsEEEE10hipError_tPvRmT0_T1_T2_T3_T4_T5_mmT6_P12ihipStream_tbEUlT_E0_NS1_11comp_targetILNS1_3genE2ELNS1_11target_archE906ELNS1_3gpuE6ELNS1_3repE0EEENS1_30default_config_static_selectorELNS0_4arch9wavefront6targetE1EEEvSQ_
	.globl	_ZN7rocprim17ROCPRIM_400000_NS6detail17trampoline_kernelINS0_14default_configENS1_21merge_config_selectorIsNS0_10empty_typeEEEZNS1_10merge_implIS3_N6thrust23THRUST_200600_302600_NS6detail15normal_iteratorINS9_10device_ptrIKsEEEESF_NS9_16discard_iteratorINS9_11use_defaultEEEPS5_SJ_SJ_NS9_4lessIsEEEE10hipError_tPvRmT0_T1_T2_T3_T4_T5_mmT6_P12ihipStream_tbEUlT_E0_NS1_11comp_targetILNS1_3genE2ELNS1_11target_archE906ELNS1_3gpuE6ELNS1_3repE0EEENS1_30default_config_static_selectorELNS0_4arch9wavefront6targetE1EEEvSQ_
	.p2align	8
	.type	_ZN7rocprim17ROCPRIM_400000_NS6detail17trampoline_kernelINS0_14default_configENS1_21merge_config_selectorIsNS0_10empty_typeEEEZNS1_10merge_implIS3_N6thrust23THRUST_200600_302600_NS6detail15normal_iteratorINS9_10device_ptrIKsEEEESF_NS9_16discard_iteratorINS9_11use_defaultEEEPS5_SJ_SJ_NS9_4lessIsEEEE10hipError_tPvRmT0_T1_T2_T3_T4_T5_mmT6_P12ihipStream_tbEUlT_E0_NS1_11comp_targetILNS1_3genE2ELNS1_11target_archE906ELNS1_3gpuE6ELNS1_3repE0EEENS1_30default_config_static_selectorELNS0_4arch9wavefront6targetE1EEEvSQ_,@function
_ZN7rocprim17ROCPRIM_400000_NS6detail17trampoline_kernelINS0_14default_configENS1_21merge_config_selectorIsNS0_10empty_typeEEEZNS1_10merge_implIS3_N6thrust23THRUST_200600_302600_NS6detail15normal_iteratorINS9_10device_ptrIKsEEEESF_NS9_16discard_iteratorINS9_11use_defaultEEEPS5_SJ_SJ_NS9_4lessIsEEEE10hipError_tPvRmT0_T1_T2_T3_T4_T5_mmT6_P12ihipStream_tbEUlT_E0_NS1_11comp_targetILNS1_3genE2ELNS1_11target_archE906ELNS1_3gpuE6ELNS1_3repE0EEENS1_30default_config_static_selectorELNS0_4arch9wavefront6targetE1EEEvSQ_: ; @_ZN7rocprim17ROCPRIM_400000_NS6detail17trampoline_kernelINS0_14default_configENS1_21merge_config_selectorIsNS0_10empty_typeEEEZNS1_10merge_implIS3_N6thrust23THRUST_200600_302600_NS6detail15normal_iteratorINS9_10device_ptrIKsEEEESF_NS9_16discard_iteratorINS9_11use_defaultEEEPS5_SJ_SJ_NS9_4lessIsEEEE10hipError_tPvRmT0_T1_T2_T3_T4_T5_mmT6_P12ihipStream_tbEUlT_E0_NS1_11comp_targetILNS1_3genE2ELNS1_11target_archE906ELNS1_3gpuE6ELNS1_3repE0EEENS1_30default_config_static_selectorELNS0_4arch9wavefront6targetE1EEEvSQ_
; %bb.0:
	.section	.rodata,"a",@progbits
	.p2align	6, 0x0
	.amdhsa_kernel _ZN7rocprim17ROCPRIM_400000_NS6detail17trampoline_kernelINS0_14default_configENS1_21merge_config_selectorIsNS0_10empty_typeEEEZNS1_10merge_implIS3_N6thrust23THRUST_200600_302600_NS6detail15normal_iteratorINS9_10device_ptrIKsEEEESF_NS9_16discard_iteratorINS9_11use_defaultEEEPS5_SJ_SJ_NS9_4lessIsEEEE10hipError_tPvRmT0_T1_T2_T3_T4_T5_mmT6_P12ihipStream_tbEUlT_E0_NS1_11comp_targetILNS1_3genE2ELNS1_11target_archE906ELNS1_3gpuE6ELNS1_3repE0EEENS1_30default_config_static_selectorELNS0_4arch9wavefront6targetE1EEEvSQ_
		.amdhsa_group_segment_fixed_size 0
		.amdhsa_private_segment_fixed_size 0
		.amdhsa_kernarg_size 96
		.amdhsa_user_sgpr_count 6
		.amdhsa_user_sgpr_private_segment_buffer 1
		.amdhsa_user_sgpr_dispatch_ptr 0
		.amdhsa_user_sgpr_queue_ptr 0
		.amdhsa_user_sgpr_kernarg_segment_ptr 1
		.amdhsa_user_sgpr_dispatch_id 0
		.amdhsa_user_sgpr_flat_scratch_init 0
		.amdhsa_user_sgpr_kernarg_preload_length 0
		.amdhsa_user_sgpr_kernarg_preload_offset 0
		.amdhsa_user_sgpr_private_segment_size 0
		.amdhsa_uses_dynamic_stack 0
		.amdhsa_system_sgpr_private_segment_wavefront_offset 0
		.amdhsa_system_sgpr_workgroup_id_x 1
		.amdhsa_system_sgpr_workgroup_id_y 0
		.amdhsa_system_sgpr_workgroup_id_z 0
		.amdhsa_system_sgpr_workgroup_info 0
		.amdhsa_system_vgpr_workitem_id 0
		.amdhsa_next_free_vgpr 1
		.amdhsa_next_free_sgpr 0
		.amdhsa_accum_offset 4
		.amdhsa_reserve_vcc 0
		.amdhsa_reserve_flat_scratch 0
		.amdhsa_float_round_mode_32 0
		.amdhsa_float_round_mode_16_64 0
		.amdhsa_float_denorm_mode_32 3
		.amdhsa_float_denorm_mode_16_64 3
		.amdhsa_dx10_clamp 1
		.amdhsa_ieee_mode 1
		.amdhsa_fp16_overflow 0
		.amdhsa_tg_split 0
		.amdhsa_exception_fp_ieee_invalid_op 0
		.amdhsa_exception_fp_denorm_src 0
		.amdhsa_exception_fp_ieee_div_zero 0
		.amdhsa_exception_fp_ieee_overflow 0
		.amdhsa_exception_fp_ieee_underflow 0
		.amdhsa_exception_fp_ieee_inexact 0
		.amdhsa_exception_int_div_zero 0
	.end_amdhsa_kernel
	.section	.text._ZN7rocprim17ROCPRIM_400000_NS6detail17trampoline_kernelINS0_14default_configENS1_21merge_config_selectorIsNS0_10empty_typeEEEZNS1_10merge_implIS3_N6thrust23THRUST_200600_302600_NS6detail15normal_iteratorINS9_10device_ptrIKsEEEESF_NS9_16discard_iteratorINS9_11use_defaultEEEPS5_SJ_SJ_NS9_4lessIsEEEE10hipError_tPvRmT0_T1_T2_T3_T4_T5_mmT6_P12ihipStream_tbEUlT_E0_NS1_11comp_targetILNS1_3genE2ELNS1_11target_archE906ELNS1_3gpuE6ELNS1_3repE0EEENS1_30default_config_static_selectorELNS0_4arch9wavefront6targetE1EEEvSQ_,"axG",@progbits,_ZN7rocprim17ROCPRIM_400000_NS6detail17trampoline_kernelINS0_14default_configENS1_21merge_config_selectorIsNS0_10empty_typeEEEZNS1_10merge_implIS3_N6thrust23THRUST_200600_302600_NS6detail15normal_iteratorINS9_10device_ptrIKsEEEESF_NS9_16discard_iteratorINS9_11use_defaultEEEPS5_SJ_SJ_NS9_4lessIsEEEE10hipError_tPvRmT0_T1_T2_T3_T4_T5_mmT6_P12ihipStream_tbEUlT_E0_NS1_11comp_targetILNS1_3genE2ELNS1_11target_archE906ELNS1_3gpuE6ELNS1_3repE0EEENS1_30default_config_static_selectorELNS0_4arch9wavefront6targetE1EEEvSQ_,comdat
.Lfunc_end456:
	.size	_ZN7rocprim17ROCPRIM_400000_NS6detail17trampoline_kernelINS0_14default_configENS1_21merge_config_selectorIsNS0_10empty_typeEEEZNS1_10merge_implIS3_N6thrust23THRUST_200600_302600_NS6detail15normal_iteratorINS9_10device_ptrIKsEEEESF_NS9_16discard_iteratorINS9_11use_defaultEEEPS5_SJ_SJ_NS9_4lessIsEEEE10hipError_tPvRmT0_T1_T2_T3_T4_T5_mmT6_P12ihipStream_tbEUlT_E0_NS1_11comp_targetILNS1_3genE2ELNS1_11target_archE906ELNS1_3gpuE6ELNS1_3repE0EEENS1_30default_config_static_selectorELNS0_4arch9wavefront6targetE1EEEvSQ_, .Lfunc_end456-_ZN7rocprim17ROCPRIM_400000_NS6detail17trampoline_kernelINS0_14default_configENS1_21merge_config_selectorIsNS0_10empty_typeEEEZNS1_10merge_implIS3_N6thrust23THRUST_200600_302600_NS6detail15normal_iteratorINS9_10device_ptrIKsEEEESF_NS9_16discard_iteratorINS9_11use_defaultEEEPS5_SJ_SJ_NS9_4lessIsEEEE10hipError_tPvRmT0_T1_T2_T3_T4_T5_mmT6_P12ihipStream_tbEUlT_E0_NS1_11comp_targetILNS1_3genE2ELNS1_11target_archE906ELNS1_3gpuE6ELNS1_3repE0EEENS1_30default_config_static_selectorELNS0_4arch9wavefront6targetE1EEEvSQ_
                                        ; -- End function
	.section	.AMDGPU.csdata,"",@progbits
; Kernel info:
; codeLenInByte = 0
; NumSgprs: 4
; NumVgprs: 0
; NumAgprs: 0
; TotalNumVgprs: 0
; ScratchSize: 0
; MemoryBound: 0
; FloatMode: 240
; IeeeMode: 1
; LDSByteSize: 0 bytes/workgroup (compile time only)
; SGPRBlocks: 0
; VGPRBlocks: 0
; NumSGPRsForWavesPerEU: 4
; NumVGPRsForWavesPerEU: 1
; AccumOffset: 4
; Occupancy: 8
; WaveLimiterHint : 0
; COMPUTE_PGM_RSRC2:SCRATCH_EN: 0
; COMPUTE_PGM_RSRC2:USER_SGPR: 6
; COMPUTE_PGM_RSRC2:TRAP_HANDLER: 0
; COMPUTE_PGM_RSRC2:TGID_X_EN: 1
; COMPUTE_PGM_RSRC2:TGID_Y_EN: 0
; COMPUTE_PGM_RSRC2:TGID_Z_EN: 0
; COMPUTE_PGM_RSRC2:TIDIG_COMP_CNT: 0
; COMPUTE_PGM_RSRC3_GFX90A:ACCUM_OFFSET: 0
; COMPUTE_PGM_RSRC3_GFX90A:TG_SPLIT: 0
	.section	.text._ZN7rocprim17ROCPRIM_400000_NS6detail17trampoline_kernelINS0_14default_configENS1_21merge_config_selectorIsNS0_10empty_typeEEEZNS1_10merge_implIS3_N6thrust23THRUST_200600_302600_NS6detail15normal_iteratorINS9_10device_ptrIKsEEEESF_NS9_16discard_iteratorINS9_11use_defaultEEEPS5_SJ_SJ_NS9_4lessIsEEEE10hipError_tPvRmT0_T1_T2_T3_T4_T5_mmT6_P12ihipStream_tbEUlT_E0_NS1_11comp_targetILNS1_3genE10ELNS1_11target_archE1201ELNS1_3gpuE5ELNS1_3repE0EEENS1_30default_config_static_selectorELNS0_4arch9wavefront6targetE1EEEvSQ_,"axG",@progbits,_ZN7rocprim17ROCPRIM_400000_NS6detail17trampoline_kernelINS0_14default_configENS1_21merge_config_selectorIsNS0_10empty_typeEEEZNS1_10merge_implIS3_N6thrust23THRUST_200600_302600_NS6detail15normal_iteratorINS9_10device_ptrIKsEEEESF_NS9_16discard_iteratorINS9_11use_defaultEEEPS5_SJ_SJ_NS9_4lessIsEEEE10hipError_tPvRmT0_T1_T2_T3_T4_T5_mmT6_P12ihipStream_tbEUlT_E0_NS1_11comp_targetILNS1_3genE10ELNS1_11target_archE1201ELNS1_3gpuE5ELNS1_3repE0EEENS1_30default_config_static_selectorELNS0_4arch9wavefront6targetE1EEEvSQ_,comdat
	.protected	_ZN7rocprim17ROCPRIM_400000_NS6detail17trampoline_kernelINS0_14default_configENS1_21merge_config_selectorIsNS0_10empty_typeEEEZNS1_10merge_implIS3_N6thrust23THRUST_200600_302600_NS6detail15normal_iteratorINS9_10device_ptrIKsEEEESF_NS9_16discard_iteratorINS9_11use_defaultEEEPS5_SJ_SJ_NS9_4lessIsEEEE10hipError_tPvRmT0_T1_T2_T3_T4_T5_mmT6_P12ihipStream_tbEUlT_E0_NS1_11comp_targetILNS1_3genE10ELNS1_11target_archE1201ELNS1_3gpuE5ELNS1_3repE0EEENS1_30default_config_static_selectorELNS0_4arch9wavefront6targetE1EEEvSQ_ ; -- Begin function _ZN7rocprim17ROCPRIM_400000_NS6detail17trampoline_kernelINS0_14default_configENS1_21merge_config_selectorIsNS0_10empty_typeEEEZNS1_10merge_implIS3_N6thrust23THRUST_200600_302600_NS6detail15normal_iteratorINS9_10device_ptrIKsEEEESF_NS9_16discard_iteratorINS9_11use_defaultEEEPS5_SJ_SJ_NS9_4lessIsEEEE10hipError_tPvRmT0_T1_T2_T3_T4_T5_mmT6_P12ihipStream_tbEUlT_E0_NS1_11comp_targetILNS1_3genE10ELNS1_11target_archE1201ELNS1_3gpuE5ELNS1_3repE0EEENS1_30default_config_static_selectorELNS0_4arch9wavefront6targetE1EEEvSQ_
	.globl	_ZN7rocprim17ROCPRIM_400000_NS6detail17trampoline_kernelINS0_14default_configENS1_21merge_config_selectorIsNS0_10empty_typeEEEZNS1_10merge_implIS3_N6thrust23THRUST_200600_302600_NS6detail15normal_iteratorINS9_10device_ptrIKsEEEESF_NS9_16discard_iteratorINS9_11use_defaultEEEPS5_SJ_SJ_NS9_4lessIsEEEE10hipError_tPvRmT0_T1_T2_T3_T4_T5_mmT6_P12ihipStream_tbEUlT_E0_NS1_11comp_targetILNS1_3genE10ELNS1_11target_archE1201ELNS1_3gpuE5ELNS1_3repE0EEENS1_30default_config_static_selectorELNS0_4arch9wavefront6targetE1EEEvSQ_
	.p2align	8
	.type	_ZN7rocprim17ROCPRIM_400000_NS6detail17trampoline_kernelINS0_14default_configENS1_21merge_config_selectorIsNS0_10empty_typeEEEZNS1_10merge_implIS3_N6thrust23THRUST_200600_302600_NS6detail15normal_iteratorINS9_10device_ptrIKsEEEESF_NS9_16discard_iteratorINS9_11use_defaultEEEPS5_SJ_SJ_NS9_4lessIsEEEE10hipError_tPvRmT0_T1_T2_T3_T4_T5_mmT6_P12ihipStream_tbEUlT_E0_NS1_11comp_targetILNS1_3genE10ELNS1_11target_archE1201ELNS1_3gpuE5ELNS1_3repE0EEENS1_30default_config_static_selectorELNS0_4arch9wavefront6targetE1EEEvSQ_,@function
_ZN7rocprim17ROCPRIM_400000_NS6detail17trampoline_kernelINS0_14default_configENS1_21merge_config_selectorIsNS0_10empty_typeEEEZNS1_10merge_implIS3_N6thrust23THRUST_200600_302600_NS6detail15normal_iteratorINS9_10device_ptrIKsEEEESF_NS9_16discard_iteratorINS9_11use_defaultEEEPS5_SJ_SJ_NS9_4lessIsEEEE10hipError_tPvRmT0_T1_T2_T3_T4_T5_mmT6_P12ihipStream_tbEUlT_E0_NS1_11comp_targetILNS1_3genE10ELNS1_11target_archE1201ELNS1_3gpuE5ELNS1_3repE0EEENS1_30default_config_static_selectorELNS0_4arch9wavefront6targetE1EEEvSQ_: ; @_ZN7rocprim17ROCPRIM_400000_NS6detail17trampoline_kernelINS0_14default_configENS1_21merge_config_selectorIsNS0_10empty_typeEEEZNS1_10merge_implIS3_N6thrust23THRUST_200600_302600_NS6detail15normal_iteratorINS9_10device_ptrIKsEEEESF_NS9_16discard_iteratorINS9_11use_defaultEEEPS5_SJ_SJ_NS9_4lessIsEEEE10hipError_tPvRmT0_T1_T2_T3_T4_T5_mmT6_P12ihipStream_tbEUlT_E0_NS1_11comp_targetILNS1_3genE10ELNS1_11target_archE1201ELNS1_3gpuE5ELNS1_3repE0EEENS1_30default_config_static_selectorELNS0_4arch9wavefront6targetE1EEEvSQ_
; %bb.0:
	.section	.rodata,"a",@progbits
	.p2align	6, 0x0
	.amdhsa_kernel _ZN7rocprim17ROCPRIM_400000_NS6detail17trampoline_kernelINS0_14default_configENS1_21merge_config_selectorIsNS0_10empty_typeEEEZNS1_10merge_implIS3_N6thrust23THRUST_200600_302600_NS6detail15normal_iteratorINS9_10device_ptrIKsEEEESF_NS9_16discard_iteratorINS9_11use_defaultEEEPS5_SJ_SJ_NS9_4lessIsEEEE10hipError_tPvRmT0_T1_T2_T3_T4_T5_mmT6_P12ihipStream_tbEUlT_E0_NS1_11comp_targetILNS1_3genE10ELNS1_11target_archE1201ELNS1_3gpuE5ELNS1_3repE0EEENS1_30default_config_static_selectorELNS0_4arch9wavefront6targetE1EEEvSQ_
		.amdhsa_group_segment_fixed_size 0
		.amdhsa_private_segment_fixed_size 0
		.amdhsa_kernarg_size 96
		.amdhsa_user_sgpr_count 6
		.amdhsa_user_sgpr_private_segment_buffer 1
		.amdhsa_user_sgpr_dispatch_ptr 0
		.amdhsa_user_sgpr_queue_ptr 0
		.amdhsa_user_sgpr_kernarg_segment_ptr 1
		.amdhsa_user_sgpr_dispatch_id 0
		.amdhsa_user_sgpr_flat_scratch_init 0
		.amdhsa_user_sgpr_kernarg_preload_length 0
		.amdhsa_user_sgpr_kernarg_preload_offset 0
		.amdhsa_user_sgpr_private_segment_size 0
		.amdhsa_uses_dynamic_stack 0
		.amdhsa_system_sgpr_private_segment_wavefront_offset 0
		.amdhsa_system_sgpr_workgroup_id_x 1
		.amdhsa_system_sgpr_workgroup_id_y 0
		.amdhsa_system_sgpr_workgroup_id_z 0
		.amdhsa_system_sgpr_workgroup_info 0
		.amdhsa_system_vgpr_workitem_id 0
		.amdhsa_next_free_vgpr 1
		.amdhsa_next_free_sgpr 0
		.amdhsa_accum_offset 4
		.amdhsa_reserve_vcc 0
		.amdhsa_reserve_flat_scratch 0
		.amdhsa_float_round_mode_32 0
		.amdhsa_float_round_mode_16_64 0
		.amdhsa_float_denorm_mode_32 3
		.amdhsa_float_denorm_mode_16_64 3
		.amdhsa_dx10_clamp 1
		.amdhsa_ieee_mode 1
		.amdhsa_fp16_overflow 0
		.amdhsa_tg_split 0
		.amdhsa_exception_fp_ieee_invalid_op 0
		.amdhsa_exception_fp_denorm_src 0
		.amdhsa_exception_fp_ieee_div_zero 0
		.amdhsa_exception_fp_ieee_overflow 0
		.amdhsa_exception_fp_ieee_underflow 0
		.amdhsa_exception_fp_ieee_inexact 0
		.amdhsa_exception_int_div_zero 0
	.end_amdhsa_kernel
	.section	.text._ZN7rocprim17ROCPRIM_400000_NS6detail17trampoline_kernelINS0_14default_configENS1_21merge_config_selectorIsNS0_10empty_typeEEEZNS1_10merge_implIS3_N6thrust23THRUST_200600_302600_NS6detail15normal_iteratorINS9_10device_ptrIKsEEEESF_NS9_16discard_iteratorINS9_11use_defaultEEEPS5_SJ_SJ_NS9_4lessIsEEEE10hipError_tPvRmT0_T1_T2_T3_T4_T5_mmT6_P12ihipStream_tbEUlT_E0_NS1_11comp_targetILNS1_3genE10ELNS1_11target_archE1201ELNS1_3gpuE5ELNS1_3repE0EEENS1_30default_config_static_selectorELNS0_4arch9wavefront6targetE1EEEvSQ_,"axG",@progbits,_ZN7rocprim17ROCPRIM_400000_NS6detail17trampoline_kernelINS0_14default_configENS1_21merge_config_selectorIsNS0_10empty_typeEEEZNS1_10merge_implIS3_N6thrust23THRUST_200600_302600_NS6detail15normal_iteratorINS9_10device_ptrIKsEEEESF_NS9_16discard_iteratorINS9_11use_defaultEEEPS5_SJ_SJ_NS9_4lessIsEEEE10hipError_tPvRmT0_T1_T2_T3_T4_T5_mmT6_P12ihipStream_tbEUlT_E0_NS1_11comp_targetILNS1_3genE10ELNS1_11target_archE1201ELNS1_3gpuE5ELNS1_3repE0EEENS1_30default_config_static_selectorELNS0_4arch9wavefront6targetE1EEEvSQ_,comdat
.Lfunc_end457:
	.size	_ZN7rocprim17ROCPRIM_400000_NS6detail17trampoline_kernelINS0_14default_configENS1_21merge_config_selectorIsNS0_10empty_typeEEEZNS1_10merge_implIS3_N6thrust23THRUST_200600_302600_NS6detail15normal_iteratorINS9_10device_ptrIKsEEEESF_NS9_16discard_iteratorINS9_11use_defaultEEEPS5_SJ_SJ_NS9_4lessIsEEEE10hipError_tPvRmT0_T1_T2_T3_T4_T5_mmT6_P12ihipStream_tbEUlT_E0_NS1_11comp_targetILNS1_3genE10ELNS1_11target_archE1201ELNS1_3gpuE5ELNS1_3repE0EEENS1_30default_config_static_selectorELNS0_4arch9wavefront6targetE1EEEvSQ_, .Lfunc_end457-_ZN7rocprim17ROCPRIM_400000_NS6detail17trampoline_kernelINS0_14default_configENS1_21merge_config_selectorIsNS0_10empty_typeEEEZNS1_10merge_implIS3_N6thrust23THRUST_200600_302600_NS6detail15normal_iteratorINS9_10device_ptrIKsEEEESF_NS9_16discard_iteratorINS9_11use_defaultEEEPS5_SJ_SJ_NS9_4lessIsEEEE10hipError_tPvRmT0_T1_T2_T3_T4_T5_mmT6_P12ihipStream_tbEUlT_E0_NS1_11comp_targetILNS1_3genE10ELNS1_11target_archE1201ELNS1_3gpuE5ELNS1_3repE0EEENS1_30default_config_static_selectorELNS0_4arch9wavefront6targetE1EEEvSQ_
                                        ; -- End function
	.section	.AMDGPU.csdata,"",@progbits
; Kernel info:
; codeLenInByte = 0
; NumSgprs: 4
; NumVgprs: 0
; NumAgprs: 0
; TotalNumVgprs: 0
; ScratchSize: 0
; MemoryBound: 0
; FloatMode: 240
; IeeeMode: 1
; LDSByteSize: 0 bytes/workgroup (compile time only)
; SGPRBlocks: 0
; VGPRBlocks: 0
; NumSGPRsForWavesPerEU: 4
; NumVGPRsForWavesPerEU: 1
; AccumOffset: 4
; Occupancy: 8
; WaveLimiterHint : 0
; COMPUTE_PGM_RSRC2:SCRATCH_EN: 0
; COMPUTE_PGM_RSRC2:USER_SGPR: 6
; COMPUTE_PGM_RSRC2:TRAP_HANDLER: 0
; COMPUTE_PGM_RSRC2:TGID_X_EN: 1
; COMPUTE_PGM_RSRC2:TGID_Y_EN: 0
; COMPUTE_PGM_RSRC2:TGID_Z_EN: 0
; COMPUTE_PGM_RSRC2:TIDIG_COMP_CNT: 0
; COMPUTE_PGM_RSRC3_GFX90A:ACCUM_OFFSET: 0
; COMPUTE_PGM_RSRC3_GFX90A:TG_SPLIT: 0
	.section	.text._ZN7rocprim17ROCPRIM_400000_NS6detail17trampoline_kernelINS0_14default_configENS1_21merge_config_selectorIsNS0_10empty_typeEEEZNS1_10merge_implIS3_N6thrust23THRUST_200600_302600_NS6detail15normal_iteratorINS9_10device_ptrIKsEEEESF_NS9_16discard_iteratorINS9_11use_defaultEEEPS5_SJ_SJ_NS9_4lessIsEEEE10hipError_tPvRmT0_T1_T2_T3_T4_T5_mmT6_P12ihipStream_tbEUlT_E0_NS1_11comp_targetILNS1_3genE10ELNS1_11target_archE1200ELNS1_3gpuE4ELNS1_3repE0EEENS1_30default_config_static_selectorELNS0_4arch9wavefront6targetE1EEEvSQ_,"axG",@progbits,_ZN7rocprim17ROCPRIM_400000_NS6detail17trampoline_kernelINS0_14default_configENS1_21merge_config_selectorIsNS0_10empty_typeEEEZNS1_10merge_implIS3_N6thrust23THRUST_200600_302600_NS6detail15normal_iteratorINS9_10device_ptrIKsEEEESF_NS9_16discard_iteratorINS9_11use_defaultEEEPS5_SJ_SJ_NS9_4lessIsEEEE10hipError_tPvRmT0_T1_T2_T3_T4_T5_mmT6_P12ihipStream_tbEUlT_E0_NS1_11comp_targetILNS1_3genE10ELNS1_11target_archE1200ELNS1_3gpuE4ELNS1_3repE0EEENS1_30default_config_static_selectorELNS0_4arch9wavefront6targetE1EEEvSQ_,comdat
	.protected	_ZN7rocprim17ROCPRIM_400000_NS6detail17trampoline_kernelINS0_14default_configENS1_21merge_config_selectorIsNS0_10empty_typeEEEZNS1_10merge_implIS3_N6thrust23THRUST_200600_302600_NS6detail15normal_iteratorINS9_10device_ptrIKsEEEESF_NS9_16discard_iteratorINS9_11use_defaultEEEPS5_SJ_SJ_NS9_4lessIsEEEE10hipError_tPvRmT0_T1_T2_T3_T4_T5_mmT6_P12ihipStream_tbEUlT_E0_NS1_11comp_targetILNS1_3genE10ELNS1_11target_archE1200ELNS1_3gpuE4ELNS1_3repE0EEENS1_30default_config_static_selectorELNS0_4arch9wavefront6targetE1EEEvSQ_ ; -- Begin function _ZN7rocprim17ROCPRIM_400000_NS6detail17trampoline_kernelINS0_14default_configENS1_21merge_config_selectorIsNS0_10empty_typeEEEZNS1_10merge_implIS3_N6thrust23THRUST_200600_302600_NS6detail15normal_iteratorINS9_10device_ptrIKsEEEESF_NS9_16discard_iteratorINS9_11use_defaultEEEPS5_SJ_SJ_NS9_4lessIsEEEE10hipError_tPvRmT0_T1_T2_T3_T4_T5_mmT6_P12ihipStream_tbEUlT_E0_NS1_11comp_targetILNS1_3genE10ELNS1_11target_archE1200ELNS1_3gpuE4ELNS1_3repE0EEENS1_30default_config_static_selectorELNS0_4arch9wavefront6targetE1EEEvSQ_
	.globl	_ZN7rocprim17ROCPRIM_400000_NS6detail17trampoline_kernelINS0_14default_configENS1_21merge_config_selectorIsNS0_10empty_typeEEEZNS1_10merge_implIS3_N6thrust23THRUST_200600_302600_NS6detail15normal_iteratorINS9_10device_ptrIKsEEEESF_NS9_16discard_iteratorINS9_11use_defaultEEEPS5_SJ_SJ_NS9_4lessIsEEEE10hipError_tPvRmT0_T1_T2_T3_T4_T5_mmT6_P12ihipStream_tbEUlT_E0_NS1_11comp_targetILNS1_3genE10ELNS1_11target_archE1200ELNS1_3gpuE4ELNS1_3repE0EEENS1_30default_config_static_selectorELNS0_4arch9wavefront6targetE1EEEvSQ_
	.p2align	8
	.type	_ZN7rocprim17ROCPRIM_400000_NS6detail17trampoline_kernelINS0_14default_configENS1_21merge_config_selectorIsNS0_10empty_typeEEEZNS1_10merge_implIS3_N6thrust23THRUST_200600_302600_NS6detail15normal_iteratorINS9_10device_ptrIKsEEEESF_NS9_16discard_iteratorINS9_11use_defaultEEEPS5_SJ_SJ_NS9_4lessIsEEEE10hipError_tPvRmT0_T1_T2_T3_T4_T5_mmT6_P12ihipStream_tbEUlT_E0_NS1_11comp_targetILNS1_3genE10ELNS1_11target_archE1200ELNS1_3gpuE4ELNS1_3repE0EEENS1_30default_config_static_selectorELNS0_4arch9wavefront6targetE1EEEvSQ_,@function
_ZN7rocprim17ROCPRIM_400000_NS6detail17trampoline_kernelINS0_14default_configENS1_21merge_config_selectorIsNS0_10empty_typeEEEZNS1_10merge_implIS3_N6thrust23THRUST_200600_302600_NS6detail15normal_iteratorINS9_10device_ptrIKsEEEESF_NS9_16discard_iteratorINS9_11use_defaultEEEPS5_SJ_SJ_NS9_4lessIsEEEE10hipError_tPvRmT0_T1_T2_T3_T4_T5_mmT6_P12ihipStream_tbEUlT_E0_NS1_11comp_targetILNS1_3genE10ELNS1_11target_archE1200ELNS1_3gpuE4ELNS1_3repE0EEENS1_30default_config_static_selectorELNS0_4arch9wavefront6targetE1EEEvSQ_: ; @_ZN7rocprim17ROCPRIM_400000_NS6detail17trampoline_kernelINS0_14default_configENS1_21merge_config_selectorIsNS0_10empty_typeEEEZNS1_10merge_implIS3_N6thrust23THRUST_200600_302600_NS6detail15normal_iteratorINS9_10device_ptrIKsEEEESF_NS9_16discard_iteratorINS9_11use_defaultEEEPS5_SJ_SJ_NS9_4lessIsEEEE10hipError_tPvRmT0_T1_T2_T3_T4_T5_mmT6_P12ihipStream_tbEUlT_E0_NS1_11comp_targetILNS1_3genE10ELNS1_11target_archE1200ELNS1_3gpuE4ELNS1_3repE0EEENS1_30default_config_static_selectorELNS0_4arch9wavefront6targetE1EEEvSQ_
; %bb.0:
	.section	.rodata,"a",@progbits
	.p2align	6, 0x0
	.amdhsa_kernel _ZN7rocprim17ROCPRIM_400000_NS6detail17trampoline_kernelINS0_14default_configENS1_21merge_config_selectorIsNS0_10empty_typeEEEZNS1_10merge_implIS3_N6thrust23THRUST_200600_302600_NS6detail15normal_iteratorINS9_10device_ptrIKsEEEESF_NS9_16discard_iteratorINS9_11use_defaultEEEPS5_SJ_SJ_NS9_4lessIsEEEE10hipError_tPvRmT0_T1_T2_T3_T4_T5_mmT6_P12ihipStream_tbEUlT_E0_NS1_11comp_targetILNS1_3genE10ELNS1_11target_archE1200ELNS1_3gpuE4ELNS1_3repE0EEENS1_30default_config_static_selectorELNS0_4arch9wavefront6targetE1EEEvSQ_
		.amdhsa_group_segment_fixed_size 0
		.amdhsa_private_segment_fixed_size 0
		.amdhsa_kernarg_size 96
		.amdhsa_user_sgpr_count 6
		.amdhsa_user_sgpr_private_segment_buffer 1
		.amdhsa_user_sgpr_dispatch_ptr 0
		.amdhsa_user_sgpr_queue_ptr 0
		.amdhsa_user_sgpr_kernarg_segment_ptr 1
		.amdhsa_user_sgpr_dispatch_id 0
		.amdhsa_user_sgpr_flat_scratch_init 0
		.amdhsa_user_sgpr_kernarg_preload_length 0
		.amdhsa_user_sgpr_kernarg_preload_offset 0
		.amdhsa_user_sgpr_private_segment_size 0
		.amdhsa_uses_dynamic_stack 0
		.amdhsa_system_sgpr_private_segment_wavefront_offset 0
		.amdhsa_system_sgpr_workgroup_id_x 1
		.amdhsa_system_sgpr_workgroup_id_y 0
		.amdhsa_system_sgpr_workgroup_id_z 0
		.amdhsa_system_sgpr_workgroup_info 0
		.amdhsa_system_vgpr_workitem_id 0
		.amdhsa_next_free_vgpr 1
		.amdhsa_next_free_sgpr 0
		.amdhsa_accum_offset 4
		.amdhsa_reserve_vcc 0
		.amdhsa_reserve_flat_scratch 0
		.amdhsa_float_round_mode_32 0
		.amdhsa_float_round_mode_16_64 0
		.amdhsa_float_denorm_mode_32 3
		.amdhsa_float_denorm_mode_16_64 3
		.amdhsa_dx10_clamp 1
		.amdhsa_ieee_mode 1
		.amdhsa_fp16_overflow 0
		.amdhsa_tg_split 0
		.amdhsa_exception_fp_ieee_invalid_op 0
		.amdhsa_exception_fp_denorm_src 0
		.amdhsa_exception_fp_ieee_div_zero 0
		.amdhsa_exception_fp_ieee_overflow 0
		.amdhsa_exception_fp_ieee_underflow 0
		.amdhsa_exception_fp_ieee_inexact 0
		.amdhsa_exception_int_div_zero 0
	.end_amdhsa_kernel
	.section	.text._ZN7rocprim17ROCPRIM_400000_NS6detail17trampoline_kernelINS0_14default_configENS1_21merge_config_selectorIsNS0_10empty_typeEEEZNS1_10merge_implIS3_N6thrust23THRUST_200600_302600_NS6detail15normal_iteratorINS9_10device_ptrIKsEEEESF_NS9_16discard_iteratorINS9_11use_defaultEEEPS5_SJ_SJ_NS9_4lessIsEEEE10hipError_tPvRmT0_T1_T2_T3_T4_T5_mmT6_P12ihipStream_tbEUlT_E0_NS1_11comp_targetILNS1_3genE10ELNS1_11target_archE1200ELNS1_3gpuE4ELNS1_3repE0EEENS1_30default_config_static_selectorELNS0_4arch9wavefront6targetE1EEEvSQ_,"axG",@progbits,_ZN7rocprim17ROCPRIM_400000_NS6detail17trampoline_kernelINS0_14default_configENS1_21merge_config_selectorIsNS0_10empty_typeEEEZNS1_10merge_implIS3_N6thrust23THRUST_200600_302600_NS6detail15normal_iteratorINS9_10device_ptrIKsEEEESF_NS9_16discard_iteratorINS9_11use_defaultEEEPS5_SJ_SJ_NS9_4lessIsEEEE10hipError_tPvRmT0_T1_T2_T3_T4_T5_mmT6_P12ihipStream_tbEUlT_E0_NS1_11comp_targetILNS1_3genE10ELNS1_11target_archE1200ELNS1_3gpuE4ELNS1_3repE0EEENS1_30default_config_static_selectorELNS0_4arch9wavefront6targetE1EEEvSQ_,comdat
.Lfunc_end458:
	.size	_ZN7rocprim17ROCPRIM_400000_NS6detail17trampoline_kernelINS0_14default_configENS1_21merge_config_selectorIsNS0_10empty_typeEEEZNS1_10merge_implIS3_N6thrust23THRUST_200600_302600_NS6detail15normal_iteratorINS9_10device_ptrIKsEEEESF_NS9_16discard_iteratorINS9_11use_defaultEEEPS5_SJ_SJ_NS9_4lessIsEEEE10hipError_tPvRmT0_T1_T2_T3_T4_T5_mmT6_P12ihipStream_tbEUlT_E0_NS1_11comp_targetILNS1_3genE10ELNS1_11target_archE1200ELNS1_3gpuE4ELNS1_3repE0EEENS1_30default_config_static_selectorELNS0_4arch9wavefront6targetE1EEEvSQ_, .Lfunc_end458-_ZN7rocprim17ROCPRIM_400000_NS6detail17trampoline_kernelINS0_14default_configENS1_21merge_config_selectorIsNS0_10empty_typeEEEZNS1_10merge_implIS3_N6thrust23THRUST_200600_302600_NS6detail15normal_iteratorINS9_10device_ptrIKsEEEESF_NS9_16discard_iteratorINS9_11use_defaultEEEPS5_SJ_SJ_NS9_4lessIsEEEE10hipError_tPvRmT0_T1_T2_T3_T4_T5_mmT6_P12ihipStream_tbEUlT_E0_NS1_11comp_targetILNS1_3genE10ELNS1_11target_archE1200ELNS1_3gpuE4ELNS1_3repE0EEENS1_30default_config_static_selectorELNS0_4arch9wavefront6targetE1EEEvSQ_
                                        ; -- End function
	.section	.AMDGPU.csdata,"",@progbits
; Kernel info:
; codeLenInByte = 0
; NumSgprs: 4
; NumVgprs: 0
; NumAgprs: 0
; TotalNumVgprs: 0
; ScratchSize: 0
; MemoryBound: 0
; FloatMode: 240
; IeeeMode: 1
; LDSByteSize: 0 bytes/workgroup (compile time only)
; SGPRBlocks: 0
; VGPRBlocks: 0
; NumSGPRsForWavesPerEU: 4
; NumVGPRsForWavesPerEU: 1
; AccumOffset: 4
; Occupancy: 8
; WaveLimiterHint : 0
; COMPUTE_PGM_RSRC2:SCRATCH_EN: 0
; COMPUTE_PGM_RSRC2:USER_SGPR: 6
; COMPUTE_PGM_RSRC2:TRAP_HANDLER: 0
; COMPUTE_PGM_RSRC2:TGID_X_EN: 1
; COMPUTE_PGM_RSRC2:TGID_Y_EN: 0
; COMPUTE_PGM_RSRC2:TGID_Z_EN: 0
; COMPUTE_PGM_RSRC2:TIDIG_COMP_CNT: 0
; COMPUTE_PGM_RSRC3_GFX90A:ACCUM_OFFSET: 0
; COMPUTE_PGM_RSRC3_GFX90A:TG_SPLIT: 0
	.section	.text._ZN7rocprim17ROCPRIM_400000_NS6detail17trampoline_kernelINS0_14default_configENS1_21merge_config_selectorIsNS0_10empty_typeEEEZNS1_10merge_implIS3_N6thrust23THRUST_200600_302600_NS6detail15normal_iteratorINS9_10device_ptrIKsEEEESF_NS9_16discard_iteratorINS9_11use_defaultEEEPS5_SJ_SJ_NS9_4lessIsEEEE10hipError_tPvRmT0_T1_T2_T3_T4_T5_mmT6_P12ihipStream_tbEUlT_E0_NS1_11comp_targetILNS1_3genE9ELNS1_11target_archE1100ELNS1_3gpuE3ELNS1_3repE0EEENS1_30default_config_static_selectorELNS0_4arch9wavefront6targetE1EEEvSQ_,"axG",@progbits,_ZN7rocprim17ROCPRIM_400000_NS6detail17trampoline_kernelINS0_14default_configENS1_21merge_config_selectorIsNS0_10empty_typeEEEZNS1_10merge_implIS3_N6thrust23THRUST_200600_302600_NS6detail15normal_iteratorINS9_10device_ptrIKsEEEESF_NS9_16discard_iteratorINS9_11use_defaultEEEPS5_SJ_SJ_NS9_4lessIsEEEE10hipError_tPvRmT0_T1_T2_T3_T4_T5_mmT6_P12ihipStream_tbEUlT_E0_NS1_11comp_targetILNS1_3genE9ELNS1_11target_archE1100ELNS1_3gpuE3ELNS1_3repE0EEENS1_30default_config_static_selectorELNS0_4arch9wavefront6targetE1EEEvSQ_,comdat
	.protected	_ZN7rocprim17ROCPRIM_400000_NS6detail17trampoline_kernelINS0_14default_configENS1_21merge_config_selectorIsNS0_10empty_typeEEEZNS1_10merge_implIS3_N6thrust23THRUST_200600_302600_NS6detail15normal_iteratorINS9_10device_ptrIKsEEEESF_NS9_16discard_iteratorINS9_11use_defaultEEEPS5_SJ_SJ_NS9_4lessIsEEEE10hipError_tPvRmT0_T1_T2_T3_T4_T5_mmT6_P12ihipStream_tbEUlT_E0_NS1_11comp_targetILNS1_3genE9ELNS1_11target_archE1100ELNS1_3gpuE3ELNS1_3repE0EEENS1_30default_config_static_selectorELNS0_4arch9wavefront6targetE1EEEvSQ_ ; -- Begin function _ZN7rocprim17ROCPRIM_400000_NS6detail17trampoline_kernelINS0_14default_configENS1_21merge_config_selectorIsNS0_10empty_typeEEEZNS1_10merge_implIS3_N6thrust23THRUST_200600_302600_NS6detail15normal_iteratorINS9_10device_ptrIKsEEEESF_NS9_16discard_iteratorINS9_11use_defaultEEEPS5_SJ_SJ_NS9_4lessIsEEEE10hipError_tPvRmT0_T1_T2_T3_T4_T5_mmT6_P12ihipStream_tbEUlT_E0_NS1_11comp_targetILNS1_3genE9ELNS1_11target_archE1100ELNS1_3gpuE3ELNS1_3repE0EEENS1_30default_config_static_selectorELNS0_4arch9wavefront6targetE1EEEvSQ_
	.globl	_ZN7rocprim17ROCPRIM_400000_NS6detail17trampoline_kernelINS0_14default_configENS1_21merge_config_selectorIsNS0_10empty_typeEEEZNS1_10merge_implIS3_N6thrust23THRUST_200600_302600_NS6detail15normal_iteratorINS9_10device_ptrIKsEEEESF_NS9_16discard_iteratorINS9_11use_defaultEEEPS5_SJ_SJ_NS9_4lessIsEEEE10hipError_tPvRmT0_T1_T2_T3_T4_T5_mmT6_P12ihipStream_tbEUlT_E0_NS1_11comp_targetILNS1_3genE9ELNS1_11target_archE1100ELNS1_3gpuE3ELNS1_3repE0EEENS1_30default_config_static_selectorELNS0_4arch9wavefront6targetE1EEEvSQ_
	.p2align	8
	.type	_ZN7rocprim17ROCPRIM_400000_NS6detail17trampoline_kernelINS0_14default_configENS1_21merge_config_selectorIsNS0_10empty_typeEEEZNS1_10merge_implIS3_N6thrust23THRUST_200600_302600_NS6detail15normal_iteratorINS9_10device_ptrIKsEEEESF_NS9_16discard_iteratorINS9_11use_defaultEEEPS5_SJ_SJ_NS9_4lessIsEEEE10hipError_tPvRmT0_T1_T2_T3_T4_T5_mmT6_P12ihipStream_tbEUlT_E0_NS1_11comp_targetILNS1_3genE9ELNS1_11target_archE1100ELNS1_3gpuE3ELNS1_3repE0EEENS1_30default_config_static_selectorELNS0_4arch9wavefront6targetE1EEEvSQ_,@function
_ZN7rocprim17ROCPRIM_400000_NS6detail17trampoline_kernelINS0_14default_configENS1_21merge_config_selectorIsNS0_10empty_typeEEEZNS1_10merge_implIS3_N6thrust23THRUST_200600_302600_NS6detail15normal_iteratorINS9_10device_ptrIKsEEEESF_NS9_16discard_iteratorINS9_11use_defaultEEEPS5_SJ_SJ_NS9_4lessIsEEEE10hipError_tPvRmT0_T1_T2_T3_T4_T5_mmT6_P12ihipStream_tbEUlT_E0_NS1_11comp_targetILNS1_3genE9ELNS1_11target_archE1100ELNS1_3gpuE3ELNS1_3repE0EEENS1_30default_config_static_selectorELNS0_4arch9wavefront6targetE1EEEvSQ_: ; @_ZN7rocprim17ROCPRIM_400000_NS6detail17trampoline_kernelINS0_14default_configENS1_21merge_config_selectorIsNS0_10empty_typeEEEZNS1_10merge_implIS3_N6thrust23THRUST_200600_302600_NS6detail15normal_iteratorINS9_10device_ptrIKsEEEESF_NS9_16discard_iteratorINS9_11use_defaultEEEPS5_SJ_SJ_NS9_4lessIsEEEE10hipError_tPvRmT0_T1_T2_T3_T4_T5_mmT6_P12ihipStream_tbEUlT_E0_NS1_11comp_targetILNS1_3genE9ELNS1_11target_archE1100ELNS1_3gpuE3ELNS1_3repE0EEENS1_30default_config_static_selectorELNS0_4arch9wavefront6targetE1EEEvSQ_
; %bb.0:
	.section	.rodata,"a",@progbits
	.p2align	6, 0x0
	.amdhsa_kernel _ZN7rocprim17ROCPRIM_400000_NS6detail17trampoline_kernelINS0_14default_configENS1_21merge_config_selectorIsNS0_10empty_typeEEEZNS1_10merge_implIS3_N6thrust23THRUST_200600_302600_NS6detail15normal_iteratorINS9_10device_ptrIKsEEEESF_NS9_16discard_iteratorINS9_11use_defaultEEEPS5_SJ_SJ_NS9_4lessIsEEEE10hipError_tPvRmT0_T1_T2_T3_T4_T5_mmT6_P12ihipStream_tbEUlT_E0_NS1_11comp_targetILNS1_3genE9ELNS1_11target_archE1100ELNS1_3gpuE3ELNS1_3repE0EEENS1_30default_config_static_selectorELNS0_4arch9wavefront6targetE1EEEvSQ_
		.amdhsa_group_segment_fixed_size 0
		.amdhsa_private_segment_fixed_size 0
		.amdhsa_kernarg_size 96
		.amdhsa_user_sgpr_count 6
		.amdhsa_user_sgpr_private_segment_buffer 1
		.amdhsa_user_sgpr_dispatch_ptr 0
		.amdhsa_user_sgpr_queue_ptr 0
		.amdhsa_user_sgpr_kernarg_segment_ptr 1
		.amdhsa_user_sgpr_dispatch_id 0
		.amdhsa_user_sgpr_flat_scratch_init 0
		.amdhsa_user_sgpr_kernarg_preload_length 0
		.amdhsa_user_sgpr_kernarg_preload_offset 0
		.amdhsa_user_sgpr_private_segment_size 0
		.amdhsa_uses_dynamic_stack 0
		.amdhsa_system_sgpr_private_segment_wavefront_offset 0
		.amdhsa_system_sgpr_workgroup_id_x 1
		.amdhsa_system_sgpr_workgroup_id_y 0
		.amdhsa_system_sgpr_workgroup_id_z 0
		.amdhsa_system_sgpr_workgroup_info 0
		.amdhsa_system_vgpr_workitem_id 0
		.amdhsa_next_free_vgpr 1
		.amdhsa_next_free_sgpr 0
		.amdhsa_accum_offset 4
		.amdhsa_reserve_vcc 0
		.amdhsa_reserve_flat_scratch 0
		.amdhsa_float_round_mode_32 0
		.amdhsa_float_round_mode_16_64 0
		.amdhsa_float_denorm_mode_32 3
		.amdhsa_float_denorm_mode_16_64 3
		.amdhsa_dx10_clamp 1
		.amdhsa_ieee_mode 1
		.amdhsa_fp16_overflow 0
		.amdhsa_tg_split 0
		.amdhsa_exception_fp_ieee_invalid_op 0
		.amdhsa_exception_fp_denorm_src 0
		.amdhsa_exception_fp_ieee_div_zero 0
		.amdhsa_exception_fp_ieee_overflow 0
		.amdhsa_exception_fp_ieee_underflow 0
		.amdhsa_exception_fp_ieee_inexact 0
		.amdhsa_exception_int_div_zero 0
	.end_amdhsa_kernel
	.section	.text._ZN7rocprim17ROCPRIM_400000_NS6detail17trampoline_kernelINS0_14default_configENS1_21merge_config_selectorIsNS0_10empty_typeEEEZNS1_10merge_implIS3_N6thrust23THRUST_200600_302600_NS6detail15normal_iteratorINS9_10device_ptrIKsEEEESF_NS9_16discard_iteratorINS9_11use_defaultEEEPS5_SJ_SJ_NS9_4lessIsEEEE10hipError_tPvRmT0_T1_T2_T3_T4_T5_mmT6_P12ihipStream_tbEUlT_E0_NS1_11comp_targetILNS1_3genE9ELNS1_11target_archE1100ELNS1_3gpuE3ELNS1_3repE0EEENS1_30default_config_static_selectorELNS0_4arch9wavefront6targetE1EEEvSQ_,"axG",@progbits,_ZN7rocprim17ROCPRIM_400000_NS6detail17trampoline_kernelINS0_14default_configENS1_21merge_config_selectorIsNS0_10empty_typeEEEZNS1_10merge_implIS3_N6thrust23THRUST_200600_302600_NS6detail15normal_iteratorINS9_10device_ptrIKsEEEESF_NS9_16discard_iteratorINS9_11use_defaultEEEPS5_SJ_SJ_NS9_4lessIsEEEE10hipError_tPvRmT0_T1_T2_T3_T4_T5_mmT6_P12ihipStream_tbEUlT_E0_NS1_11comp_targetILNS1_3genE9ELNS1_11target_archE1100ELNS1_3gpuE3ELNS1_3repE0EEENS1_30default_config_static_selectorELNS0_4arch9wavefront6targetE1EEEvSQ_,comdat
.Lfunc_end459:
	.size	_ZN7rocprim17ROCPRIM_400000_NS6detail17trampoline_kernelINS0_14default_configENS1_21merge_config_selectorIsNS0_10empty_typeEEEZNS1_10merge_implIS3_N6thrust23THRUST_200600_302600_NS6detail15normal_iteratorINS9_10device_ptrIKsEEEESF_NS9_16discard_iteratorINS9_11use_defaultEEEPS5_SJ_SJ_NS9_4lessIsEEEE10hipError_tPvRmT0_T1_T2_T3_T4_T5_mmT6_P12ihipStream_tbEUlT_E0_NS1_11comp_targetILNS1_3genE9ELNS1_11target_archE1100ELNS1_3gpuE3ELNS1_3repE0EEENS1_30default_config_static_selectorELNS0_4arch9wavefront6targetE1EEEvSQ_, .Lfunc_end459-_ZN7rocprim17ROCPRIM_400000_NS6detail17trampoline_kernelINS0_14default_configENS1_21merge_config_selectorIsNS0_10empty_typeEEEZNS1_10merge_implIS3_N6thrust23THRUST_200600_302600_NS6detail15normal_iteratorINS9_10device_ptrIKsEEEESF_NS9_16discard_iteratorINS9_11use_defaultEEEPS5_SJ_SJ_NS9_4lessIsEEEE10hipError_tPvRmT0_T1_T2_T3_T4_T5_mmT6_P12ihipStream_tbEUlT_E0_NS1_11comp_targetILNS1_3genE9ELNS1_11target_archE1100ELNS1_3gpuE3ELNS1_3repE0EEENS1_30default_config_static_selectorELNS0_4arch9wavefront6targetE1EEEvSQ_
                                        ; -- End function
	.section	.AMDGPU.csdata,"",@progbits
; Kernel info:
; codeLenInByte = 0
; NumSgprs: 4
; NumVgprs: 0
; NumAgprs: 0
; TotalNumVgprs: 0
; ScratchSize: 0
; MemoryBound: 0
; FloatMode: 240
; IeeeMode: 1
; LDSByteSize: 0 bytes/workgroup (compile time only)
; SGPRBlocks: 0
; VGPRBlocks: 0
; NumSGPRsForWavesPerEU: 4
; NumVGPRsForWavesPerEU: 1
; AccumOffset: 4
; Occupancy: 8
; WaveLimiterHint : 0
; COMPUTE_PGM_RSRC2:SCRATCH_EN: 0
; COMPUTE_PGM_RSRC2:USER_SGPR: 6
; COMPUTE_PGM_RSRC2:TRAP_HANDLER: 0
; COMPUTE_PGM_RSRC2:TGID_X_EN: 1
; COMPUTE_PGM_RSRC2:TGID_Y_EN: 0
; COMPUTE_PGM_RSRC2:TGID_Z_EN: 0
; COMPUTE_PGM_RSRC2:TIDIG_COMP_CNT: 0
; COMPUTE_PGM_RSRC3_GFX90A:ACCUM_OFFSET: 0
; COMPUTE_PGM_RSRC3_GFX90A:TG_SPLIT: 0
	.section	.text._ZN7rocprim17ROCPRIM_400000_NS6detail17trampoline_kernelINS0_14default_configENS1_21merge_config_selectorIsNS0_10empty_typeEEEZNS1_10merge_implIS3_N6thrust23THRUST_200600_302600_NS6detail15normal_iteratorINS9_10device_ptrIKsEEEESF_NS9_16discard_iteratorINS9_11use_defaultEEEPS5_SJ_SJ_NS9_4lessIsEEEE10hipError_tPvRmT0_T1_T2_T3_T4_T5_mmT6_P12ihipStream_tbEUlT_E0_NS1_11comp_targetILNS1_3genE8ELNS1_11target_archE1030ELNS1_3gpuE2ELNS1_3repE0EEENS1_30default_config_static_selectorELNS0_4arch9wavefront6targetE1EEEvSQ_,"axG",@progbits,_ZN7rocprim17ROCPRIM_400000_NS6detail17trampoline_kernelINS0_14default_configENS1_21merge_config_selectorIsNS0_10empty_typeEEEZNS1_10merge_implIS3_N6thrust23THRUST_200600_302600_NS6detail15normal_iteratorINS9_10device_ptrIKsEEEESF_NS9_16discard_iteratorINS9_11use_defaultEEEPS5_SJ_SJ_NS9_4lessIsEEEE10hipError_tPvRmT0_T1_T2_T3_T4_T5_mmT6_P12ihipStream_tbEUlT_E0_NS1_11comp_targetILNS1_3genE8ELNS1_11target_archE1030ELNS1_3gpuE2ELNS1_3repE0EEENS1_30default_config_static_selectorELNS0_4arch9wavefront6targetE1EEEvSQ_,comdat
	.protected	_ZN7rocprim17ROCPRIM_400000_NS6detail17trampoline_kernelINS0_14default_configENS1_21merge_config_selectorIsNS0_10empty_typeEEEZNS1_10merge_implIS3_N6thrust23THRUST_200600_302600_NS6detail15normal_iteratorINS9_10device_ptrIKsEEEESF_NS9_16discard_iteratorINS9_11use_defaultEEEPS5_SJ_SJ_NS9_4lessIsEEEE10hipError_tPvRmT0_T1_T2_T3_T4_T5_mmT6_P12ihipStream_tbEUlT_E0_NS1_11comp_targetILNS1_3genE8ELNS1_11target_archE1030ELNS1_3gpuE2ELNS1_3repE0EEENS1_30default_config_static_selectorELNS0_4arch9wavefront6targetE1EEEvSQ_ ; -- Begin function _ZN7rocprim17ROCPRIM_400000_NS6detail17trampoline_kernelINS0_14default_configENS1_21merge_config_selectorIsNS0_10empty_typeEEEZNS1_10merge_implIS3_N6thrust23THRUST_200600_302600_NS6detail15normal_iteratorINS9_10device_ptrIKsEEEESF_NS9_16discard_iteratorINS9_11use_defaultEEEPS5_SJ_SJ_NS9_4lessIsEEEE10hipError_tPvRmT0_T1_T2_T3_T4_T5_mmT6_P12ihipStream_tbEUlT_E0_NS1_11comp_targetILNS1_3genE8ELNS1_11target_archE1030ELNS1_3gpuE2ELNS1_3repE0EEENS1_30default_config_static_selectorELNS0_4arch9wavefront6targetE1EEEvSQ_
	.globl	_ZN7rocprim17ROCPRIM_400000_NS6detail17trampoline_kernelINS0_14default_configENS1_21merge_config_selectorIsNS0_10empty_typeEEEZNS1_10merge_implIS3_N6thrust23THRUST_200600_302600_NS6detail15normal_iteratorINS9_10device_ptrIKsEEEESF_NS9_16discard_iteratorINS9_11use_defaultEEEPS5_SJ_SJ_NS9_4lessIsEEEE10hipError_tPvRmT0_T1_T2_T3_T4_T5_mmT6_P12ihipStream_tbEUlT_E0_NS1_11comp_targetILNS1_3genE8ELNS1_11target_archE1030ELNS1_3gpuE2ELNS1_3repE0EEENS1_30default_config_static_selectorELNS0_4arch9wavefront6targetE1EEEvSQ_
	.p2align	8
	.type	_ZN7rocprim17ROCPRIM_400000_NS6detail17trampoline_kernelINS0_14default_configENS1_21merge_config_selectorIsNS0_10empty_typeEEEZNS1_10merge_implIS3_N6thrust23THRUST_200600_302600_NS6detail15normal_iteratorINS9_10device_ptrIKsEEEESF_NS9_16discard_iteratorINS9_11use_defaultEEEPS5_SJ_SJ_NS9_4lessIsEEEE10hipError_tPvRmT0_T1_T2_T3_T4_T5_mmT6_P12ihipStream_tbEUlT_E0_NS1_11comp_targetILNS1_3genE8ELNS1_11target_archE1030ELNS1_3gpuE2ELNS1_3repE0EEENS1_30default_config_static_selectorELNS0_4arch9wavefront6targetE1EEEvSQ_,@function
_ZN7rocprim17ROCPRIM_400000_NS6detail17trampoline_kernelINS0_14default_configENS1_21merge_config_selectorIsNS0_10empty_typeEEEZNS1_10merge_implIS3_N6thrust23THRUST_200600_302600_NS6detail15normal_iteratorINS9_10device_ptrIKsEEEESF_NS9_16discard_iteratorINS9_11use_defaultEEEPS5_SJ_SJ_NS9_4lessIsEEEE10hipError_tPvRmT0_T1_T2_T3_T4_T5_mmT6_P12ihipStream_tbEUlT_E0_NS1_11comp_targetILNS1_3genE8ELNS1_11target_archE1030ELNS1_3gpuE2ELNS1_3repE0EEENS1_30default_config_static_selectorELNS0_4arch9wavefront6targetE1EEEvSQ_: ; @_ZN7rocprim17ROCPRIM_400000_NS6detail17trampoline_kernelINS0_14default_configENS1_21merge_config_selectorIsNS0_10empty_typeEEEZNS1_10merge_implIS3_N6thrust23THRUST_200600_302600_NS6detail15normal_iteratorINS9_10device_ptrIKsEEEESF_NS9_16discard_iteratorINS9_11use_defaultEEEPS5_SJ_SJ_NS9_4lessIsEEEE10hipError_tPvRmT0_T1_T2_T3_T4_T5_mmT6_P12ihipStream_tbEUlT_E0_NS1_11comp_targetILNS1_3genE8ELNS1_11target_archE1030ELNS1_3gpuE2ELNS1_3repE0EEENS1_30default_config_static_selectorELNS0_4arch9wavefront6targetE1EEEvSQ_
; %bb.0:
	.section	.rodata,"a",@progbits
	.p2align	6, 0x0
	.amdhsa_kernel _ZN7rocprim17ROCPRIM_400000_NS6detail17trampoline_kernelINS0_14default_configENS1_21merge_config_selectorIsNS0_10empty_typeEEEZNS1_10merge_implIS3_N6thrust23THRUST_200600_302600_NS6detail15normal_iteratorINS9_10device_ptrIKsEEEESF_NS9_16discard_iteratorINS9_11use_defaultEEEPS5_SJ_SJ_NS9_4lessIsEEEE10hipError_tPvRmT0_T1_T2_T3_T4_T5_mmT6_P12ihipStream_tbEUlT_E0_NS1_11comp_targetILNS1_3genE8ELNS1_11target_archE1030ELNS1_3gpuE2ELNS1_3repE0EEENS1_30default_config_static_selectorELNS0_4arch9wavefront6targetE1EEEvSQ_
		.amdhsa_group_segment_fixed_size 0
		.amdhsa_private_segment_fixed_size 0
		.amdhsa_kernarg_size 96
		.amdhsa_user_sgpr_count 6
		.amdhsa_user_sgpr_private_segment_buffer 1
		.amdhsa_user_sgpr_dispatch_ptr 0
		.amdhsa_user_sgpr_queue_ptr 0
		.amdhsa_user_sgpr_kernarg_segment_ptr 1
		.amdhsa_user_sgpr_dispatch_id 0
		.amdhsa_user_sgpr_flat_scratch_init 0
		.amdhsa_user_sgpr_kernarg_preload_length 0
		.amdhsa_user_sgpr_kernarg_preload_offset 0
		.amdhsa_user_sgpr_private_segment_size 0
		.amdhsa_uses_dynamic_stack 0
		.amdhsa_system_sgpr_private_segment_wavefront_offset 0
		.amdhsa_system_sgpr_workgroup_id_x 1
		.amdhsa_system_sgpr_workgroup_id_y 0
		.amdhsa_system_sgpr_workgroup_id_z 0
		.amdhsa_system_sgpr_workgroup_info 0
		.amdhsa_system_vgpr_workitem_id 0
		.amdhsa_next_free_vgpr 1
		.amdhsa_next_free_sgpr 0
		.amdhsa_accum_offset 4
		.amdhsa_reserve_vcc 0
		.amdhsa_reserve_flat_scratch 0
		.amdhsa_float_round_mode_32 0
		.amdhsa_float_round_mode_16_64 0
		.amdhsa_float_denorm_mode_32 3
		.amdhsa_float_denorm_mode_16_64 3
		.amdhsa_dx10_clamp 1
		.amdhsa_ieee_mode 1
		.amdhsa_fp16_overflow 0
		.amdhsa_tg_split 0
		.amdhsa_exception_fp_ieee_invalid_op 0
		.amdhsa_exception_fp_denorm_src 0
		.amdhsa_exception_fp_ieee_div_zero 0
		.amdhsa_exception_fp_ieee_overflow 0
		.amdhsa_exception_fp_ieee_underflow 0
		.amdhsa_exception_fp_ieee_inexact 0
		.amdhsa_exception_int_div_zero 0
	.end_amdhsa_kernel
	.section	.text._ZN7rocprim17ROCPRIM_400000_NS6detail17trampoline_kernelINS0_14default_configENS1_21merge_config_selectorIsNS0_10empty_typeEEEZNS1_10merge_implIS3_N6thrust23THRUST_200600_302600_NS6detail15normal_iteratorINS9_10device_ptrIKsEEEESF_NS9_16discard_iteratorINS9_11use_defaultEEEPS5_SJ_SJ_NS9_4lessIsEEEE10hipError_tPvRmT0_T1_T2_T3_T4_T5_mmT6_P12ihipStream_tbEUlT_E0_NS1_11comp_targetILNS1_3genE8ELNS1_11target_archE1030ELNS1_3gpuE2ELNS1_3repE0EEENS1_30default_config_static_selectorELNS0_4arch9wavefront6targetE1EEEvSQ_,"axG",@progbits,_ZN7rocprim17ROCPRIM_400000_NS6detail17trampoline_kernelINS0_14default_configENS1_21merge_config_selectorIsNS0_10empty_typeEEEZNS1_10merge_implIS3_N6thrust23THRUST_200600_302600_NS6detail15normal_iteratorINS9_10device_ptrIKsEEEESF_NS9_16discard_iteratorINS9_11use_defaultEEEPS5_SJ_SJ_NS9_4lessIsEEEE10hipError_tPvRmT0_T1_T2_T3_T4_T5_mmT6_P12ihipStream_tbEUlT_E0_NS1_11comp_targetILNS1_3genE8ELNS1_11target_archE1030ELNS1_3gpuE2ELNS1_3repE0EEENS1_30default_config_static_selectorELNS0_4arch9wavefront6targetE1EEEvSQ_,comdat
.Lfunc_end460:
	.size	_ZN7rocprim17ROCPRIM_400000_NS6detail17trampoline_kernelINS0_14default_configENS1_21merge_config_selectorIsNS0_10empty_typeEEEZNS1_10merge_implIS3_N6thrust23THRUST_200600_302600_NS6detail15normal_iteratorINS9_10device_ptrIKsEEEESF_NS9_16discard_iteratorINS9_11use_defaultEEEPS5_SJ_SJ_NS9_4lessIsEEEE10hipError_tPvRmT0_T1_T2_T3_T4_T5_mmT6_P12ihipStream_tbEUlT_E0_NS1_11comp_targetILNS1_3genE8ELNS1_11target_archE1030ELNS1_3gpuE2ELNS1_3repE0EEENS1_30default_config_static_selectorELNS0_4arch9wavefront6targetE1EEEvSQ_, .Lfunc_end460-_ZN7rocprim17ROCPRIM_400000_NS6detail17trampoline_kernelINS0_14default_configENS1_21merge_config_selectorIsNS0_10empty_typeEEEZNS1_10merge_implIS3_N6thrust23THRUST_200600_302600_NS6detail15normal_iteratorINS9_10device_ptrIKsEEEESF_NS9_16discard_iteratorINS9_11use_defaultEEEPS5_SJ_SJ_NS9_4lessIsEEEE10hipError_tPvRmT0_T1_T2_T3_T4_T5_mmT6_P12ihipStream_tbEUlT_E0_NS1_11comp_targetILNS1_3genE8ELNS1_11target_archE1030ELNS1_3gpuE2ELNS1_3repE0EEENS1_30default_config_static_selectorELNS0_4arch9wavefront6targetE1EEEvSQ_
                                        ; -- End function
	.section	.AMDGPU.csdata,"",@progbits
; Kernel info:
; codeLenInByte = 0
; NumSgprs: 4
; NumVgprs: 0
; NumAgprs: 0
; TotalNumVgprs: 0
; ScratchSize: 0
; MemoryBound: 0
; FloatMode: 240
; IeeeMode: 1
; LDSByteSize: 0 bytes/workgroup (compile time only)
; SGPRBlocks: 0
; VGPRBlocks: 0
; NumSGPRsForWavesPerEU: 4
; NumVGPRsForWavesPerEU: 1
; AccumOffset: 4
; Occupancy: 8
; WaveLimiterHint : 0
; COMPUTE_PGM_RSRC2:SCRATCH_EN: 0
; COMPUTE_PGM_RSRC2:USER_SGPR: 6
; COMPUTE_PGM_RSRC2:TRAP_HANDLER: 0
; COMPUTE_PGM_RSRC2:TGID_X_EN: 1
; COMPUTE_PGM_RSRC2:TGID_Y_EN: 0
; COMPUTE_PGM_RSRC2:TGID_Z_EN: 0
; COMPUTE_PGM_RSRC2:TIDIG_COMP_CNT: 0
; COMPUTE_PGM_RSRC3_GFX90A:ACCUM_OFFSET: 0
; COMPUTE_PGM_RSRC3_GFX90A:TG_SPLIT: 0
	.section	.text._ZN7rocprim17ROCPRIM_400000_NS6detail17trampoline_kernelINS0_14default_configENS1_21merge_config_selectorIdNS0_10empty_typeEEEZNS1_10merge_implIS3_N6thrust23THRUST_200600_302600_NS6detail15normal_iteratorINS9_10device_ptrIKdEEEESF_NSB_INSC_IdEEEEPS5_SI_SI_NS9_7greaterIdEEEE10hipError_tPvRmT0_T1_T2_T3_T4_T5_mmT6_P12ihipStream_tbEUlT_E_NS1_11comp_targetILNS1_3genE0ELNS1_11target_archE4294967295ELNS1_3gpuE0ELNS1_3repE0EEENS1_30default_config_static_selectorELNS0_4arch9wavefront6targetE1EEEvSP_,"axG",@progbits,_ZN7rocprim17ROCPRIM_400000_NS6detail17trampoline_kernelINS0_14default_configENS1_21merge_config_selectorIdNS0_10empty_typeEEEZNS1_10merge_implIS3_N6thrust23THRUST_200600_302600_NS6detail15normal_iteratorINS9_10device_ptrIKdEEEESF_NSB_INSC_IdEEEEPS5_SI_SI_NS9_7greaterIdEEEE10hipError_tPvRmT0_T1_T2_T3_T4_T5_mmT6_P12ihipStream_tbEUlT_E_NS1_11comp_targetILNS1_3genE0ELNS1_11target_archE4294967295ELNS1_3gpuE0ELNS1_3repE0EEENS1_30default_config_static_selectorELNS0_4arch9wavefront6targetE1EEEvSP_,comdat
	.protected	_ZN7rocprim17ROCPRIM_400000_NS6detail17trampoline_kernelINS0_14default_configENS1_21merge_config_selectorIdNS0_10empty_typeEEEZNS1_10merge_implIS3_N6thrust23THRUST_200600_302600_NS6detail15normal_iteratorINS9_10device_ptrIKdEEEESF_NSB_INSC_IdEEEEPS5_SI_SI_NS9_7greaterIdEEEE10hipError_tPvRmT0_T1_T2_T3_T4_T5_mmT6_P12ihipStream_tbEUlT_E_NS1_11comp_targetILNS1_3genE0ELNS1_11target_archE4294967295ELNS1_3gpuE0ELNS1_3repE0EEENS1_30default_config_static_selectorELNS0_4arch9wavefront6targetE1EEEvSP_ ; -- Begin function _ZN7rocprim17ROCPRIM_400000_NS6detail17trampoline_kernelINS0_14default_configENS1_21merge_config_selectorIdNS0_10empty_typeEEEZNS1_10merge_implIS3_N6thrust23THRUST_200600_302600_NS6detail15normal_iteratorINS9_10device_ptrIKdEEEESF_NSB_INSC_IdEEEEPS5_SI_SI_NS9_7greaterIdEEEE10hipError_tPvRmT0_T1_T2_T3_T4_T5_mmT6_P12ihipStream_tbEUlT_E_NS1_11comp_targetILNS1_3genE0ELNS1_11target_archE4294967295ELNS1_3gpuE0ELNS1_3repE0EEENS1_30default_config_static_selectorELNS0_4arch9wavefront6targetE1EEEvSP_
	.globl	_ZN7rocprim17ROCPRIM_400000_NS6detail17trampoline_kernelINS0_14default_configENS1_21merge_config_selectorIdNS0_10empty_typeEEEZNS1_10merge_implIS3_N6thrust23THRUST_200600_302600_NS6detail15normal_iteratorINS9_10device_ptrIKdEEEESF_NSB_INSC_IdEEEEPS5_SI_SI_NS9_7greaterIdEEEE10hipError_tPvRmT0_T1_T2_T3_T4_T5_mmT6_P12ihipStream_tbEUlT_E_NS1_11comp_targetILNS1_3genE0ELNS1_11target_archE4294967295ELNS1_3gpuE0ELNS1_3repE0EEENS1_30default_config_static_selectorELNS0_4arch9wavefront6targetE1EEEvSP_
	.p2align	8
	.type	_ZN7rocprim17ROCPRIM_400000_NS6detail17trampoline_kernelINS0_14default_configENS1_21merge_config_selectorIdNS0_10empty_typeEEEZNS1_10merge_implIS3_N6thrust23THRUST_200600_302600_NS6detail15normal_iteratorINS9_10device_ptrIKdEEEESF_NSB_INSC_IdEEEEPS5_SI_SI_NS9_7greaterIdEEEE10hipError_tPvRmT0_T1_T2_T3_T4_T5_mmT6_P12ihipStream_tbEUlT_E_NS1_11comp_targetILNS1_3genE0ELNS1_11target_archE4294967295ELNS1_3gpuE0ELNS1_3repE0EEENS1_30default_config_static_selectorELNS0_4arch9wavefront6targetE1EEEvSP_,@function
_ZN7rocprim17ROCPRIM_400000_NS6detail17trampoline_kernelINS0_14default_configENS1_21merge_config_selectorIdNS0_10empty_typeEEEZNS1_10merge_implIS3_N6thrust23THRUST_200600_302600_NS6detail15normal_iteratorINS9_10device_ptrIKdEEEESF_NSB_INSC_IdEEEEPS5_SI_SI_NS9_7greaterIdEEEE10hipError_tPvRmT0_T1_T2_T3_T4_T5_mmT6_P12ihipStream_tbEUlT_E_NS1_11comp_targetILNS1_3genE0ELNS1_11target_archE4294967295ELNS1_3gpuE0ELNS1_3repE0EEENS1_30default_config_static_selectorELNS0_4arch9wavefront6targetE1EEEvSP_: ; @_ZN7rocprim17ROCPRIM_400000_NS6detail17trampoline_kernelINS0_14default_configENS1_21merge_config_selectorIdNS0_10empty_typeEEEZNS1_10merge_implIS3_N6thrust23THRUST_200600_302600_NS6detail15normal_iteratorINS9_10device_ptrIKdEEEESF_NSB_INSC_IdEEEEPS5_SI_SI_NS9_7greaterIdEEEE10hipError_tPvRmT0_T1_T2_T3_T4_T5_mmT6_P12ihipStream_tbEUlT_E_NS1_11comp_targetILNS1_3genE0ELNS1_11target_archE4294967295ELNS1_3gpuE0ELNS1_3repE0EEENS1_30default_config_static_selectorELNS0_4arch9wavefront6targetE1EEEvSP_
; %bb.0:
	.section	.rodata,"a",@progbits
	.p2align	6, 0x0
	.amdhsa_kernel _ZN7rocprim17ROCPRIM_400000_NS6detail17trampoline_kernelINS0_14default_configENS1_21merge_config_selectorIdNS0_10empty_typeEEEZNS1_10merge_implIS3_N6thrust23THRUST_200600_302600_NS6detail15normal_iteratorINS9_10device_ptrIKdEEEESF_NSB_INSC_IdEEEEPS5_SI_SI_NS9_7greaterIdEEEE10hipError_tPvRmT0_T1_T2_T3_T4_T5_mmT6_P12ihipStream_tbEUlT_E_NS1_11comp_targetILNS1_3genE0ELNS1_11target_archE4294967295ELNS1_3gpuE0ELNS1_3repE0EEENS1_30default_config_static_selectorELNS0_4arch9wavefront6targetE1EEEvSP_
		.amdhsa_group_segment_fixed_size 0
		.amdhsa_private_segment_fixed_size 0
		.amdhsa_kernarg_size 48
		.amdhsa_user_sgpr_count 6
		.amdhsa_user_sgpr_private_segment_buffer 1
		.amdhsa_user_sgpr_dispatch_ptr 0
		.amdhsa_user_sgpr_queue_ptr 0
		.amdhsa_user_sgpr_kernarg_segment_ptr 1
		.amdhsa_user_sgpr_dispatch_id 0
		.amdhsa_user_sgpr_flat_scratch_init 0
		.amdhsa_user_sgpr_kernarg_preload_length 0
		.amdhsa_user_sgpr_kernarg_preload_offset 0
		.amdhsa_user_sgpr_private_segment_size 0
		.amdhsa_uses_dynamic_stack 0
		.amdhsa_system_sgpr_private_segment_wavefront_offset 0
		.amdhsa_system_sgpr_workgroup_id_x 1
		.amdhsa_system_sgpr_workgroup_id_y 0
		.amdhsa_system_sgpr_workgroup_id_z 0
		.amdhsa_system_sgpr_workgroup_info 0
		.amdhsa_system_vgpr_workitem_id 0
		.amdhsa_next_free_vgpr 1
		.amdhsa_next_free_sgpr 0
		.amdhsa_accum_offset 4
		.amdhsa_reserve_vcc 0
		.amdhsa_reserve_flat_scratch 0
		.amdhsa_float_round_mode_32 0
		.amdhsa_float_round_mode_16_64 0
		.amdhsa_float_denorm_mode_32 3
		.amdhsa_float_denorm_mode_16_64 3
		.amdhsa_dx10_clamp 1
		.amdhsa_ieee_mode 1
		.amdhsa_fp16_overflow 0
		.amdhsa_tg_split 0
		.amdhsa_exception_fp_ieee_invalid_op 0
		.amdhsa_exception_fp_denorm_src 0
		.amdhsa_exception_fp_ieee_div_zero 0
		.amdhsa_exception_fp_ieee_overflow 0
		.amdhsa_exception_fp_ieee_underflow 0
		.amdhsa_exception_fp_ieee_inexact 0
		.amdhsa_exception_int_div_zero 0
	.end_amdhsa_kernel
	.section	.text._ZN7rocprim17ROCPRIM_400000_NS6detail17trampoline_kernelINS0_14default_configENS1_21merge_config_selectorIdNS0_10empty_typeEEEZNS1_10merge_implIS3_N6thrust23THRUST_200600_302600_NS6detail15normal_iteratorINS9_10device_ptrIKdEEEESF_NSB_INSC_IdEEEEPS5_SI_SI_NS9_7greaterIdEEEE10hipError_tPvRmT0_T1_T2_T3_T4_T5_mmT6_P12ihipStream_tbEUlT_E_NS1_11comp_targetILNS1_3genE0ELNS1_11target_archE4294967295ELNS1_3gpuE0ELNS1_3repE0EEENS1_30default_config_static_selectorELNS0_4arch9wavefront6targetE1EEEvSP_,"axG",@progbits,_ZN7rocprim17ROCPRIM_400000_NS6detail17trampoline_kernelINS0_14default_configENS1_21merge_config_selectorIdNS0_10empty_typeEEEZNS1_10merge_implIS3_N6thrust23THRUST_200600_302600_NS6detail15normal_iteratorINS9_10device_ptrIKdEEEESF_NSB_INSC_IdEEEEPS5_SI_SI_NS9_7greaterIdEEEE10hipError_tPvRmT0_T1_T2_T3_T4_T5_mmT6_P12ihipStream_tbEUlT_E_NS1_11comp_targetILNS1_3genE0ELNS1_11target_archE4294967295ELNS1_3gpuE0ELNS1_3repE0EEENS1_30default_config_static_selectorELNS0_4arch9wavefront6targetE1EEEvSP_,comdat
.Lfunc_end461:
	.size	_ZN7rocprim17ROCPRIM_400000_NS6detail17trampoline_kernelINS0_14default_configENS1_21merge_config_selectorIdNS0_10empty_typeEEEZNS1_10merge_implIS3_N6thrust23THRUST_200600_302600_NS6detail15normal_iteratorINS9_10device_ptrIKdEEEESF_NSB_INSC_IdEEEEPS5_SI_SI_NS9_7greaterIdEEEE10hipError_tPvRmT0_T1_T2_T3_T4_T5_mmT6_P12ihipStream_tbEUlT_E_NS1_11comp_targetILNS1_3genE0ELNS1_11target_archE4294967295ELNS1_3gpuE0ELNS1_3repE0EEENS1_30default_config_static_selectorELNS0_4arch9wavefront6targetE1EEEvSP_, .Lfunc_end461-_ZN7rocprim17ROCPRIM_400000_NS6detail17trampoline_kernelINS0_14default_configENS1_21merge_config_selectorIdNS0_10empty_typeEEEZNS1_10merge_implIS3_N6thrust23THRUST_200600_302600_NS6detail15normal_iteratorINS9_10device_ptrIKdEEEESF_NSB_INSC_IdEEEEPS5_SI_SI_NS9_7greaterIdEEEE10hipError_tPvRmT0_T1_T2_T3_T4_T5_mmT6_P12ihipStream_tbEUlT_E_NS1_11comp_targetILNS1_3genE0ELNS1_11target_archE4294967295ELNS1_3gpuE0ELNS1_3repE0EEENS1_30default_config_static_selectorELNS0_4arch9wavefront6targetE1EEEvSP_
                                        ; -- End function
	.section	.AMDGPU.csdata,"",@progbits
; Kernel info:
; codeLenInByte = 0
; NumSgprs: 4
; NumVgprs: 0
; NumAgprs: 0
; TotalNumVgprs: 0
; ScratchSize: 0
; MemoryBound: 0
; FloatMode: 240
; IeeeMode: 1
; LDSByteSize: 0 bytes/workgroup (compile time only)
; SGPRBlocks: 0
; VGPRBlocks: 0
; NumSGPRsForWavesPerEU: 4
; NumVGPRsForWavesPerEU: 1
; AccumOffset: 4
; Occupancy: 8
; WaveLimiterHint : 0
; COMPUTE_PGM_RSRC2:SCRATCH_EN: 0
; COMPUTE_PGM_RSRC2:USER_SGPR: 6
; COMPUTE_PGM_RSRC2:TRAP_HANDLER: 0
; COMPUTE_PGM_RSRC2:TGID_X_EN: 1
; COMPUTE_PGM_RSRC2:TGID_Y_EN: 0
; COMPUTE_PGM_RSRC2:TGID_Z_EN: 0
; COMPUTE_PGM_RSRC2:TIDIG_COMP_CNT: 0
; COMPUTE_PGM_RSRC3_GFX90A:ACCUM_OFFSET: 0
; COMPUTE_PGM_RSRC3_GFX90A:TG_SPLIT: 0
	.section	.text._ZN7rocprim17ROCPRIM_400000_NS6detail17trampoline_kernelINS0_14default_configENS1_21merge_config_selectorIdNS0_10empty_typeEEEZNS1_10merge_implIS3_N6thrust23THRUST_200600_302600_NS6detail15normal_iteratorINS9_10device_ptrIKdEEEESF_NSB_INSC_IdEEEEPS5_SI_SI_NS9_7greaterIdEEEE10hipError_tPvRmT0_T1_T2_T3_T4_T5_mmT6_P12ihipStream_tbEUlT_E_NS1_11comp_targetILNS1_3genE5ELNS1_11target_archE942ELNS1_3gpuE9ELNS1_3repE0EEENS1_30default_config_static_selectorELNS0_4arch9wavefront6targetE1EEEvSP_,"axG",@progbits,_ZN7rocprim17ROCPRIM_400000_NS6detail17trampoline_kernelINS0_14default_configENS1_21merge_config_selectorIdNS0_10empty_typeEEEZNS1_10merge_implIS3_N6thrust23THRUST_200600_302600_NS6detail15normal_iteratorINS9_10device_ptrIKdEEEESF_NSB_INSC_IdEEEEPS5_SI_SI_NS9_7greaterIdEEEE10hipError_tPvRmT0_T1_T2_T3_T4_T5_mmT6_P12ihipStream_tbEUlT_E_NS1_11comp_targetILNS1_3genE5ELNS1_11target_archE942ELNS1_3gpuE9ELNS1_3repE0EEENS1_30default_config_static_selectorELNS0_4arch9wavefront6targetE1EEEvSP_,comdat
	.protected	_ZN7rocprim17ROCPRIM_400000_NS6detail17trampoline_kernelINS0_14default_configENS1_21merge_config_selectorIdNS0_10empty_typeEEEZNS1_10merge_implIS3_N6thrust23THRUST_200600_302600_NS6detail15normal_iteratorINS9_10device_ptrIKdEEEESF_NSB_INSC_IdEEEEPS5_SI_SI_NS9_7greaterIdEEEE10hipError_tPvRmT0_T1_T2_T3_T4_T5_mmT6_P12ihipStream_tbEUlT_E_NS1_11comp_targetILNS1_3genE5ELNS1_11target_archE942ELNS1_3gpuE9ELNS1_3repE0EEENS1_30default_config_static_selectorELNS0_4arch9wavefront6targetE1EEEvSP_ ; -- Begin function _ZN7rocprim17ROCPRIM_400000_NS6detail17trampoline_kernelINS0_14default_configENS1_21merge_config_selectorIdNS0_10empty_typeEEEZNS1_10merge_implIS3_N6thrust23THRUST_200600_302600_NS6detail15normal_iteratorINS9_10device_ptrIKdEEEESF_NSB_INSC_IdEEEEPS5_SI_SI_NS9_7greaterIdEEEE10hipError_tPvRmT0_T1_T2_T3_T4_T5_mmT6_P12ihipStream_tbEUlT_E_NS1_11comp_targetILNS1_3genE5ELNS1_11target_archE942ELNS1_3gpuE9ELNS1_3repE0EEENS1_30default_config_static_selectorELNS0_4arch9wavefront6targetE1EEEvSP_
	.globl	_ZN7rocprim17ROCPRIM_400000_NS6detail17trampoline_kernelINS0_14default_configENS1_21merge_config_selectorIdNS0_10empty_typeEEEZNS1_10merge_implIS3_N6thrust23THRUST_200600_302600_NS6detail15normal_iteratorINS9_10device_ptrIKdEEEESF_NSB_INSC_IdEEEEPS5_SI_SI_NS9_7greaterIdEEEE10hipError_tPvRmT0_T1_T2_T3_T4_T5_mmT6_P12ihipStream_tbEUlT_E_NS1_11comp_targetILNS1_3genE5ELNS1_11target_archE942ELNS1_3gpuE9ELNS1_3repE0EEENS1_30default_config_static_selectorELNS0_4arch9wavefront6targetE1EEEvSP_
	.p2align	8
	.type	_ZN7rocprim17ROCPRIM_400000_NS6detail17trampoline_kernelINS0_14default_configENS1_21merge_config_selectorIdNS0_10empty_typeEEEZNS1_10merge_implIS3_N6thrust23THRUST_200600_302600_NS6detail15normal_iteratorINS9_10device_ptrIKdEEEESF_NSB_INSC_IdEEEEPS5_SI_SI_NS9_7greaterIdEEEE10hipError_tPvRmT0_T1_T2_T3_T4_T5_mmT6_P12ihipStream_tbEUlT_E_NS1_11comp_targetILNS1_3genE5ELNS1_11target_archE942ELNS1_3gpuE9ELNS1_3repE0EEENS1_30default_config_static_selectorELNS0_4arch9wavefront6targetE1EEEvSP_,@function
_ZN7rocprim17ROCPRIM_400000_NS6detail17trampoline_kernelINS0_14default_configENS1_21merge_config_selectorIdNS0_10empty_typeEEEZNS1_10merge_implIS3_N6thrust23THRUST_200600_302600_NS6detail15normal_iteratorINS9_10device_ptrIKdEEEESF_NSB_INSC_IdEEEEPS5_SI_SI_NS9_7greaterIdEEEE10hipError_tPvRmT0_T1_T2_T3_T4_T5_mmT6_P12ihipStream_tbEUlT_E_NS1_11comp_targetILNS1_3genE5ELNS1_11target_archE942ELNS1_3gpuE9ELNS1_3repE0EEENS1_30default_config_static_selectorELNS0_4arch9wavefront6targetE1EEEvSP_: ; @_ZN7rocprim17ROCPRIM_400000_NS6detail17trampoline_kernelINS0_14default_configENS1_21merge_config_selectorIdNS0_10empty_typeEEEZNS1_10merge_implIS3_N6thrust23THRUST_200600_302600_NS6detail15normal_iteratorINS9_10device_ptrIKdEEEESF_NSB_INSC_IdEEEEPS5_SI_SI_NS9_7greaterIdEEEE10hipError_tPvRmT0_T1_T2_T3_T4_T5_mmT6_P12ihipStream_tbEUlT_E_NS1_11comp_targetILNS1_3genE5ELNS1_11target_archE942ELNS1_3gpuE9ELNS1_3repE0EEENS1_30default_config_static_selectorELNS0_4arch9wavefront6targetE1EEEvSP_
; %bb.0:
	.section	.rodata,"a",@progbits
	.p2align	6, 0x0
	.amdhsa_kernel _ZN7rocprim17ROCPRIM_400000_NS6detail17trampoline_kernelINS0_14default_configENS1_21merge_config_selectorIdNS0_10empty_typeEEEZNS1_10merge_implIS3_N6thrust23THRUST_200600_302600_NS6detail15normal_iteratorINS9_10device_ptrIKdEEEESF_NSB_INSC_IdEEEEPS5_SI_SI_NS9_7greaterIdEEEE10hipError_tPvRmT0_T1_T2_T3_T4_T5_mmT6_P12ihipStream_tbEUlT_E_NS1_11comp_targetILNS1_3genE5ELNS1_11target_archE942ELNS1_3gpuE9ELNS1_3repE0EEENS1_30default_config_static_selectorELNS0_4arch9wavefront6targetE1EEEvSP_
		.amdhsa_group_segment_fixed_size 0
		.amdhsa_private_segment_fixed_size 0
		.amdhsa_kernarg_size 48
		.amdhsa_user_sgpr_count 6
		.amdhsa_user_sgpr_private_segment_buffer 1
		.amdhsa_user_sgpr_dispatch_ptr 0
		.amdhsa_user_sgpr_queue_ptr 0
		.amdhsa_user_sgpr_kernarg_segment_ptr 1
		.amdhsa_user_sgpr_dispatch_id 0
		.amdhsa_user_sgpr_flat_scratch_init 0
		.amdhsa_user_sgpr_kernarg_preload_length 0
		.amdhsa_user_sgpr_kernarg_preload_offset 0
		.amdhsa_user_sgpr_private_segment_size 0
		.amdhsa_uses_dynamic_stack 0
		.amdhsa_system_sgpr_private_segment_wavefront_offset 0
		.amdhsa_system_sgpr_workgroup_id_x 1
		.amdhsa_system_sgpr_workgroup_id_y 0
		.amdhsa_system_sgpr_workgroup_id_z 0
		.amdhsa_system_sgpr_workgroup_info 0
		.amdhsa_system_vgpr_workitem_id 0
		.amdhsa_next_free_vgpr 1
		.amdhsa_next_free_sgpr 0
		.amdhsa_accum_offset 4
		.amdhsa_reserve_vcc 0
		.amdhsa_reserve_flat_scratch 0
		.amdhsa_float_round_mode_32 0
		.amdhsa_float_round_mode_16_64 0
		.amdhsa_float_denorm_mode_32 3
		.amdhsa_float_denorm_mode_16_64 3
		.amdhsa_dx10_clamp 1
		.amdhsa_ieee_mode 1
		.amdhsa_fp16_overflow 0
		.amdhsa_tg_split 0
		.amdhsa_exception_fp_ieee_invalid_op 0
		.amdhsa_exception_fp_denorm_src 0
		.amdhsa_exception_fp_ieee_div_zero 0
		.amdhsa_exception_fp_ieee_overflow 0
		.amdhsa_exception_fp_ieee_underflow 0
		.amdhsa_exception_fp_ieee_inexact 0
		.amdhsa_exception_int_div_zero 0
	.end_amdhsa_kernel
	.section	.text._ZN7rocprim17ROCPRIM_400000_NS6detail17trampoline_kernelINS0_14default_configENS1_21merge_config_selectorIdNS0_10empty_typeEEEZNS1_10merge_implIS3_N6thrust23THRUST_200600_302600_NS6detail15normal_iteratorINS9_10device_ptrIKdEEEESF_NSB_INSC_IdEEEEPS5_SI_SI_NS9_7greaterIdEEEE10hipError_tPvRmT0_T1_T2_T3_T4_T5_mmT6_P12ihipStream_tbEUlT_E_NS1_11comp_targetILNS1_3genE5ELNS1_11target_archE942ELNS1_3gpuE9ELNS1_3repE0EEENS1_30default_config_static_selectorELNS0_4arch9wavefront6targetE1EEEvSP_,"axG",@progbits,_ZN7rocprim17ROCPRIM_400000_NS6detail17trampoline_kernelINS0_14default_configENS1_21merge_config_selectorIdNS0_10empty_typeEEEZNS1_10merge_implIS3_N6thrust23THRUST_200600_302600_NS6detail15normal_iteratorINS9_10device_ptrIKdEEEESF_NSB_INSC_IdEEEEPS5_SI_SI_NS9_7greaterIdEEEE10hipError_tPvRmT0_T1_T2_T3_T4_T5_mmT6_P12ihipStream_tbEUlT_E_NS1_11comp_targetILNS1_3genE5ELNS1_11target_archE942ELNS1_3gpuE9ELNS1_3repE0EEENS1_30default_config_static_selectorELNS0_4arch9wavefront6targetE1EEEvSP_,comdat
.Lfunc_end462:
	.size	_ZN7rocprim17ROCPRIM_400000_NS6detail17trampoline_kernelINS0_14default_configENS1_21merge_config_selectorIdNS0_10empty_typeEEEZNS1_10merge_implIS3_N6thrust23THRUST_200600_302600_NS6detail15normal_iteratorINS9_10device_ptrIKdEEEESF_NSB_INSC_IdEEEEPS5_SI_SI_NS9_7greaterIdEEEE10hipError_tPvRmT0_T1_T2_T3_T4_T5_mmT6_P12ihipStream_tbEUlT_E_NS1_11comp_targetILNS1_3genE5ELNS1_11target_archE942ELNS1_3gpuE9ELNS1_3repE0EEENS1_30default_config_static_selectorELNS0_4arch9wavefront6targetE1EEEvSP_, .Lfunc_end462-_ZN7rocprim17ROCPRIM_400000_NS6detail17trampoline_kernelINS0_14default_configENS1_21merge_config_selectorIdNS0_10empty_typeEEEZNS1_10merge_implIS3_N6thrust23THRUST_200600_302600_NS6detail15normal_iteratorINS9_10device_ptrIKdEEEESF_NSB_INSC_IdEEEEPS5_SI_SI_NS9_7greaterIdEEEE10hipError_tPvRmT0_T1_T2_T3_T4_T5_mmT6_P12ihipStream_tbEUlT_E_NS1_11comp_targetILNS1_3genE5ELNS1_11target_archE942ELNS1_3gpuE9ELNS1_3repE0EEENS1_30default_config_static_selectorELNS0_4arch9wavefront6targetE1EEEvSP_
                                        ; -- End function
	.section	.AMDGPU.csdata,"",@progbits
; Kernel info:
; codeLenInByte = 0
; NumSgprs: 4
; NumVgprs: 0
; NumAgprs: 0
; TotalNumVgprs: 0
; ScratchSize: 0
; MemoryBound: 0
; FloatMode: 240
; IeeeMode: 1
; LDSByteSize: 0 bytes/workgroup (compile time only)
; SGPRBlocks: 0
; VGPRBlocks: 0
; NumSGPRsForWavesPerEU: 4
; NumVGPRsForWavesPerEU: 1
; AccumOffset: 4
; Occupancy: 8
; WaveLimiterHint : 0
; COMPUTE_PGM_RSRC2:SCRATCH_EN: 0
; COMPUTE_PGM_RSRC2:USER_SGPR: 6
; COMPUTE_PGM_RSRC2:TRAP_HANDLER: 0
; COMPUTE_PGM_RSRC2:TGID_X_EN: 1
; COMPUTE_PGM_RSRC2:TGID_Y_EN: 0
; COMPUTE_PGM_RSRC2:TGID_Z_EN: 0
; COMPUTE_PGM_RSRC2:TIDIG_COMP_CNT: 0
; COMPUTE_PGM_RSRC3_GFX90A:ACCUM_OFFSET: 0
; COMPUTE_PGM_RSRC3_GFX90A:TG_SPLIT: 0
	.section	.text._ZN7rocprim17ROCPRIM_400000_NS6detail17trampoline_kernelINS0_14default_configENS1_21merge_config_selectorIdNS0_10empty_typeEEEZNS1_10merge_implIS3_N6thrust23THRUST_200600_302600_NS6detail15normal_iteratorINS9_10device_ptrIKdEEEESF_NSB_INSC_IdEEEEPS5_SI_SI_NS9_7greaterIdEEEE10hipError_tPvRmT0_T1_T2_T3_T4_T5_mmT6_P12ihipStream_tbEUlT_E_NS1_11comp_targetILNS1_3genE4ELNS1_11target_archE910ELNS1_3gpuE8ELNS1_3repE0EEENS1_30default_config_static_selectorELNS0_4arch9wavefront6targetE1EEEvSP_,"axG",@progbits,_ZN7rocprim17ROCPRIM_400000_NS6detail17trampoline_kernelINS0_14default_configENS1_21merge_config_selectorIdNS0_10empty_typeEEEZNS1_10merge_implIS3_N6thrust23THRUST_200600_302600_NS6detail15normal_iteratorINS9_10device_ptrIKdEEEESF_NSB_INSC_IdEEEEPS5_SI_SI_NS9_7greaterIdEEEE10hipError_tPvRmT0_T1_T2_T3_T4_T5_mmT6_P12ihipStream_tbEUlT_E_NS1_11comp_targetILNS1_3genE4ELNS1_11target_archE910ELNS1_3gpuE8ELNS1_3repE0EEENS1_30default_config_static_selectorELNS0_4arch9wavefront6targetE1EEEvSP_,comdat
	.protected	_ZN7rocprim17ROCPRIM_400000_NS6detail17trampoline_kernelINS0_14default_configENS1_21merge_config_selectorIdNS0_10empty_typeEEEZNS1_10merge_implIS3_N6thrust23THRUST_200600_302600_NS6detail15normal_iteratorINS9_10device_ptrIKdEEEESF_NSB_INSC_IdEEEEPS5_SI_SI_NS9_7greaterIdEEEE10hipError_tPvRmT0_T1_T2_T3_T4_T5_mmT6_P12ihipStream_tbEUlT_E_NS1_11comp_targetILNS1_3genE4ELNS1_11target_archE910ELNS1_3gpuE8ELNS1_3repE0EEENS1_30default_config_static_selectorELNS0_4arch9wavefront6targetE1EEEvSP_ ; -- Begin function _ZN7rocprim17ROCPRIM_400000_NS6detail17trampoline_kernelINS0_14default_configENS1_21merge_config_selectorIdNS0_10empty_typeEEEZNS1_10merge_implIS3_N6thrust23THRUST_200600_302600_NS6detail15normal_iteratorINS9_10device_ptrIKdEEEESF_NSB_INSC_IdEEEEPS5_SI_SI_NS9_7greaterIdEEEE10hipError_tPvRmT0_T1_T2_T3_T4_T5_mmT6_P12ihipStream_tbEUlT_E_NS1_11comp_targetILNS1_3genE4ELNS1_11target_archE910ELNS1_3gpuE8ELNS1_3repE0EEENS1_30default_config_static_selectorELNS0_4arch9wavefront6targetE1EEEvSP_
	.globl	_ZN7rocprim17ROCPRIM_400000_NS6detail17trampoline_kernelINS0_14default_configENS1_21merge_config_selectorIdNS0_10empty_typeEEEZNS1_10merge_implIS3_N6thrust23THRUST_200600_302600_NS6detail15normal_iteratorINS9_10device_ptrIKdEEEESF_NSB_INSC_IdEEEEPS5_SI_SI_NS9_7greaterIdEEEE10hipError_tPvRmT0_T1_T2_T3_T4_T5_mmT6_P12ihipStream_tbEUlT_E_NS1_11comp_targetILNS1_3genE4ELNS1_11target_archE910ELNS1_3gpuE8ELNS1_3repE0EEENS1_30default_config_static_selectorELNS0_4arch9wavefront6targetE1EEEvSP_
	.p2align	8
	.type	_ZN7rocprim17ROCPRIM_400000_NS6detail17trampoline_kernelINS0_14default_configENS1_21merge_config_selectorIdNS0_10empty_typeEEEZNS1_10merge_implIS3_N6thrust23THRUST_200600_302600_NS6detail15normal_iteratorINS9_10device_ptrIKdEEEESF_NSB_INSC_IdEEEEPS5_SI_SI_NS9_7greaterIdEEEE10hipError_tPvRmT0_T1_T2_T3_T4_T5_mmT6_P12ihipStream_tbEUlT_E_NS1_11comp_targetILNS1_3genE4ELNS1_11target_archE910ELNS1_3gpuE8ELNS1_3repE0EEENS1_30default_config_static_selectorELNS0_4arch9wavefront6targetE1EEEvSP_,@function
_ZN7rocprim17ROCPRIM_400000_NS6detail17trampoline_kernelINS0_14default_configENS1_21merge_config_selectorIdNS0_10empty_typeEEEZNS1_10merge_implIS3_N6thrust23THRUST_200600_302600_NS6detail15normal_iteratorINS9_10device_ptrIKdEEEESF_NSB_INSC_IdEEEEPS5_SI_SI_NS9_7greaterIdEEEE10hipError_tPvRmT0_T1_T2_T3_T4_T5_mmT6_P12ihipStream_tbEUlT_E_NS1_11comp_targetILNS1_3genE4ELNS1_11target_archE910ELNS1_3gpuE8ELNS1_3repE0EEENS1_30default_config_static_selectorELNS0_4arch9wavefront6targetE1EEEvSP_: ; @_ZN7rocprim17ROCPRIM_400000_NS6detail17trampoline_kernelINS0_14default_configENS1_21merge_config_selectorIdNS0_10empty_typeEEEZNS1_10merge_implIS3_N6thrust23THRUST_200600_302600_NS6detail15normal_iteratorINS9_10device_ptrIKdEEEESF_NSB_INSC_IdEEEEPS5_SI_SI_NS9_7greaterIdEEEE10hipError_tPvRmT0_T1_T2_T3_T4_T5_mmT6_P12ihipStream_tbEUlT_E_NS1_11comp_targetILNS1_3genE4ELNS1_11target_archE910ELNS1_3gpuE8ELNS1_3repE0EEENS1_30default_config_static_selectorELNS0_4arch9wavefront6targetE1EEEvSP_
; %bb.0:
	s_load_dword s7, s[4:5], 0x28
	s_load_dword s0, s[4:5], 0x3c
	s_load_dwordx4 s[8:11], s[4:5], 0x18
	s_waitcnt lgkmcnt(0)
	v_cvt_f32_u32_e32 v1, s7
	s_and_b32 s0, s0, 0xffff
	s_add_u32 s12, s10, s8
	s_addc_u32 s13, s11, s9
	v_rcp_iflag_f32_e32 v1, v1
	s_sub_i32 s1, 0, s7
	s_mul_i32 s6, s6, s0
	s_add_i32 s0, s7, s12
	v_mul_f32_e32 v1, 0x4f7ffffe, v1
	v_cvt_u32_f32_e32 v1, v1
	s_add_i32 s0, s0, -1
	v_add_u32_e32 v0, s6, v0
	v_readfirstlane_b32 s2, v1
	s_mul_i32 s1, s1, s2
	s_mul_hi_u32 s1, s2, s1
	s_add_i32 s2, s2, s1
	s_mul_hi_u32 s1, s0, s2
	s_mul_i32 s2, s1, s7
	s_sub_i32 s0, s0, s2
	s_add_i32 s3, s1, 1
	s_sub_i32 s2, s0, s7
	s_cmp_ge_u32 s0, s7
	s_cselect_b32 s1, s3, s1
	s_cselect_b32 s0, s2, s0
	s_add_i32 s2, s1, 1
	s_cmp_ge_u32 s0, s7
	s_cselect_b32 s0, s2, s1
	v_cmp_ge_u32_e32 vcc, s0, v0
	s_and_saveexec_b64 s[0:1], vcc
	s_cbranch_execz .LBB463_6
; %bb.1:
	v_mul_lo_u32 v2, v0, s7
	v_mov_b32_e32 v3, 0
	v_mov_b32_e32 v1, s13
	v_cmp_gt_u64_e32 vcc, s[12:13], v[2:3]
	v_cndmask_b32_e64 v7, v1, 0, vcc
	v_mov_b32_e32 v1, s12
	v_cndmask_b32_e32 v6, v1, v2, vcc
	v_mov_b32_e32 v1, s11
	v_subrev_co_u32_e32 v2, vcc, s10, v6
	v_subb_co_u32_e32 v3, vcc, v7, v1, vcc
	s_load_dwordx4 s[0:3], s[4:5], 0x0
	v_cmp_gt_u64_e32 vcc, v[2:3], v[6:7]
	v_cndmask_b32_e64 v3, v3, 0, vcc
	v_cndmask_b32_e64 v2, v2, 0, vcc
	v_mov_b32_e32 v1, s9
	v_cmp_gt_u64_e32 vcc, s[8:9], v[6:7]
	v_cndmask_b32_e32 v5, v1, v7, vcc
	v_mov_b32_e32 v1, s8
	v_cndmask_b32_e32 v4, v1, v6, vcc
	v_cmp_lt_u64_e32 vcc, v[2:3], v[4:5]
	s_and_saveexec_b64 s[6:7], vcc
	s_cbranch_execz .LBB463_5
; %bb.2:
	s_load_dwordx2 s[4:5], s[4:5], 0x10
	v_lshlrev_b64 v[6:7], 3, v[6:7]
	s_waitcnt lgkmcnt(0)
	v_mov_b32_e32 v8, s5
	v_add_co_u32_e32 v1, vcc, s4, v6
	v_addc_co_u32_e32 v6, vcc, v8, v7, vcc
	s_mov_b64 s[4:5], 0
	v_mov_b32_e32 v7, s3
.LBB463_3:                              ; =>This Inner Loop Header: Depth=1
	v_add_co_u32_e32 v8, vcc, v4, v2
	v_addc_co_u32_e32 v9, vcc, v5, v3, vcc
	v_lshrrev_b64 v[8:9], 1, v[8:9]
	v_lshlrev_b64 v[12:13], 3, v[8:9]
	v_not_b32_e32 v11, v9
	v_not_b32_e32 v10, v8
	v_add_co_u32_e32 v12, vcc, s2, v12
	v_addc_co_u32_e32 v13, vcc, v7, v13, vcc
	v_lshlrev_b64 v[10:11], 3, v[10:11]
	v_add_co_u32_e32 v10, vcc, v1, v10
	v_addc_co_u32_e32 v11, vcc, v6, v11, vcc
	global_load_dwordx2 v[12:13], v[12:13], off
	v_add_co_u32_e32 v14, vcc, 1, v8
	global_load_dwordx2 v[10:11], v[10:11], off
	v_addc_co_u32_e32 v15, vcc, 0, v9, vcc
	s_waitcnt vmcnt(0)
	v_cmp_gt_f64_e32 vcc, v[10:11], v[12:13]
	v_cndmask_b32_e32 v5, v5, v9, vcc
	v_cndmask_b32_e32 v4, v4, v8, vcc
	;; [unrolled: 1-line block ×4, first 2 shown]
	v_cmp_ge_u64_e32 vcc, v[2:3], v[4:5]
	s_or_b64 s[4:5], vcc, s[4:5]
	s_andn2_b64 exec, exec, s[4:5]
	s_cbranch_execnz .LBB463_3
; %bb.4:
	s_or_b64 exec, exec, s[4:5]
.LBB463_5:
	s_or_b64 exec, exec, s[6:7]
	v_mov_b32_e32 v1, 0
	v_lshlrev_b64 v[0:1], 2, v[0:1]
	s_waitcnt lgkmcnt(0)
	v_mov_b32_e32 v3, s1
	v_add_co_u32_e32 v0, vcc, s0, v0
	v_addc_co_u32_e32 v1, vcc, v3, v1, vcc
	global_store_dword v[0:1], v2, off
.LBB463_6:
	s_endpgm
	.section	.rodata,"a",@progbits
	.p2align	6, 0x0
	.amdhsa_kernel _ZN7rocprim17ROCPRIM_400000_NS6detail17trampoline_kernelINS0_14default_configENS1_21merge_config_selectorIdNS0_10empty_typeEEEZNS1_10merge_implIS3_N6thrust23THRUST_200600_302600_NS6detail15normal_iteratorINS9_10device_ptrIKdEEEESF_NSB_INSC_IdEEEEPS5_SI_SI_NS9_7greaterIdEEEE10hipError_tPvRmT0_T1_T2_T3_T4_T5_mmT6_P12ihipStream_tbEUlT_E_NS1_11comp_targetILNS1_3genE4ELNS1_11target_archE910ELNS1_3gpuE8ELNS1_3repE0EEENS1_30default_config_static_selectorELNS0_4arch9wavefront6targetE1EEEvSP_
		.amdhsa_group_segment_fixed_size 0
		.amdhsa_private_segment_fixed_size 0
		.amdhsa_kernarg_size 304
		.amdhsa_user_sgpr_count 6
		.amdhsa_user_sgpr_private_segment_buffer 1
		.amdhsa_user_sgpr_dispatch_ptr 0
		.amdhsa_user_sgpr_queue_ptr 0
		.amdhsa_user_sgpr_kernarg_segment_ptr 1
		.amdhsa_user_sgpr_dispatch_id 0
		.amdhsa_user_sgpr_flat_scratch_init 0
		.amdhsa_user_sgpr_kernarg_preload_length 0
		.amdhsa_user_sgpr_kernarg_preload_offset 0
		.amdhsa_user_sgpr_private_segment_size 0
		.amdhsa_uses_dynamic_stack 0
		.amdhsa_system_sgpr_private_segment_wavefront_offset 0
		.amdhsa_system_sgpr_workgroup_id_x 1
		.amdhsa_system_sgpr_workgroup_id_y 0
		.amdhsa_system_sgpr_workgroup_id_z 0
		.amdhsa_system_sgpr_workgroup_info 0
		.amdhsa_system_vgpr_workitem_id 0
		.amdhsa_next_free_vgpr 16
		.amdhsa_next_free_sgpr 14
		.amdhsa_accum_offset 16
		.amdhsa_reserve_vcc 1
		.amdhsa_reserve_flat_scratch 0
		.amdhsa_float_round_mode_32 0
		.amdhsa_float_round_mode_16_64 0
		.amdhsa_float_denorm_mode_32 3
		.amdhsa_float_denorm_mode_16_64 3
		.amdhsa_dx10_clamp 1
		.amdhsa_ieee_mode 1
		.amdhsa_fp16_overflow 0
		.amdhsa_tg_split 0
		.amdhsa_exception_fp_ieee_invalid_op 0
		.amdhsa_exception_fp_denorm_src 0
		.amdhsa_exception_fp_ieee_div_zero 0
		.amdhsa_exception_fp_ieee_overflow 0
		.amdhsa_exception_fp_ieee_underflow 0
		.amdhsa_exception_fp_ieee_inexact 0
		.amdhsa_exception_int_div_zero 0
	.end_amdhsa_kernel
	.section	.text._ZN7rocprim17ROCPRIM_400000_NS6detail17trampoline_kernelINS0_14default_configENS1_21merge_config_selectorIdNS0_10empty_typeEEEZNS1_10merge_implIS3_N6thrust23THRUST_200600_302600_NS6detail15normal_iteratorINS9_10device_ptrIKdEEEESF_NSB_INSC_IdEEEEPS5_SI_SI_NS9_7greaterIdEEEE10hipError_tPvRmT0_T1_T2_T3_T4_T5_mmT6_P12ihipStream_tbEUlT_E_NS1_11comp_targetILNS1_3genE4ELNS1_11target_archE910ELNS1_3gpuE8ELNS1_3repE0EEENS1_30default_config_static_selectorELNS0_4arch9wavefront6targetE1EEEvSP_,"axG",@progbits,_ZN7rocprim17ROCPRIM_400000_NS6detail17trampoline_kernelINS0_14default_configENS1_21merge_config_selectorIdNS0_10empty_typeEEEZNS1_10merge_implIS3_N6thrust23THRUST_200600_302600_NS6detail15normal_iteratorINS9_10device_ptrIKdEEEESF_NSB_INSC_IdEEEEPS5_SI_SI_NS9_7greaterIdEEEE10hipError_tPvRmT0_T1_T2_T3_T4_T5_mmT6_P12ihipStream_tbEUlT_E_NS1_11comp_targetILNS1_3genE4ELNS1_11target_archE910ELNS1_3gpuE8ELNS1_3repE0EEENS1_30default_config_static_selectorELNS0_4arch9wavefront6targetE1EEEvSP_,comdat
.Lfunc_end463:
	.size	_ZN7rocprim17ROCPRIM_400000_NS6detail17trampoline_kernelINS0_14default_configENS1_21merge_config_selectorIdNS0_10empty_typeEEEZNS1_10merge_implIS3_N6thrust23THRUST_200600_302600_NS6detail15normal_iteratorINS9_10device_ptrIKdEEEESF_NSB_INSC_IdEEEEPS5_SI_SI_NS9_7greaterIdEEEE10hipError_tPvRmT0_T1_T2_T3_T4_T5_mmT6_P12ihipStream_tbEUlT_E_NS1_11comp_targetILNS1_3genE4ELNS1_11target_archE910ELNS1_3gpuE8ELNS1_3repE0EEENS1_30default_config_static_selectorELNS0_4arch9wavefront6targetE1EEEvSP_, .Lfunc_end463-_ZN7rocprim17ROCPRIM_400000_NS6detail17trampoline_kernelINS0_14default_configENS1_21merge_config_selectorIdNS0_10empty_typeEEEZNS1_10merge_implIS3_N6thrust23THRUST_200600_302600_NS6detail15normal_iteratorINS9_10device_ptrIKdEEEESF_NSB_INSC_IdEEEEPS5_SI_SI_NS9_7greaterIdEEEE10hipError_tPvRmT0_T1_T2_T3_T4_T5_mmT6_P12ihipStream_tbEUlT_E_NS1_11comp_targetILNS1_3genE4ELNS1_11target_archE910ELNS1_3gpuE8ELNS1_3repE0EEENS1_30default_config_static_selectorELNS0_4arch9wavefront6targetE1EEEvSP_
                                        ; -- End function
	.section	.AMDGPU.csdata,"",@progbits
; Kernel info:
; codeLenInByte = 472
; NumSgprs: 18
; NumVgprs: 16
; NumAgprs: 0
; TotalNumVgprs: 16
; ScratchSize: 0
; MemoryBound: 0
; FloatMode: 240
; IeeeMode: 1
; LDSByteSize: 0 bytes/workgroup (compile time only)
; SGPRBlocks: 2
; VGPRBlocks: 1
; NumSGPRsForWavesPerEU: 18
; NumVGPRsForWavesPerEU: 16
; AccumOffset: 16
; Occupancy: 8
; WaveLimiterHint : 0
; COMPUTE_PGM_RSRC2:SCRATCH_EN: 0
; COMPUTE_PGM_RSRC2:USER_SGPR: 6
; COMPUTE_PGM_RSRC2:TRAP_HANDLER: 0
; COMPUTE_PGM_RSRC2:TGID_X_EN: 1
; COMPUTE_PGM_RSRC2:TGID_Y_EN: 0
; COMPUTE_PGM_RSRC2:TGID_Z_EN: 0
; COMPUTE_PGM_RSRC2:TIDIG_COMP_CNT: 0
; COMPUTE_PGM_RSRC3_GFX90A:ACCUM_OFFSET: 3
; COMPUTE_PGM_RSRC3_GFX90A:TG_SPLIT: 0
	.section	.text._ZN7rocprim17ROCPRIM_400000_NS6detail17trampoline_kernelINS0_14default_configENS1_21merge_config_selectorIdNS0_10empty_typeEEEZNS1_10merge_implIS3_N6thrust23THRUST_200600_302600_NS6detail15normal_iteratorINS9_10device_ptrIKdEEEESF_NSB_INSC_IdEEEEPS5_SI_SI_NS9_7greaterIdEEEE10hipError_tPvRmT0_T1_T2_T3_T4_T5_mmT6_P12ihipStream_tbEUlT_E_NS1_11comp_targetILNS1_3genE3ELNS1_11target_archE908ELNS1_3gpuE7ELNS1_3repE0EEENS1_30default_config_static_selectorELNS0_4arch9wavefront6targetE1EEEvSP_,"axG",@progbits,_ZN7rocprim17ROCPRIM_400000_NS6detail17trampoline_kernelINS0_14default_configENS1_21merge_config_selectorIdNS0_10empty_typeEEEZNS1_10merge_implIS3_N6thrust23THRUST_200600_302600_NS6detail15normal_iteratorINS9_10device_ptrIKdEEEESF_NSB_INSC_IdEEEEPS5_SI_SI_NS9_7greaterIdEEEE10hipError_tPvRmT0_T1_T2_T3_T4_T5_mmT6_P12ihipStream_tbEUlT_E_NS1_11comp_targetILNS1_3genE3ELNS1_11target_archE908ELNS1_3gpuE7ELNS1_3repE0EEENS1_30default_config_static_selectorELNS0_4arch9wavefront6targetE1EEEvSP_,comdat
	.protected	_ZN7rocprim17ROCPRIM_400000_NS6detail17trampoline_kernelINS0_14default_configENS1_21merge_config_selectorIdNS0_10empty_typeEEEZNS1_10merge_implIS3_N6thrust23THRUST_200600_302600_NS6detail15normal_iteratorINS9_10device_ptrIKdEEEESF_NSB_INSC_IdEEEEPS5_SI_SI_NS9_7greaterIdEEEE10hipError_tPvRmT0_T1_T2_T3_T4_T5_mmT6_P12ihipStream_tbEUlT_E_NS1_11comp_targetILNS1_3genE3ELNS1_11target_archE908ELNS1_3gpuE7ELNS1_3repE0EEENS1_30default_config_static_selectorELNS0_4arch9wavefront6targetE1EEEvSP_ ; -- Begin function _ZN7rocprim17ROCPRIM_400000_NS6detail17trampoline_kernelINS0_14default_configENS1_21merge_config_selectorIdNS0_10empty_typeEEEZNS1_10merge_implIS3_N6thrust23THRUST_200600_302600_NS6detail15normal_iteratorINS9_10device_ptrIKdEEEESF_NSB_INSC_IdEEEEPS5_SI_SI_NS9_7greaterIdEEEE10hipError_tPvRmT0_T1_T2_T3_T4_T5_mmT6_P12ihipStream_tbEUlT_E_NS1_11comp_targetILNS1_3genE3ELNS1_11target_archE908ELNS1_3gpuE7ELNS1_3repE0EEENS1_30default_config_static_selectorELNS0_4arch9wavefront6targetE1EEEvSP_
	.globl	_ZN7rocprim17ROCPRIM_400000_NS6detail17trampoline_kernelINS0_14default_configENS1_21merge_config_selectorIdNS0_10empty_typeEEEZNS1_10merge_implIS3_N6thrust23THRUST_200600_302600_NS6detail15normal_iteratorINS9_10device_ptrIKdEEEESF_NSB_INSC_IdEEEEPS5_SI_SI_NS9_7greaterIdEEEE10hipError_tPvRmT0_T1_T2_T3_T4_T5_mmT6_P12ihipStream_tbEUlT_E_NS1_11comp_targetILNS1_3genE3ELNS1_11target_archE908ELNS1_3gpuE7ELNS1_3repE0EEENS1_30default_config_static_selectorELNS0_4arch9wavefront6targetE1EEEvSP_
	.p2align	8
	.type	_ZN7rocprim17ROCPRIM_400000_NS6detail17trampoline_kernelINS0_14default_configENS1_21merge_config_selectorIdNS0_10empty_typeEEEZNS1_10merge_implIS3_N6thrust23THRUST_200600_302600_NS6detail15normal_iteratorINS9_10device_ptrIKdEEEESF_NSB_INSC_IdEEEEPS5_SI_SI_NS9_7greaterIdEEEE10hipError_tPvRmT0_T1_T2_T3_T4_T5_mmT6_P12ihipStream_tbEUlT_E_NS1_11comp_targetILNS1_3genE3ELNS1_11target_archE908ELNS1_3gpuE7ELNS1_3repE0EEENS1_30default_config_static_selectorELNS0_4arch9wavefront6targetE1EEEvSP_,@function
_ZN7rocprim17ROCPRIM_400000_NS6detail17trampoline_kernelINS0_14default_configENS1_21merge_config_selectorIdNS0_10empty_typeEEEZNS1_10merge_implIS3_N6thrust23THRUST_200600_302600_NS6detail15normal_iteratorINS9_10device_ptrIKdEEEESF_NSB_INSC_IdEEEEPS5_SI_SI_NS9_7greaterIdEEEE10hipError_tPvRmT0_T1_T2_T3_T4_T5_mmT6_P12ihipStream_tbEUlT_E_NS1_11comp_targetILNS1_3genE3ELNS1_11target_archE908ELNS1_3gpuE7ELNS1_3repE0EEENS1_30default_config_static_selectorELNS0_4arch9wavefront6targetE1EEEvSP_: ; @_ZN7rocprim17ROCPRIM_400000_NS6detail17trampoline_kernelINS0_14default_configENS1_21merge_config_selectorIdNS0_10empty_typeEEEZNS1_10merge_implIS3_N6thrust23THRUST_200600_302600_NS6detail15normal_iteratorINS9_10device_ptrIKdEEEESF_NSB_INSC_IdEEEEPS5_SI_SI_NS9_7greaterIdEEEE10hipError_tPvRmT0_T1_T2_T3_T4_T5_mmT6_P12ihipStream_tbEUlT_E_NS1_11comp_targetILNS1_3genE3ELNS1_11target_archE908ELNS1_3gpuE7ELNS1_3repE0EEENS1_30default_config_static_selectorELNS0_4arch9wavefront6targetE1EEEvSP_
; %bb.0:
	.section	.rodata,"a",@progbits
	.p2align	6, 0x0
	.amdhsa_kernel _ZN7rocprim17ROCPRIM_400000_NS6detail17trampoline_kernelINS0_14default_configENS1_21merge_config_selectorIdNS0_10empty_typeEEEZNS1_10merge_implIS3_N6thrust23THRUST_200600_302600_NS6detail15normal_iteratorINS9_10device_ptrIKdEEEESF_NSB_INSC_IdEEEEPS5_SI_SI_NS9_7greaterIdEEEE10hipError_tPvRmT0_T1_T2_T3_T4_T5_mmT6_P12ihipStream_tbEUlT_E_NS1_11comp_targetILNS1_3genE3ELNS1_11target_archE908ELNS1_3gpuE7ELNS1_3repE0EEENS1_30default_config_static_selectorELNS0_4arch9wavefront6targetE1EEEvSP_
		.amdhsa_group_segment_fixed_size 0
		.amdhsa_private_segment_fixed_size 0
		.amdhsa_kernarg_size 48
		.amdhsa_user_sgpr_count 6
		.amdhsa_user_sgpr_private_segment_buffer 1
		.amdhsa_user_sgpr_dispatch_ptr 0
		.amdhsa_user_sgpr_queue_ptr 0
		.amdhsa_user_sgpr_kernarg_segment_ptr 1
		.amdhsa_user_sgpr_dispatch_id 0
		.amdhsa_user_sgpr_flat_scratch_init 0
		.amdhsa_user_sgpr_kernarg_preload_length 0
		.amdhsa_user_sgpr_kernarg_preload_offset 0
		.amdhsa_user_sgpr_private_segment_size 0
		.amdhsa_uses_dynamic_stack 0
		.amdhsa_system_sgpr_private_segment_wavefront_offset 0
		.amdhsa_system_sgpr_workgroup_id_x 1
		.amdhsa_system_sgpr_workgroup_id_y 0
		.amdhsa_system_sgpr_workgroup_id_z 0
		.amdhsa_system_sgpr_workgroup_info 0
		.amdhsa_system_vgpr_workitem_id 0
		.amdhsa_next_free_vgpr 1
		.amdhsa_next_free_sgpr 0
		.amdhsa_accum_offset 4
		.amdhsa_reserve_vcc 0
		.amdhsa_reserve_flat_scratch 0
		.amdhsa_float_round_mode_32 0
		.amdhsa_float_round_mode_16_64 0
		.amdhsa_float_denorm_mode_32 3
		.amdhsa_float_denorm_mode_16_64 3
		.amdhsa_dx10_clamp 1
		.amdhsa_ieee_mode 1
		.amdhsa_fp16_overflow 0
		.amdhsa_tg_split 0
		.amdhsa_exception_fp_ieee_invalid_op 0
		.amdhsa_exception_fp_denorm_src 0
		.amdhsa_exception_fp_ieee_div_zero 0
		.amdhsa_exception_fp_ieee_overflow 0
		.amdhsa_exception_fp_ieee_underflow 0
		.amdhsa_exception_fp_ieee_inexact 0
		.amdhsa_exception_int_div_zero 0
	.end_amdhsa_kernel
	.section	.text._ZN7rocprim17ROCPRIM_400000_NS6detail17trampoline_kernelINS0_14default_configENS1_21merge_config_selectorIdNS0_10empty_typeEEEZNS1_10merge_implIS3_N6thrust23THRUST_200600_302600_NS6detail15normal_iteratorINS9_10device_ptrIKdEEEESF_NSB_INSC_IdEEEEPS5_SI_SI_NS9_7greaterIdEEEE10hipError_tPvRmT0_T1_T2_T3_T4_T5_mmT6_P12ihipStream_tbEUlT_E_NS1_11comp_targetILNS1_3genE3ELNS1_11target_archE908ELNS1_3gpuE7ELNS1_3repE0EEENS1_30default_config_static_selectorELNS0_4arch9wavefront6targetE1EEEvSP_,"axG",@progbits,_ZN7rocprim17ROCPRIM_400000_NS6detail17trampoline_kernelINS0_14default_configENS1_21merge_config_selectorIdNS0_10empty_typeEEEZNS1_10merge_implIS3_N6thrust23THRUST_200600_302600_NS6detail15normal_iteratorINS9_10device_ptrIKdEEEESF_NSB_INSC_IdEEEEPS5_SI_SI_NS9_7greaterIdEEEE10hipError_tPvRmT0_T1_T2_T3_T4_T5_mmT6_P12ihipStream_tbEUlT_E_NS1_11comp_targetILNS1_3genE3ELNS1_11target_archE908ELNS1_3gpuE7ELNS1_3repE0EEENS1_30default_config_static_selectorELNS0_4arch9wavefront6targetE1EEEvSP_,comdat
.Lfunc_end464:
	.size	_ZN7rocprim17ROCPRIM_400000_NS6detail17trampoline_kernelINS0_14default_configENS1_21merge_config_selectorIdNS0_10empty_typeEEEZNS1_10merge_implIS3_N6thrust23THRUST_200600_302600_NS6detail15normal_iteratorINS9_10device_ptrIKdEEEESF_NSB_INSC_IdEEEEPS5_SI_SI_NS9_7greaterIdEEEE10hipError_tPvRmT0_T1_T2_T3_T4_T5_mmT6_P12ihipStream_tbEUlT_E_NS1_11comp_targetILNS1_3genE3ELNS1_11target_archE908ELNS1_3gpuE7ELNS1_3repE0EEENS1_30default_config_static_selectorELNS0_4arch9wavefront6targetE1EEEvSP_, .Lfunc_end464-_ZN7rocprim17ROCPRIM_400000_NS6detail17trampoline_kernelINS0_14default_configENS1_21merge_config_selectorIdNS0_10empty_typeEEEZNS1_10merge_implIS3_N6thrust23THRUST_200600_302600_NS6detail15normal_iteratorINS9_10device_ptrIKdEEEESF_NSB_INSC_IdEEEEPS5_SI_SI_NS9_7greaterIdEEEE10hipError_tPvRmT0_T1_T2_T3_T4_T5_mmT6_P12ihipStream_tbEUlT_E_NS1_11comp_targetILNS1_3genE3ELNS1_11target_archE908ELNS1_3gpuE7ELNS1_3repE0EEENS1_30default_config_static_selectorELNS0_4arch9wavefront6targetE1EEEvSP_
                                        ; -- End function
	.section	.AMDGPU.csdata,"",@progbits
; Kernel info:
; codeLenInByte = 0
; NumSgprs: 4
; NumVgprs: 0
; NumAgprs: 0
; TotalNumVgprs: 0
; ScratchSize: 0
; MemoryBound: 0
; FloatMode: 240
; IeeeMode: 1
; LDSByteSize: 0 bytes/workgroup (compile time only)
; SGPRBlocks: 0
; VGPRBlocks: 0
; NumSGPRsForWavesPerEU: 4
; NumVGPRsForWavesPerEU: 1
; AccumOffset: 4
; Occupancy: 8
; WaveLimiterHint : 0
; COMPUTE_PGM_RSRC2:SCRATCH_EN: 0
; COMPUTE_PGM_RSRC2:USER_SGPR: 6
; COMPUTE_PGM_RSRC2:TRAP_HANDLER: 0
; COMPUTE_PGM_RSRC2:TGID_X_EN: 1
; COMPUTE_PGM_RSRC2:TGID_Y_EN: 0
; COMPUTE_PGM_RSRC2:TGID_Z_EN: 0
; COMPUTE_PGM_RSRC2:TIDIG_COMP_CNT: 0
; COMPUTE_PGM_RSRC3_GFX90A:ACCUM_OFFSET: 0
; COMPUTE_PGM_RSRC3_GFX90A:TG_SPLIT: 0
	.section	.text._ZN7rocprim17ROCPRIM_400000_NS6detail17trampoline_kernelINS0_14default_configENS1_21merge_config_selectorIdNS0_10empty_typeEEEZNS1_10merge_implIS3_N6thrust23THRUST_200600_302600_NS6detail15normal_iteratorINS9_10device_ptrIKdEEEESF_NSB_INSC_IdEEEEPS5_SI_SI_NS9_7greaterIdEEEE10hipError_tPvRmT0_T1_T2_T3_T4_T5_mmT6_P12ihipStream_tbEUlT_E_NS1_11comp_targetILNS1_3genE2ELNS1_11target_archE906ELNS1_3gpuE6ELNS1_3repE0EEENS1_30default_config_static_selectorELNS0_4arch9wavefront6targetE1EEEvSP_,"axG",@progbits,_ZN7rocprim17ROCPRIM_400000_NS6detail17trampoline_kernelINS0_14default_configENS1_21merge_config_selectorIdNS0_10empty_typeEEEZNS1_10merge_implIS3_N6thrust23THRUST_200600_302600_NS6detail15normal_iteratorINS9_10device_ptrIKdEEEESF_NSB_INSC_IdEEEEPS5_SI_SI_NS9_7greaterIdEEEE10hipError_tPvRmT0_T1_T2_T3_T4_T5_mmT6_P12ihipStream_tbEUlT_E_NS1_11comp_targetILNS1_3genE2ELNS1_11target_archE906ELNS1_3gpuE6ELNS1_3repE0EEENS1_30default_config_static_selectorELNS0_4arch9wavefront6targetE1EEEvSP_,comdat
	.protected	_ZN7rocprim17ROCPRIM_400000_NS6detail17trampoline_kernelINS0_14default_configENS1_21merge_config_selectorIdNS0_10empty_typeEEEZNS1_10merge_implIS3_N6thrust23THRUST_200600_302600_NS6detail15normal_iteratorINS9_10device_ptrIKdEEEESF_NSB_INSC_IdEEEEPS5_SI_SI_NS9_7greaterIdEEEE10hipError_tPvRmT0_T1_T2_T3_T4_T5_mmT6_P12ihipStream_tbEUlT_E_NS1_11comp_targetILNS1_3genE2ELNS1_11target_archE906ELNS1_3gpuE6ELNS1_3repE0EEENS1_30default_config_static_selectorELNS0_4arch9wavefront6targetE1EEEvSP_ ; -- Begin function _ZN7rocprim17ROCPRIM_400000_NS6detail17trampoline_kernelINS0_14default_configENS1_21merge_config_selectorIdNS0_10empty_typeEEEZNS1_10merge_implIS3_N6thrust23THRUST_200600_302600_NS6detail15normal_iteratorINS9_10device_ptrIKdEEEESF_NSB_INSC_IdEEEEPS5_SI_SI_NS9_7greaterIdEEEE10hipError_tPvRmT0_T1_T2_T3_T4_T5_mmT6_P12ihipStream_tbEUlT_E_NS1_11comp_targetILNS1_3genE2ELNS1_11target_archE906ELNS1_3gpuE6ELNS1_3repE0EEENS1_30default_config_static_selectorELNS0_4arch9wavefront6targetE1EEEvSP_
	.globl	_ZN7rocprim17ROCPRIM_400000_NS6detail17trampoline_kernelINS0_14default_configENS1_21merge_config_selectorIdNS0_10empty_typeEEEZNS1_10merge_implIS3_N6thrust23THRUST_200600_302600_NS6detail15normal_iteratorINS9_10device_ptrIKdEEEESF_NSB_INSC_IdEEEEPS5_SI_SI_NS9_7greaterIdEEEE10hipError_tPvRmT0_T1_T2_T3_T4_T5_mmT6_P12ihipStream_tbEUlT_E_NS1_11comp_targetILNS1_3genE2ELNS1_11target_archE906ELNS1_3gpuE6ELNS1_3repE0EEENS1_30default_config_static_selectorELNS0_4arch9wavefront6targetE1EEEvSP_
	.p2align	8
	.type	_ZN7rocprim17ROCPRIM_400000_NS6detail17trampoline_kernelINS0_14default_configENS1_21merge_config_selectorIdNS0_10empty_typeEEEZNS1_10merge_implIS3_N6thrust23THRUST_200600_302600_NS6detail15normal_iteratorINS9_10device_ptrIKdEEEESF_NSB_INSC_IdEEEEPS5_SI_SI_NS9_7greaterIdEEEE10hipError_tPvRmT0_T1_T2_T3_T4_T5_mmT6_P12ihipStream_tbEUlT_E_NS1_11comp_targetILNS1_3genE2ELNS1_11target_archE906ELNS1_3gpuE6ELNS1_3repE0EEENS1_30default_config_static_selectorELNS0_4arch9wavefront6targetE1EEEvSP_,@function
_ZN7rocprim17ROCPRIM_400000_NS6detail17trampoline_kernelINS0_14default_configENS1_21merge_config_selectorIdNS0_10empty_typeEEEZNS1_10merge_implIS3_N6thrust23THRUST_200600_302600_NS6detail15normal_iteratorINS9_10device_ptrIKdEEEESF_NSB_INSC_IdEEEEPS5_SI_SI_NS9_7greaterIdEEEE10hipError_tPvRmT0_T1_T2_T3_T4_T5_mmT6_P12ihipStream_tbEUlT_E_NS1_11comp_targetILNS1_3genE2ELNS1_11target_archE906ELNS1_3gpuE6ELNS1_3repE0EEENS1_30default_config_static_selectorELNS0_4arch9wavefront6targetE1EEEvSP_: ; @_ZN7rocprim17ROCPRIM_400000_NS6detail17trampoline_kernelINS0_14default_configENS1_21merge_config_selectorIdNS0_10empty_typeEEEZNS1_10merge_implIS3_N6thrust23THRUST_200600_302600_NS6detail15normal_iteratorINS9_10device_ptrIKdEEEESF_NSB_INSC_IdEEEEPS5_SI_SI_NS9_7greaterIdEEEE10hipError_tPvRmT0_T1_T2_T3_T4_T5_mmT6_P12ihipStream_tbEUlT_E_NS1_11comp_targetILNS1_3genE2ELNS1_11target_archE906ELNS1_3gpuE6ELNS1_3repE0EEENS1_30default_config_static_selectorELNS0_4arch9wavefront6targetE1EEEvSP_
; %bb.0:
	.section	.rodata,"a",@progbits
	.p2align	6, 0x0
	.amdhsa_kernel _ZN7rocprim17ROCPRIM_400000_NS6detail17trampoline_kernelINS0_14default_configENS1_21merge_config_selectorIdNS0_10empty_typeEEEZNS1_10merge_implIS3_N6thrust23THRUST_200600_302600_NS6detail15normal_iteratorINS9_10device_ptrIKdEEEESF_NSB_INSC_IdEEEEPS5_SI_SI_NS9_7greaterIdEEEE10hipError_tPvRmT0_T1_T2_T3_T4_T5_mmT6_P12ihipStream_tbEUlT_E_NS1_11comp_targetILNS1_3genE2ELNS1_11target_archE906ELNS1_3gpuE6ELNS1_3repE0EEENS1_30default_config_static_selectorELNS0_4arch9wavefront6targetE1EEEvSP_
		.amdhsa_group_segment_fixed_size 0
		.amdhsa_private_segment_fixed_size 0
		.amdhsa_kernarg_size 48
		.amdhsa_user_sgpr_count 6
		.amdhsa_user_sgpr_private_segment_buffer 1
		.amdhsa_user_sgpr_dispatch_ptr 0
		.amdhsa_user_sgpr_queue_ptr 0
		.amdhsa_user_sgpr_kernarg_segment_ptr 1
		.amdhsa_user_sgpr_dispatch_id 0
		.amdhsa_user_sgpr_flat_scratch_init 0
		.amdhsa_user_sgpr_kernarg_preload_length 0
		.amdhsa_user_sgpr_kernarg_preload_offset 0
		.amdhsa_user_sgpr_private_segment_size 0
		.amdhsa_uses_dynamic_stack 0
		.amdhsa_system_sgpr_private_segment_wavefront_offset 0
		.amdhsa_system_sgpr_workgroup_id_x 1
		.amdhsa_system_sgpr_workgroup_id_y 0
		.amdhsa_system_sgpr_workgroup_id_z 0
		.amdhsa_system_sgpr_workgroup_info 0
		.amdhsa_system_vgpr_workitem_id 0
		.amdhsa_next_free_vgpr 1
		.amdhsa_next_free_sgpr 0
		.amdhsa_accum_offset 4
		.amdhsa_reserve_vcc 0
		.amdhsa_reserve_flat_scratch 0
		.amdhsa_float_round_mode_32 0
		.amdhsa_float_round_mode_16_64 0
		.amdhsa_float_denorm_mode_32 3
		.amdhsa_float_denorm_mode_16_64 3
		.amdhsa_dx10_clamp 1
		.amdhsa_ieee_mode 1
		.amdhsa_fp16_overflow 0
		.amdhsa_tg_split 0
		.amdhsa_exception_fp_ieee_invalid_op 0
		.amdhsa_exception_fp_denorm_src 0
		.amdhsa_exception_fp_ieee_div_zero 0
		.amdhsa_exception_fp_ieee_overflow 0
		.amdhsa_exception_fp_ieee_underflow 0
		.amdhsa_exception_fp_ieee_inexact 0
		.amdhsa_exception_int_div_zero 0
	.end_amdhsa_kernel
	.section	.text._ZN7rocprim17ROCPRIM_400000_NS6detail17trampoline_kernelINS0_14default_configENS1_21merge_config_selectorIdNS0_10empty_typeEEEZNS1_10merge_implIS3_N6thrust23THRUST_200600_302600_NS6detail15normal_iteratorINS9_10device_ptrIKdEEEESF_NSB_INSC_IdEEEEPS5_SI_SI_NS9_7greaterIdEEEE10hipError_tPvRmT0_T1_T2_T3_T4_T5_mmT6_P12ihipStream_tbEUlT_E_NS1_11comp_targetILNS1_3genE2ELNS1_11target_archE906ELNS1_3gpuE6ELNS1_3repE0EEENS1_30default_config_static_selectorELNS0_4arch9wavefront6targetE1EEEvSP_,"axG",@progbits,_ZN7rocprim17ROCPRIM_400000_NS6detail17trampoline_kernelINS0_14default_configENS1_21merge_config_selectorIdNS0_10empty_typeEEEZNS1_10merge_implIS3_N6thrust23THRUST_200600_302600_NS6detail15normal_iteratorINS9_10device_ptrIKdEEEESF_NSB_INSC_IdEEEEPS5_SI_SI_NS9_7greaterIdEEEE10hipError_tPvRmT0_T1_T2_T3_T4_T5_mmT6_P12ihipStream_tbEUlT_E_NS1_11comp_targetILNS1_3genE2ELNS1_11target_archE906ELNS1_3gpuE6ELNS1_3repE0EEENS1_30default_config_static_selectorELNS0_4arch9wavefront6targetE1EEEvSP_,comdat
.Lfunc_end465:
	.size	_ZN7rocprim17ROCPRIM_400000_NS6detail17trampoline_kernelINS0_14default_configENS1_21merge_config_selectorIdNS0_10empty_typeEEEZNS1_10merge_implIS3_N6thrust23THRUST_200600_302600_NS6detail15normal_iteratorINS9_10device_ptrIKdEEEESF_NSB_INSC_IdEEEEPS5_SI_SI_NS9_7greaterIdEEEE10hipError_tPvRmT0_T1_T2_T3_T4_T5_mmT6_P12ihipStream_tbEUlT_E_NS1_11comp_targetILNS1_3genE2ELNS1_11target_archE906ELNS1_3gpuE6ELNS1_3repE0EEENS1_30default_config_static_selectorELNS0_4arch9wavefront6targetE1EEEvSP_, .Lfunc_end465-_ZN7rocprim17ROCPRIM_400000_NS6detail17trampoline_kernelINS0_14default_configENS1_21merge_config_selectorIdNS0_10empty_typeEEEZNS1_10merge_implIS3_N6thrust23THRUST_200600_302600_NS6detail15normal_iteratorINS9_10device_ptrIKdEEEESF_NSB_INSC_IdEEEEPS5_SI_SI_NS9_7greaterIdEEEE10hipError_tPvRmT0_T1_T2_T3_T4_T5_mmT6_P12ihipStream_tbEUlT_E_NS1_11comp_targetILNS1_3genE2ELNS1_11target_archE906ELNS1_3gpuE6ELNS1_3repE0EEENS1_30default_config_static_selectorELNS0_4arch9wavefront6targetE1EEEvSP_
                                        ; -- End function
	.section	.AMDGPU.csdata,"",@progbits
; Kernel info:
; codeLenInByte = 0
; NumSgprs: 4
; NumVgprs: 0
; NumAgprs: 0
; TotalNumVgprs: 0
; ScratchSize: 0
; MemoryBound: 0
; FloatMode: 240
; IeeeMode: 1
; LDSByteSize: 0 bytes/workgroup (compile time only)
; SGPRBlocks: 0
; VGPRBlocks: 0
; NumSGPRsForWavesPerEU: 4
; NumVGPRsForWavesPerEU: 1
; AccumOffset: 4
; Occupancy: 8
; WaveLimiterHint : 0
; COMPUTE_PGM_RSRC2:SCRATCH_EN: 0
; COMPUTE_PGM_RSRC2:USER_SGPR: 6
; COMPUTE_PGM_RSRC2:TRAP_HANDLER: 0
; COMPUTE_PGM_RSRC2:TGID_X_EN: 1
; COMPUTE_PGM_RSRC2:TGID_Y_EN: 0
; COMPUTE_PGM_RSRC2:TGID_Z_EN: 0
; COMPUTE_PGM_RSRC2:TIDIG_COMP_CNT: 0
; COMPUTE_PGM_RSRC3_GFX90A:ACCUM_OFFSET: 0
; COMPUTE_PGM_RSRC3_GFX90A:TG_SPLIT: 0
	.section	.text._ZN7rocprim17ROCPRIM_400000_NS6detail17trampoline_kernelINS0_14default_configENS1_21merge_config_selectorIdNS0_10empty_typeEEEZNS1_10merge_implIS3_N6thrust23THRUST_200600_302600_NS6detail15normal_iteratorINS9_10device_ptrIKdEEEESF_NSB_INSC_IdEEEEPS5_SI_SI_NS9_7greaterIdEEEE10hipError_tPvRmT0_T1_T2_T3_T4_T5_mmT6_P12ihipStream_tbEUlT_E_NS1_11comp_targetILNS1_3genE10ELNS1_11target_archE1201ELNS1_3gpuE5ELNS1_3repE0EEENS1_30default_config_static_selectorELNS0_4arch9wavefront6targetE1EEEvSP_,"axG",@progbits,_ZN7rocprim17ROCPRIM_400000_NS6detail17trampoline_kernelINS0_14default_configENS1_21merge_config_selectorIdNS0_10empty_typeEEEZNS1_10merge_implIS3_N6thrust23THRUST_200600_302600_NS6detail15normal_iteratorINS9_10device_ptrIKdEEEESF_NSB_INSC_IdEEEEPS5_SI_SI_NS9_7greaterIdEEEE10hipError_tPvRmT0_T1_T2_T3_T4_T5_mmT6_P12ihipStream_tbEUlT_E_NS1_11comp_targetILNS1_3genE10ELNS1_11target_archE1201ELNS1_3gpuE5ELNS1_3repE0EEENS1_30default_config_static_selectorELNS0_4arch9wavefront6targetE1EEEvSP_,comdat
	.protected	_ZN7rocprim17ROCPRIM_400000_NS6detail17trampoline_kernelINS0_14default_configENS1_21merge_config_selectorIdNS0_10empty_typeEEEZNS1_10merge_implIS3_N6thrust23THRUST_200600_302600_NS6detail15normal_iteratorINS9_10device_ptrIKdEEEESF_NSB_INSC_IdEEEEPS5_SI_SI_NS9_7greaterIdEEEE10hipError_tPvRmT0_T1_T2_T3_T4_T5_mmT6_P12ihipStream_tbEUlT_E_NS1_11comp_targetILNS1_3genE10ELNS1_11target_archE1201ELNS1_3gpuE5ELNS1_3repE0EEENS1_30default_config_static_selectorELNS0_4arch9wavefront6targetE1EEEvSP_ ; -- Begin function _ZN7rocprim17ROCPRIM_400000_NS6detail17trampoline_kernelINS0_14default_configENS1_21merge_config_selectorIdNS0_10empty_typeEEEZNS1_10merge_implIS3_N6thrust23THRUST_200600_302600_NS6detail15normal_iteratorINS9_10device_ptrIKdEEEESF_NSB_INSC_IdEEEEPS5_SI_SI_NS9_7greaterIdEEEE10hipError_tPvRmT0_T1_T2_T3_T4_T5_mmT6_P12ihipStream_tbEUlT_E_NS1_11comp_targetILNS1_3genE10ELNS1_11target_archE1201ELNS1_3gpuE5ELNS1_3repE0EEENS1_30default_config_static_selectorELNS0_4arch9wavefront6targetE1EEEvSP_
	.globl	_ZN7rocprim17ROCPRIM_400000_NS6detail17trampoline_kernelINS0_14default_configENS1_21merge_config_selectorIdNS0_10empty_typeEEEZNS1_10merge_implIS3_N6thrust23THRUST_200600_302600_NS6detail15normal_iteratorINS9_10device_ptrIKdEEEESF_NSB_INSC_IdEEEEPS5_SI_SI_NS9_7greaterIdEEEE10hipError_tPvRmT0_T1_T2_T3_T4_T5_mmT6_P12ihipStream_tbEUlT_E_NS1_11comp_targetILNS1_3genE10ELNS1_11target_archE1201ELNS1_3gpuE5ELNS1_3repE0EEENS1_30default_config_static_selectorELNS0_4arch9wavefront6targetE1EEEvSP_
	.p2align	8
	.type	_ZN7rocprim17ROCPRIM_400000_NS6detail17trampoline_kernelINS0_14default_configENS1_21merge_config_selectorIdNS0_10empty_typeEEEZNS1_10merge_implIS3_N6thrust23THRUST_200600_302600_NS6detail15normal_iteratorINS9_10device_ptrIKdEEEESF_NSB_INSC_IdEEEEPS5_SI_SI_NS9_7greaterIdEEEE10hipError_tPvRmT0_T1_T2_T3_T4_T5_mmT6_P12ihipStream_tbEUlT_E_NS1_11comp_targetILNS1_3genE10ELNS1_11target_archE1201ELNS1_3gpuE5ELNS1_3repE0EEENS1_30default_config_static_selectorELNS0_4arch9wavefront6targetE1EEEvSP_,@function
_ZN7rocprim17ROCPRIM_400000_NS6detail17trampoline_kernelINS0_14default_configENS1_21merge_config_selectorIdNS0_10empty_typeEEEZNS1_10merge_implIS3_N6thrust23THRUST_200600_302600_NS6detail15normal_iteratorINS9_10device_ptrIKdEEEESF_NSB_INSC_IdEEEEPS5_SI_SI_NS9_7greaterIdEEEE10hipError_tPvRmT0_T1_T2_T3_T4_T5_mmT6_P12ihipStream_tbEUlT_E_NS1_11comp_targetILNS1_3genE10ELNS1_11target_archE1201ELNS1_3gpuE5ELNS1_3repE0EEENS1_30default_config_static_selectorELNS0_4arch9wavefront6targetE1EEEvSP_: ; @_ZN7rocprim17ROCPRIM_400000_NS6detail17trampoline_kernelINS0_14default_configENS1_21merge_config_selectorIdNS0_10empty_typeEEEZNS1_10merge_implIS3_N6thrust23THRUST_200600_302600_NS6detail15normal_iteratorINS9_10device_ptrIKdEEEESF_NSB_INSC_IdEEEEPS5_SI_SI_NS9_7greaterIdEEEE10hipError_tPvRmT0_T1_T2_T3_T4_T5_mmT6_P12ihipStream_tbEUlT_E_NS1_11comp_targetILNS1_3genE10ELNS1_11target_archE1201ELNS1_3gpuE5ELNS1_3repE0EEENS1_30default_config_static_selectorELNS0_4arch9wavefront6targetE1EEEvSP_
; %bb.0:
	.section	.rodata,"a",@progbits
	.p2align	6, 0x0
	.amdhsa_kernel _ZN7rocprim17ROCPRIM_400000_NS6detail17trampoline_kernelINS0_14default_configENS1_21merge_config_selectorIdNS0_10empty_typeEEEZNS1_10merge_implIS3_N6thrust23THRUST_200600_302600_NS6detail15normal_iteratorINS9_10device_ptrIKdEEEESF_NSB_INSC_IdEEEEPS5_SI_SI_NS9_7greaterIdEEEE10hipError_tPvRmT0_T1_T2_T3_T4_T5_mmT6_P12ihipStream_tbEUlT_E_NS1_11comp_targetILNS1_3genE10ELNS1_11target_archE1201ELNS1_3gpuE5ELNS1_3repE0EEENS1_30default_config_static_selectorELNS0_4arch9wavefront6targetE1EEEvSP_
		.amdhsa_group_segment_fixed_size 0
		.amdhsa_private_segment_fixed_size 0
		.amdhsa_kernarg_size 48
		.amdhsa_user_sgpr_count 6
		.amdhsa_user_sgpr_private_segment_buffer 1
		.amdhsa_user_sgpr_dispatch_ptr 0
		.amdhsa_user_sgpr_queue_ptr 0
		.amdhsa_user_sgpr_kernarg_segment_ptr 1
		.amdhsa_user_sgpr_dispatch_id 0
		.amdhsa_user_sgpr_flat_scratch_init 0
		.amdhsa_user_sgpr_kernarg_preload_length 0
		.amdhsa_user_sgpr_kernarg_preload_offset 0
		.amdhsa_user_sgpr_private_segment_size 0
		.amdhsa_uses_dynamic_stack 0
		.amdhsa_system_sgpr_private_segment_wavefront_offset 0
		.amdhsa_system_sgpr_workgroup_id_x 1
		.amdhsa_system_sgpr_workgroup_id_y 0
		.amdhsa_system_sgpr_workgroup_id_z 0
		.amdhsa_system_sgpr_workgroup_info 0
		.amdhsa_system_vgpr_workitem_id 0
		.amdhsa_next_free_vgpr 1
		.amdhsa_next_free_sgpr 0
		.amdhsa_accum_offset 4
		.amdhsa_reserve_vcc 0
		.amdhsa_reserve_flat_scratch 0
		.amdhsa_float_round_mode_32 0
		.amdhsa_float_round_mode_16_64 0
		.amdhsa_float_denorm_mode_32 3
		.amdhsa_float_denorm_mode_16_64 3
		.amdhsa_dx10_clamp 1
		.amdhsa_ieee_mode 1
		.amdhsa_fp16_overflow 0
		.amdhsa_tg_split 0
		.amdhsa_exception_fp_ieee_invalid_op 0
		.amdhsa_exception_fp_denorm_src 0
		.amdhsa_exception_fp_ieee_div_zero 0
		.amdhsa_exception_fp_ieee_overflow 0
		.amdhsa_exception_fp_ieee_underflow 0
		.amdhsa_exception_fp_ieee_inexact 0
		.amdhsa_exception_int_div_zero 0
	.end_amdhsa_kernel
	.section	.text._ZN7rocprim17ROCPRIM_400000_NS6detail17trampoline_kernelINS0_14default_configENS1_21merge_config_selectorIdNS0_10empty_typeEEEZNS1_10merge_implIS3_N6thrust23THRUST_200600_302600_NS6detail15normal_iteratorINS9_10device_ptrIKdEEEESF_NSB_INSC_IdEEEEPS5_SI_SI_NS9_7greaterIdEEEE10hipError_tPvRmT0_T1_T2_T3_T4_T5_mmT6_P12ihipStream_tbEUlT_E_NS1_11comp_targetILNS1_3genE10ELNS1_11target_archE1201ELNS1_3gpuE5ELNS1_3repE0EEENS1_30default_config_static_selectorELNS0_4arch9wavefront6targetE1EEEvSP_,"axG",@progbits,_ZN7rocprim17ROCPRIM_400000_NS6detail17trampoline_kernelINS0_14default_configENS1_21merge_config_selectorIdNS0_10empty_typeEEEZNS1_10merge_implIS3_N6thrust23THRUST_200600_302600_NS6detail15normal_iteratorINS9_10device_ptrIKdEEEESF_NSB_INSC_IdEEEEPS5_SI_SI_NS9_7greaterIdEEEE10hipError_tPvRmT0_T1_T2_T3_T4_T5_mmT6_P12ihipStream_tbEUlT_E_NS1_11comp_targetILNS1_3genE10ELNS1_11target_archE1201ELNS1_3gpuE5ELNS1_3repE0EEENS1_30default_config_static_selectorELNS0_4arch9wavefront6targetE1EEEvSP_,comdat
.Lfunc_end466:
	.size	_ZN7rocprim17ROCPRIM_400000_NS6detail17trampoline_kernelINS0_14default_configENS1_21merge_config_selectorIdNS0_10empty_typeEEEZNS1_10merge_implIS3_N6thrust23THRUST_200600_302600_NS6detail15normal_iteratorINS9_10device_ptrIKdEEEESF_NSB_INSC_IdEEEEPS5_SI_SI_NS9_7greaterIdEEEE10hipError_tPvRmT0_T1_T2_T3_T4_T5_mmT6_P12ihipStream_tbEUlT_E_NS1_11comp_targetILNS1_3genE10ELNS1_11target_archE1201ELNS1_3gpuE5ELNS1_3repE0EEENS1_30default_config_static_selectorELNS0_4arch9wavefront6targetE1EEEvSP_, .Lfunc_end466-_ZN7rocprim17ROCPRIM_400000_NS6detail17trampoline_kernelINS0_14default_configENS1_21merge_config_selectorIdNS0_10empty_typeEEEZNS1_10merge_implIS3_N6thrust23THRUST_200600_302600_NS6detail15normal_iteratorINS9_10device_ptrIKdEEEESF_NSB_INSC_IdEEEEPS5_SI_SI_NS9_7greaterIdEEEE10hipError_tPvRmT0_T1_T2_T3_T4_T5_mmT6_P12ihipStream_tbEUlT_E_NS1_11comp_targetILNS1_3genE10ELNS1_11target_archE1201ELNS1_3gpuE5ELNS1_3repE0EEENS1_30default_config_static_selectorELNS0_4arch9wavefront6targetE1EEEvSP_
                                        ; -- End function
	.section	.AMDGPU.csdata,"",@progbits
; Kernel info:
; codeLenInByte = 0
; NumSgprs: 4
; NumVgprs: 0
; NumAgprs: 0
; TotalNumVgprs: 0
; ScratchSize: 0
; MemoryBound: 0
; FloatMode: 240
; IeeeMode: 1
; LDSByteSize: 0 bytes/workgroup (compile time only)
; SGPRBlocks: 0
; VGPRBlocks: 0
; NumSGPRsForWavesPerEU: 4
; NumVGPRsForWavesPerEU: 1
; AccumOffset: 4
; Occupancy: 8
; WaveLimiterHint : 0
; COMPUTE_PGM_RSRC2:SCRATCH_EN: 0
; COMPUTE_PGM_RSRC2:USER_SGPR: 6
; COMPUTE_PGM_RSRC2:TRAP_HANDLER: 0
; COMPUTE_PGM_RSRC2:TGID_X_EN: 1
; COMPUTE_PGM_RSRC2:TGID_Y_EN: 0
; COMPUTE_PGM_RSRC2:TGID_Z_EN: 0
; COMPUTE_PGM_RSRC2:TIDIG_COMP_CNT: 0
; COMPUTE_PGM_RSRC3_GFX90A:ACCUM_OFFSET: 0
; COMPUTE_PGM_RSRC3_GFX90A:TG_SPLIT: 0
	.section	.text._ZN7rocprim17ROCPRIM_400000_NS6detail17trampoline_kernelINS0_14default_configENS1_21merge_config_selectorIdNS0_10empty_typeEEEZNS1_10merge_implIS3_N6thrust23THRUST_200600_302600_NS6detail15normal_iteratorINS9_10device_ptrIKdEEEESF_NSB_INSC_IdEEEEPS5_SI_SI_NS9_7greaterIdEEEE10hipError_tPvRmT0_T1_T2_T3_T4_T5_mmT6_P12ihipStream_tbEUlT_E_NS1_11comp_targetILNS1_3genE10ELNS1_11target_archE1200ELNS1_3gpuE4ELNS1_3repE0EEENS1_30default_config_static_selectorELNS0_4arch9wavefront6targetE1EEEvSP_,"axG",@progbits,_ZN7rocprim17ROCPRIM_400000_NS6detail17trampoline_kernelINS0_14default_configENS1_21merge_config_selectorIdNS0_10empty_typeEEEZNS1_10merge_implIS3_N6thrust23THRUST_200600_302600_NS6detail15normal_iteratorINS9_10device_ptrIKdEEEESF_NSB_INSC_IdEEEEPS5_SI_SI_NS9_7greaterIdEEEE10hipError_tPvRmT0_T1_T2_T3_T4_T5_mmT6_P12ihipStream_tbEUlT_E_NS1_11comp_targetILNS1_3genE10ELNS1_11target_archE1200ELNS1_3gpuE4ELNS1_3repE0EEENS1_30default_config_static_selectorELNS0_4arch9wavefront6targetE1EEEvSP_,comdat
	.protected	_ZN7rocprim17ROCPRIM_400000_NS6detail17trampoline_kernelINS0_14default_configENS1_21merge_config_selectorIdNS0_10empty_typeEEEZNS1_10merge_implIS3_N6thrust23THRUST_200600_302600_NS6detail15normal_iteratorINS9_10device_ptrIKdEEEESF_NSB_INSC_IdEEEEPS5_SI_SI_NS9_7greaterIdEEEE10hipError_tPvRmT0_T1_T2_T3_T4_T5_mmT6_P12ihipStream_tbEUlT_E_NS1_11comp_targetILNS1_3genE10ELNS1_11target_archE1200ELNS1_3gpuE4ELNS1_3repE0EEENS1_30default_config_static_selectorELNS0_4arch9wavefront6targetE1EEEvSP_ ; -- Begin function _ZN7rocprim17ROCPRIM_400000_NS6detail17trampoline_kernelINS0_14default_configENS1_21merge_config_selectorIdNS0_10empty_typeEEEZNS1_10merge_implIS3_N6thrust23THRUST_200600_302600_NS6detail15normal_iteratorINS9_10device_ptrIKdEEEESF_NSB_INSC_IdEEEEPS5_SI_SI_NS9_7greaterIdEEEE10hipError_tPvRmT0_T1_T2_T3_T4_T5_mmT6_P12ihipStream_tbEUlT_E_NS1_11comp_targetILNS1_3genE10ELNS1_11target_archE1200ELNS1_3gpuE4ELNS1_3repE0EEENS1_30default_config_static_selectorELNS0_4arch9wavefront6targetE1EEEvSP_
	.globl	_ZN7rocprim17ROCPRIM_400000_NS6detail17trampoline_kernelINS0_14default_configENS1_21merge_config_selectorIdNS0_10empty_typeEEEZNS1_10merge_implIS3_N6thrust23THRUST_200600_302600_NS6detail15normal_iteratorINS9_10device_ptrIKdEEEESF_NSB_INSC_IdEEEEPS5_SI_SI_NS9_7greaterIdEEEE10hipError_tPvRmT0_T1_T2_T3_T4_T5_mmT6_P12ihipStream_tbEUlT_E_NS1_11comp_targetILNS1_3genE10ELNS1_11target_archE1200ELNS1_3gpuE4ELNS1_3repE0EEENS1_30default_config_static_selectorELNS0_4arch9wavefront6targetE1EEEvSP_
	.p2align	8
	.type	_ZN7rocprim17ROCPRIM_400000_NS6detail17trampoline_kernelINS0_14default_configENS1_21merge_config_selectorIdNS0_10empty_typeEEEZNS1_10merge_implIS3_N6thrust23THRUST_200600_302600_NS6detail15normal_iteratorINS9_10device_ptrIKdEEEESF_NSB_INSC_IdEEEEPS5_SI_SI_NS9_7greaterIdEEEE10hipError_tPvRmT0_T1_T2_T3_T4_T5_mmT6_P12ihipStream_tbEUlT_E_NS1_11comp_targetILNS1_3genE10ELNS1_11target_archE1200ELNS1_3gpuE4ELNS1_3repE0EEENS1_30default_config_static_selectorELNS0_4arch9wavefront6targetE1EEEvSP_,@function
_ZN7rocprim17ROCPRIM_400000_NS6detail17trampoline_kernelINS0_14default_configENS1_21merge_config_selectorIdNS0_10empty_typeEEEZNS1_10merge_implIS3_N6thrust23THRUST_200600_302600_NS6detail15normal_iteratorINS9_10device_ptrIKdEEEESF_NSB_INSC_IdEEEEPS5_SI_SI_NS9_7greaterIdEEEE10hipError_tPvRmT0_T1_T2_T3_T4_T5_mmT6_P12ihipStream_tbEUlT_E_NS1_11comp_targetILNS1_3genE10ELNS1_11target_archE1200ELNS1_3gpuE4ELNS1_3repE0EEENS1_30default_config_static_selectorELNS0_4arch9wavefront6targetE1EEEvSP_: ; @_ZN7rocprim17ROCPRIM_400000_NS6detail17trampoline_kernelINS0_14default_configENS1_21merge_config_selectorIdNS0_10empty_typeEEEZNS1_10merge_implIS3_N6thrust23THRUST_200600_302600_NS6detail15normal_iteratorINS9_10device_ptrIKdEEEESF_NSB_INSC_IdEEEEPS5_SI_SI_NS9_7greaterIdEEEE10hipError_tPvRmT0_T1_T2_T3_T4_T5_mmT6_P12ihipStream_tbEUlT_E_NS1_11comp_targetILNS1_3genE10ELNS1_11target_archE1200ELNS1_3gpuE4ELNS1_3repE0EEENS1_30default_config_static_selectorELNS0_4arch9wavefront6targetE1EEEvSP_
; %bb.0:
	.section	.rodata,"a",@progbits
	.p2align	6, 0x0
	.amdhsa_kernel _ZN7rocprim17ROCPRIM_400000_NS6detail17trampoline_kernelINS0_14default_configENS1_21merge_config_selectorIdNS0_10empty_typeEEEZNS1_10merge_implIS3_N6thrust23THRUST_200600_302600_NS6detail15normal_iteratorINS9_10device_ptrIKdEEEESF_NSB_INSC_IdEEEEPS5_SI_SI_NS9_7greaterIdEEEE10hipError_tPvRmT0_T1_T2_T3_T4_T5_mmT6_P12ihipStream_tbEUlT_E_NS1_11comp_targetILNS1_3genE10ELNS1_11target_archE1200ELNS1_3gpuE4ELNS1_3repE0EEENS1_30default_config_static_selectorELNS0_4arch9wavefront6targetE1EEEvSP_
		.amdhsa_group_segment_fixed_size 0
		.amdhsa_private_segment_fixed_size 0
		.amdhsa_kernarg_size 48
		.amdhsa_user_sgpr_count 6
		.amdhsa_user_sgpr_private_segment_buffer 1
		.amdhsa_user_sgpr_dispatch_ptr 0
		.amdhsa_user_sgpr_queue_ptr 0
		.amdhsa_user_sgpr_kernarg_segment_ptr 1
		.amdhsa_user_sgpr_dispatch_id 0
		.amdhsa_user_sgpr_flat_scratch_init 0
		.amdhsa_user_sgpr_kernarg_preload_length 0
		.amdhsa_user_sgpr_kernarg_preload_offset 0
		.amdhsa_user_sgpr_private_segment_size 0
		.amdhsa_uses_dynamic_stack 0
		.amdhsa_system_sgpr_private_segment_wavefront_offset 0
		.amdhsa_system_sgpr_workgroup_id_x 1
		.amdhsa_system_sgpr_workgroup_id_y 0
		.amdhsa_system_sgpr_workgroup_id_z 0
		.amdhsa_system_sgpr_workgroup_info 0
		.amdhsa_system_vgpr_workitem_id 0
		.amdhsa_next_free_vgpr 1
		.amdhsa_next_free_sgpr 0
		.amdhsa_accum_offset 4
		.amdhsa_reserve_vcc 0
		.amdhsa_reserve_flat_scratch 0
		.amdhsa_float_round_mode_32 0
		.amdhsa_float_round_mode_16_64 0
		.amdhsa_float_denorm_mode_32 3
		.amdhsa_float_denorm_mode_16_64 3
		.amdhsa_dx10_clamp 1
		.amdhsa_ieee_mode 1
		.amdhsa_fp16_overflow 0
		.amdhsa_tg_split 0
		.amdhsa_exception_fp_ieee_invalid_op 0
		.amdhsa_exception_fp_denorm_src 0
		.amdhsa_exception_fp_ieee_div_zero 0
		.amdhsa_exception_fp_ieee_overflow 0
		.amdhsa_exception_fp_ieee_underflow 0
		.amdhsa_exception_fp_ieee_inexact 0
		.amdhsa_exception_int_div_zero 0
	.end_amdhsa_kernel
	.section	.text._ZN7rocprim17ROCPRIM_400000_NS6detail17trampoline_kernelINS0_14default_configENS1_21merge_config_selectorIdNS0_10empty_typeEEEZNS1_10merge_implIS3_N6thrust23THRUST_200600_302600_NS6detail15normal_iteratorINS9_10device_ptrIKdEEEESF_NSB_INSC_IdEEEEPS5_SI_SI_NS9_7greaterIdEEEE10hipError_tPvRmT0_T1_T2_T3_T4_T5_mmT6_P12ihipStream_tbEUlT_E_NS1_11comp_targetILNS1_3genE10ELNS1_11target_archE1200ELNS1_3gpuE4ELNS1_3repE0EEENS1_30default_config_static_selectorELNS0_4arch9wavefront6targetE1EEEvSP_,"axG",@progbits,_ZN7rocprim17ROCPRIM_400000_NS6detail17trampoline_kernelINS0_14default_configENS1_21merge_config_selectorIdNS0_10empty_typeEEEZNS1_10merge_implIS3_N6thrust23THRUST_200600_302600_NS6detail15normal_iteratorINS9_10device_ptrIKdEEEESF_NSB_INSC_IdEEEEPS5_SI_SI_NS9_7greaterIdEEEE10hipError_tPvRmT0_T1_T2_T3_T4_T5_mmT6_P12ihipStream_tbEUlT_E_NS1_11comp_targetILNS1_3genE10ELNS1_11target_archE1200ELNS1_3gpuE4ELNS1_3repE0EEENS1_30default_config_static_selectorELNS0_4arch9wavefront6targetE1EEEvSP_,comdat
.Lfunc_end467:
	.size	_ZN7rocprim17ROCPRIM_400000_NS6detail17trampoline_kernelINS0_14default_configENS1_21merge_config_selectorIdNS0_10empty_typeEEEZNS1_10merge_implIS3_N6thrust23THRUST_200600_302600_NS6detail15normal_iteratorINS9_10device_ptrIKdEEEESF_NSB_INSC_IdEEEEPS5_SI_SI_NS9_7greaterIdEEEE10hipError_tPvRmT0_T1_T2_T3_T4_T5_mmT6_P12ihipStream_tbEUlT_E_NS1_11comp_targetILNS1_3genE10ELNS1_11target_archE1200ELNS1_3gpuE4ELNS1_3repE0EEENS1_30default_config_static_selectorELNS0_4arch9wavefront6targetE1EEEvSP_, .Lfunc_end467-_ZN7rocprim17ROCPRIM_400000_NS6detail17trampoline_kernelINS0_14default_configENS1_21merge_config_selectorIdNS0_10empty_typeEEEZNS1_10merge_implIS3_N6thrust23THRUST_200600_302600_NS6detail15normal_iteratorINS9_10device_ptrIKdEEEESF_NSB_INSC_IdEEEEPS5_SI_SI_NS9_7greaterIdEEEE10hipError_tPvRmT0_T1_T2_T3_T4_T5_mmT6_P12ihipStream_tbEUlT_E_NS1_11comp_targetILNS1_3genE10ELNS1_11target_archE1200ELNS1_3gpuE4ELNS1_3repE0EEENS1_30default_config_static_selectorELNS0_4arch9wavefront6targetE1EEEvSP_
                                        ; -- End function
	.section	.AMDGPU.csdata,"",@progbits
; Kernel info:
; codeLenInByte = 0
; NumSgprs: 4
; NumVgprs: 0
; NumAgprs: 0
; TotalNumVgprs: 0
; ScratchSize: 0
; MemoryBound: 0
; FloatMode: 240
; IeeeMode: 1
; LDSByteSize: 0 bytes/workgroup (compile time only)
; SGPRBlocks: 0
; VGPRBlocks: 0
; NumSGPRsForWavesPerEU: 4
; NumVGPRsForWavesPerEU: 1
; AccumOffset: 4
; Occupancy: 8
; WaveLimiterHint : 0
; COMPUTE_PGM_RSRC2:SCRATCH_EN: 0
; COMPUTE_PGM_RSRC2:USER_SGPR: 6
; COMPUTE_PGM_RSRC2:TRAP_HANDLER: 0
; COMPUTE_PGM_RSRC2:TGID_X_EN: 1
; COMPUTE_PGM_RSRC2:TGID_Y_EN: 0
; COMPUTE_PGM_RSRC2:TGID_Z_EN: 0
; COMPUTE_PGM_RSRC2:TIDIG_COMP_CNT: 0
; COMPUTE_PGM_RSRC3_GFX90A:ACCUM_OFFSET: 0
; COMPUTE_PGM_RSRC3_GFX90A:TG_SPLIT: 0
	.section	.text._ZN7rocprim17ROCPRIM_400000_NS6detail17trampoline_kernelINS0_14default_configENS1_21merge_config_selectorIdNS0_10empty_typeEEEZNS1_10merge_implIS3_N6thrust23THRUST_200600_302600_NS6detail15normal_iteratorINS9_10device_ptrIKdEEEESF_NSB_INSC_IdEEEEPS5_SI_SI_NS9_7greaterIdEEEE10hipError_tPvRmT0_T1_T2_T3_T4_T5_mmT6_P12ihipStream_tbEUlT_E_NS1_11comp_targetILNS1_3genE9ELNS1_11target_archE1100ELNS1_3gpuE3ELNS1_3repE0EEENS1_30default_config_static_selectorELNS0_4arch9wavefront6targetE1EEEvSP_,"axG",@progbits,_ZN7rocprim17ROCPRIM_400000_NS6detail17trampoline_kernelINS0_14default_configENS1_21merge_config_selectorIdNS0_10empty_typeEEEZNS1_10merge_implIS3_N6thrust23THRUST_200600_302600_NS6detail15normal_iteratorINS9_10device_ptrIKdEEEESF_NSB_INSC_IdEEEEPS5_SI_SI_NS9_7greaterIdEEEE10hipError_tPvRmT0_T1_T2_T3_T4_T5_mmT6_P12ihipStream_tbEUlT_E_NS1_11comp_targetILNS1_3genE9ELNS1_11target_archE1100ELNS1_3gpuE3ELNS1_3repE0EEENS1_30default_config_static_selectorELNS0_4arch9wavefront6targetE1EEEvSP_,comdat
	.protected	_ZN7rocprim17ROCPRIM_400000_NS6detail17trampoline_kernelINS0_14default_configENS1_21merge_config_selectorIdNS0_10empty_typeEEEZNS1_10merge_implIS3_N6thrust23THRUST_200600_302600_NS6detail15normal_iteratorINS9_10device_ptrIKdEEEESF_NSB_INSC_IdEEEEPS5_SI_SI_NS9_7greaterIdEEEE10hipError_tPvRmT0_T1_T2_T3_T4_T5_mmT6_P12ihipStream_tbEUlT_E_NS1_11comp_targetILNS1_3genE9ELNS1_11target_archE1100ELNS1_3gpuE3ELNS1_3repE0EEENS1_30default_config_static_selectorELNS0_4arch9wavefront6targetE1EEEvSP_ ; -- Begin function _ZN7rocprim17ROCPRIM_400000_NS6detail17trampoline_kernelINS0_14default_configENS1_21merge_config_selectorIdNS0_10empty_typeEEEZNS1_10merge_implIS3_N6thrust23THRUST_200600_302600_NS6detail15normal_iteratorINS9_10device_ptrIKdEEEESF_NSB_INSC_IdEEEEPS5_SI_SI_NS9_7greaterIdEEEE10hipError_tPvRmT0_T1_T2_T3_T4_T5_mmT6_P12ihipStream_tbEUlT_E_NS1_11comp_targetILNS1_3genE9ELNS1_11target_archE1100ELNS1_3gpuE3ELNS1_3repE0EEENS1_30default_config_static_selectorELNS0_4arch9wavefront6targetE1EEEvSP_
	.globl	_ZN7rocprim17ROCPRIM_400000_NS6detail17trampoline_kernelINS0_14default_configENS1_21merge_config_selectorIdNS0_10empty_typeEEEZNS1_10merge_implIS3_N6thrust23THRUST_200600_302600_NS6detail15normal_iteratorINS9_10device_ptrIKdEEEESF_NSB_INSC_IdEEEEPS5_SI_SI_NS9_7greaterIdEEEE10hipError_tPvRmT0_T1_T2_T3_T4_T5_mmT6_P12ihipStream_tbEUlT_E_NS1_11comp_targetILNS1_3genE9ELNS1_11target_archE1100ELNS1_3gpuE3ELNS1_3repE0EEENS1_30default_config_static_selectorELNS0_4arch9wavefront6targetE1EEEvSP_
	.p2align	8
	.type	_ZN7rocprim17ROCPRIM_400000_NS6detail17trampoline_kernelINS0_14default_configENS1_21merge_config_selectorIdNS0_10empty_typeEEEZNS1_10merge_implIS3_N6thrust23THRUST_200600_302600_NS6detail15normal_iteratorINS9_10device_ptrIKdEEEESF_NSB_INSC_IdEEEEPS5_SI_SI_NS9_7greaterIdEEEE10hipError_tPvRmT0_T1_T2_T3_T4_T5_mmT6_P12ihipStream_tbEUlT_E_NS1_11comp_targetILNS1_3genE9ELNS1_11target_archE1100ELNS1_3gpuE3ELNS1_3repE0EEENS1_30default_config_static_selectorELNS0_4arch9wavefront6targetE1EEEvSP_,@function
_ZN7rocprim17ROCPRIM_400000_NS6detail17trampoline_kernelINS0_14default_configENS1_21merge_config_selectorIdNS0_10empty_typeEEEZNS1_10merge_implIS3_N6thrust23THRUST_200600_302600_NS6detail15normal_iteratorINS9_10device_ptrIKdEEEESF_NSB_INSC_IdEEEEPS5_SI_SI_NS9_7greaterIdEEEE10hipError_tPvRmT0_T1_T2_T3_T4_T5_mmT6_P12ihipStream_tbEUlT_E_NS1_11comp_targetILNS1_3genE9ELNS1_11target_archE1100ELNS1_3gpuE3ELNS1_3repE0EEENS1_30default_config_static_selectorELNS0_4arch9wavefront6targetE1EEEvSP_: ; @_ZN7rocprim17ROCPRIM_400000_NS6detail17trampoline_kernelINS0_14default_configENS1_21merge_config_selectorIdNS0_10empty_typeEEEZNS1_10merge_implIS3_N6thrust23THRUST_200600_302600_NS6detail15normal_iteratorINS9_10device_ptrIKdEEEESF_NSB_INSC_IdEEEEPS5_SI_SI_NS9_7greaterIdEEEE10hipError_tPvRmT0_T1_T2_T3_T4_T5_mmT6_P12ihipStream_tbEUlT_E_NS1_11comp_targetILNS1_3genE9ELNS1_11target_archE1100ELNS1_3gpuE3ELNS1_3repE0EEENS1_30default_config_static_selectorELNS0_4arch9wavefront6targetE1EEEvSP_
; %bb.0:
	.section	.rodata,"a",@progbits
	.p2align	6, 0x0
	.amdhsa_kernel _ZN7rocprim17ROCPRIM_400000_NS6detail17trampoline_kernelINS0_14default_configENS1_21merge_config_selectorIdNS0_10empty_typeEEEZNS1_10merge_implIS3_N6thrust23THRUST_200600_302600_NS6detail15normal_iteratorINS9_10device_ptrIKdEEEESF_NSB_INSC_IdEEEEPS5_SI_SI_NS9_7greaterIdEEEE10hipError_tPvRmT0_T1_T2_T3_T4_T5_mmT6_P12ihipStream_tbEUlT_E_NS1_11comp_targetILNS1_3genE9ELNS1_11target_archE1100ELNS1_3gpuE3ELNS1_3repE0EEENS1_30default_config_static_selectorELNS0_4arch9wavefront6targetE1EEEvSP_
		.amdhsa_group_segment_fixed_size 0
		.amdhsa_private_segment_fixed_size 0
		.amdhsa_kernarg_size 48
		.amdhsa_user_sgpr_count 6
		.amdhsa_user_sgpr_private_segment_buffer 1
		.amdhsa_user_sgpr_dispatch_ptr 0
		.amdhsa_user_sgpr_queue_ptr 0
		.amdhsa_user_sgpr_kernarg_segment_ptr 1
		.amdhsa_user_sgpr_dispatch_id 0
		.amdhsa_user_sgpr_flat_scratch_init 0
		.amdhsa_user_sgpr_kernarg_preload_length 0
		.amdhsa_user_sgpr_kernarg_preload_offset 0
		.amdhsa_user_sgpr_private_segment_size 0
		.amdhsa_uses_dynamic_stack 0
		.amdhsa_system_sgpr_private_segment_wavefront_offset 0
		.amdhsa_system_sgpr_workgroup_id_x 1
		.amdhsa_system_sgpr_workgroup_id_y 0
		.amdhsa_system_sgpr_workgroup_id_z 0
		.amdhsa_system_sgpr_workgroup_info 0
		.amdhsa_system_vgpr_workitem_id 0
		.amdhsa_next_free_vgpr 1
		.amdhsa_next_free_sgpr 0
		.amdhsa_accum_offset 4
		.amdhsa_reserve_vcc 0
		.amdhsa_reserve_flat_scratch 0
		.amdhsa_float_round_mode_32 0
		.amdhsa_float_round_mode_16_64 0
		.amdhsa_float_denorm_mode_32 3
		.amdhsa_float_denorm_mode_16_64 3
		.amdhsa_dx10_clamp 1
		.amdhsa_ieee_mode 1
		.amdhsa_fp16_overflow 0
		.amdhsa_tg_split 0
		.amdhsa_exception_fp_ieee_invalid_op 0
		.amdhsa_exception_fp_denorm_src 0
		.amdhsa_exception_fp_ieee_div_zero 0
		.amdhsa_exception_fp_ieee_overflow 0
		.amdhsa_exception_fp_ieee_underflow 0
		.amdhsa_exception_fp_ieee_inexact 0
		.amdhsa_exception_int_div_zero 0
	.end_amdhsa_kernel
	.section	.text._ZN7rocprim17ROCPRIM_400000_NS6detail17trampoline_kernelINS0_14default_configENS1_21merge_config_selectorIdNS0_10empty_typeEEEZNS1_10merge_implIS3_N6thrust23THRUST_200600_302600_NS6detail15normal_iteratorINS9_10device_ptrIKdEEEESF_NSB_INSC_IdEEEEPS5_SI_SI_NS9_7greaterIdEEEE10hipError_tPvRmT0_T1_T2_T3_T4_T5_mmT6_P12ihipStream_tbEUlT_E_NS1_11comp_targetILNS1_3genE9ELNS1_11target_archE1100ELNS1_3gpuE3ELNS1_3repE0EEENS1_30default_config_static_selectorELNS0_4arch9wavefront6targetE1EEEvSP_,"axG",@progbits,_ZN7rocprim17ROCPRIM_400000_NS6detail17trampoline_kernelINS0_14default_configENS1_21merge_config_selectorIdNS0_10empty_typeEEEZNS1_10merge_implIS3_N6thrust23THRUST_200600_302600_NS6detail15normal_iteratorINS9_10device_ptrIKdEEEESF_NSB_INSC_IdEEEEPS5_SI_SI_NS9_7greaterIdEEEE10hipError_tPvRmT0_T1_T2_T3_T4_T5_mmT6_P12ihipStream_tbEUlT_E_NS1_11comp_targetILNS1_3genE9ELNS1_11target_archE1100ELNS1_3gpuE3ELNS1_3repE0EEENS1_30default_config_static_selectorELNS0_4arch9wavefront6targetE1EEEvSP_,comdat
.Lfunc_end468:
	.size	_ZN7rocprim17ROCPRIM_400000_NS6detail17trampoline_kernelINS0_14default_configENS1_21merge_config_selectorIdNS0_10empty_typeEEEZNS1_10merge_implIS3_N6thrust23THRUST_200600_302600_NS6detail15normal_iteratorINS9_10device_ptrIKdEEEESF_NSB_INSC_IdEEEEPS5_SI_SI_NS9_7greaterIdEEEE10hipError_tPvRmT0_T1_T2_T3_T4_T5_mmT6_P12ihipStream_tbEUlT_E_NS1_11comp_targetILNS1_3genE9ELNS1_11target_archE1100ELNS1_3gpuE3ELNS1_3repE0EEENS1_30default_config_static_selectorELNS0_4arch9wavefront6targetE1EEEvSP_, .Lfunc_end468-_ZN7rocprim17ROCPRIM_400000_NS6detail17trampoline_kernelINS0_14default_configENS1_21merge_config_selectorIdNS0_10empty_typeEEEZNS1_10merge_implIS3_N6thrust23THRUST_200600_302600_NS6detail15normal_iteratorINS9_10device_ptrIKdEEEESF_NSB_INSC_IdEEEEPS5_SI_SI_NS9_7greaterIdEEEE10hipError_tPvRmT0_T1_T2_T3_T4_T5_mmT6_P12ihipStream_tbEUlT_E_NS1_11comp_targetILNS1_3genE9ELNS1_11target_archE1100ELNS1_3gpuE3ELNS1_3repE0EEENS1_30default_config_static_selectorELNS0_4arch9wavefront6targetE1EEEvSP_
                                        ; -- End function
	.section	.AMDGPU.csdata,"",@progbits
; Kernel info:
; codeLenInByte = 0
; NumSgprs: 4
; NumVgprs: 0
; NumAgprs: 0
; TotalNumVgprs: 0
; ScratchSize: 0
; MemoryBound: 0
; FloatMode: 240
; IeeeMode: 1
; LDSByteSize: 0 bytes/workgroup (compile time only)
; SGPRBlocks: 0
; VGPRBlocks: 0
; NumSGPRsForWavesPerEU: 4
; NumVGPRsForWavesPerEU: 1
; AccumOffset: 4
; Occupancy: 8
; WaveLimiterHint : 0
; COMPUTE_PGM_RSRC2:SCRATCH_EN: 0
; COMPUTE_PGM_RSRC2:USER_SGPR: 6
; COMPUTE_PGM_RSRC2:TRAP_HANDLER: 0
; COMPUTE_PGM_RSRC2:TGID_X_EN: 1
; COMPUTE_PGM_RSRC2:TGID_Y_EN: 0
; COMPUTE_PGM_RSRC2:TGID_Z_EN: 0
; COMPUTE_PGM_RSRC2:TIDIG_COMP_CNT: 0
; COMPUTE_PGM_RSRC3_GFX90A:ACCUM_OFFSET: 0
; COMPUTE_PGM_RSRC3_GFX90A:TG_SPLIT: 0
	.section	.text._ZN7rocprim17ROCPRIM_400000_NS6detail17trampoline_kernelINS0_14default_configENS1_21merge_config_selectorIdNS0_10empty_typeEEEZNS1_10merge_implIS3_N6thrust23THRUST_200600_302600_NS6detail15normal_iteratorINS9_10device_ptrIKdEEEESF_NSB_INSC_IdEEEEPS5_SI_SI_NS9_7greaterIdEEEE10hipError_tPvRmT0_T1_T2_T3_T4_T5_mmT6_P12ihipStream_tbEUlT_E_NS1_11comp_targetILNS1_3genE8ELNS1_11target_archE1030ELNS1_3gpuE2ELNS1_3repE0EEENS1_30default_config_static_selectorELNS0_4arch9wavefront6targetE1EEEvSP_,"axG",@progbits,_ZN7rocprim17ROCPRIM_400000_NS6detail17trampoline_kernelINS0_14default_configENS1_21merge_config_selectorIdNS0_10empty_typeEEEZNS1_10merge_implIS3_N6thrust23THRUST_200600_302600_NS6detail15normal_iteratorINS9_10device_ptrIKdEEEESF_NSB_INSC_IdEEEEPS5_SI_SI_NS9_7greaterIdEEEE10hipError_tPvRmT0_T1_T2_T3_T4_T5_mmT6_P12ihipStream_tbEUlT_E_NS1_11comp_targetILNS1_3genE8ELNS1_11target_archE1030ELNS1_3gpuE2ELNS1_3repE0EEENS1_30default_config_static_selectorELNS0_4arch9wavefront6targetE1EEEvSP_,comdat
	.protected	_ZN7rocprim17ROCPRIM_400000_NS6detail17trampoline_kernelINS0_14default_configENS1_21merge_config_selectorIdNS0_10empty_typeEEEZNS1_10merge_implIS3_N6thrust23THRUST_200600_302600_NS6detail15normal_iteratorINS9_10device_ptrIKdEEEESF_NSB_INSC_IdEEEEPS5_SI_SI_NS9_7greaterIdEEEE10hipError_tPvRmT0_T1_T2_T3_T4_T5_mmT6_P12ihipStream_tbEUlT_E_NS1_11comp_targetILNS1_3genE8ELNS1_11target_archE1030ELNS1_3gpuE2ELNS1_3repE0EEENS1_30default_config_static_selectorELNS0_4arch9wavefront6targetE1EEEvSP_ ; -- Begin function _ZN7rocprim17ROCPRIM_400000_NS6detail17trampoline_kernelINS0_14default_configENS1_21merge_config_selectorIdNS0_10empty_typeEEEZNS1_10merge_implIS3_N6thrust23THRUST_200600_302600_NS6detail15normal_iteratorINS9_10device_ptrIKdEEEESF_NSB_INSC_IdEEEEPS5_SI_SI_NS9_7greaterIdEEEE10hipError_tPvRmT0_T1_T2_T3_T4_T5_mmT6_P12ihipStream_tbEUlT_E_NS1_11comp_targetILNS1_3genE8ELNS1_11target_archE1030ELNS1_3gpuE2ELNS1_3repE0EEENS1_30default_config_static_selectorELNS0_4arch9wavefront6targetE1EEEvSP_
	.globl	_ZN7rocprim17ROCPRIM_400000_NS6detail17trampoline_kernelINS0_14default_configENS1_21merge_config_selectorIdNS0_10empty_typeEEEZNS1_10merge_implIS3_N6thrust23THRUST_200600_302600_NS6detail15normal_iteratorINS9_10device_ptrIKdEEEESF_NSB_INSC_IdEEEEPS5_SI_SI_NS9_7greaterIdEEEE10hipError_tPvRmT0_T1_T2_T3_T4_T5_mmT6_P12ihipStream_tbEUlT_E_NS1_11comp_targetILNS1_3genE8ELNS1_11target_archE1030ELNS1_3gpuE2ELNS1_3repE0EEENS1_30default_config_static_selectorELNS0_4arch9wavefront6targetE1EEEvSP_
	.p2align	8
	.type	_ZN7rocprim17ROCPRIM_400000_NS6detail17trampoline_kernelINS0_14default_configENS1_21merge_config_selectorIdNS0_10empty_typeEEEZNS1_10merge_implIS3_N6thrust23THRUST_200600_302600_NS6detail15normal_iteratorINS9_10device_ptrIKdEEEESF_NSB_INSC_IdEEEEPS5_SI_SI_NS9_7greaterIdEEEE10hipError_tPvRmT0_T1_T2_T3_T4_T5_mmT6_P12ihipStream_tbEUlT_E_NS1_11comp_targetILNS1_3genE8ELNS1_11target_archE1030ELNS1_3gpuE2ELNS1_3repE0EEENS1_30default_config_static_selectorELNS0_4arch9wavefront6targetE1EEEvSP_,@function
_ZN7rocprim17ROCPRIM_400000_NS6detail17trampoline_kernelINS0_14default_configENS1_21merge_config_selectorIdNS0_10empty_typeEEEZNS1_10merge_implIS3_N6thrust23THRUST_200600_302600_NS6detail15normal_iteratorINS9_10device_ptrIKdEEEESF_NSB_INSC_IdEEEEPS5_SI_SI_NS9_7greaterIdEEEE10hipError_tPvRmT0_T1_T2_T3_T4_T5_mmT6_P12ihipStream_tbEUlT_E_NS1_11comp_targetILNS1_3genE8ELNS1_11target_archE1030ELNS1_3gpuE2ELNS1_3repE0EEENS1_30default_config_static_selectorELNS0_4arch9wavefront6targetE1EEEvSP_: ; @_ZN7rocprim17ROCPRIM_400000_NS6detail17trampoline_kernelINS0_14default_configENS1_21merge_config_selectorIdNS0_10empty_typeEEEZNS1_10merge_implIS3_N6thrust23THRUST_200600_302600_NS6detail15normal_iteratorINS9_10device_ptrIKdEEEESF_NSB_INSC_IdEEEEPS5_SI_SI_NS9_7greaterIdEEEE10hipError_tPvRmT0_T1_T2_T3_T4_T5_mmT6_P12ihipStream_tbEUlT_E_NS1_11comp_targetILNS1_3genE8ELNS1_11target_archE1030ELNS1_3gpuE2ELNS1_3repE0EEENS1_30default_config_static_selectorELNS0_4arch9wavefront6targetE1EEEvSP_
; %bb.0:
	.section	.rodata,"a",@progbits
	.p2align	6, 0x0
	.amdhsa_kernel _ZN7rocprim17ROCPRIM_400000_NS6detail17trampoline_kernelINS0_14default_configENS1_21merge_config_selectorIdNS0_10empty_typeEEEZNS1_10merge_implIS3_N6thrust23THRUST_200600_302600_NS6detail15normal_iteratorINS9_10device_ptrIKdEEEESF_NSB_INSC_IdEEEEPS5_SI_SI_NS9_7greaterIdEEEE10hipError_tPvRmT0_T1_T2_T3_T4_T5_mmT6_P12ihipStream_tbEUlT_E_NS1_11comp_targetILNS1_3genE8ELNS1_11target_archE1030ELNS1_3gpuE2ELNS1_3repE0EEENS1_30default_config_static_selectorELNS0_4arch9wavefront6targetE1EEEvSP_
		.amdhsa_group_segment_fixed_size 0
		.amdhsa_private_segment_fixed_size 0
		.amdhsa_kernarg_size 48
		.amdhsa_user_sgpr_count 6
		.amdhsa_user_sgpr_private_segment_buffer 1
		.amdhsa_user_sgpr_dispatch_ptr 0
		.amdhsa_user_sgpr_queue_ptr 0
		.amdhsa_user_sgpr_kernarg_segment_ptr 1
		.amdhsa_user_sgpr_dispatch_id 0
		.amdhsa_user_sgpr_flat_scratch_init 0
		.amdhsa_user_sgpr_kernarg_preload_length 0
		.amdhsa_user_sgpr_kernarg_preload_offset 0
		.amdhsa_user_sgpr_private_segment_size 0
		.amdhsa_uses_dynamic_stack 0
		.amdhsa_system_sgpr_private_segment_wavefront_offset 0
		.amdhsa_system_sgpr_workgroup_id_x 1
		.amdhsa_system_sgpr_workgroup_id_y 0
		.amdhsa_system_sgpr_workgroup_id_z 0
		.amdhsa_system_sgpr_workgroup_info 0
		.amdhsa_system_vgpr_workitem_id 0
		.amdhsa_next_free_vgpr 1
		.amdhsa_next_free_sgpr 0
		.amdhsa_accum_offset 4
		.amdhsa_reserve_vcc 0
		.amdhsa_reserve_flat_scratch 0
		.amdhsa_float_round_mode_32 0
		.amdhsa_float_round_mode_16_64 0
		.amdhsa_float_denorm_mode_32 3
		.amdhsa_float_denorm_mode_16_64 3
		.amdhsa_dx10_clamp 1
		.amdhsa_ieee_mode 1
		.amdhsa_fp16_overflow 0
		.amdhsa_tg_split 0
		.amdhsa_exception_fp_ieee_invalid_op 0
		.amdhsa_exception_fp_denorm_src 0
		.amdhsa_exception_fp_ieee_div_zero 0
		.amdhsa_exception_fp_ieee_overflow 0
		.amdhsa_exception_fp_ieee_underflow 0
		.amdhsa_exception_fp_ieee_inexact 0
		.amdhsa_exception_int_div_zero 0
	.end_amdhsa_kernel
	.section	.text._ZN7rocprim17ROCPRIM_400000_NS6detail17trampoline_kernelINS0_14default_configENS1_21merge_config_selectorIdNS0_10empty_typeEEEZNS1_10merge_implIS3_N6thrust23THRUST_200600_302600_NS6detail15normal_iteratorINS9_10device_ptrIKdEEEESF_NSB_INSC_IdEEEEPS5_SI_SI_NS9_7greaterIdEEEE10hipError_tPvRmT0_T1_T2_T3_T4_T5_mmT6_P12ihipStream_tbEUlT_E_NS1_11comp_targetILNS1_3genE8ELNS1_11target_archE1030ELNS1_3gpuE2ELNS1_3repE0EEENS1_30default_config_static_selectorELNS0_4arch9wavefront6targetE1EEEvSP_,"axG",@progbits,_ZN7rocprim17ROCPRIM_400000_NS6detail17trampoline_kernelINS0_14default_configENS1_21merge_config_selectorIdNS0_10empty_typeEEEZNS1_10merge_implIS3_N6thrust23THRUST_200600_302600_NS6detail15normal_iteratorINS9_10device_ptrIKdEEEESF_NSB_INSC_IdEEEEPS5_SI_SI_NS9_7greaterIdEEEE10hipError_tPvRmT0_T1_T2_T3_T4_T5_mmT6_P12ihipStream_tbEUlT_E_NS1_11comp_targetILNS1_3genE8ELNS1_11target_archE1030ELNS1_3gpuE2ELNS1_3repE0EEENS1_30default_config_static_selectorELNS0_4arch9wavefront6targetE1EEEvSP_,comdat
.Lfunc_end469:
	.size	_ZN7rocprim17ROCPRIM_400000_NS6detail17trampoline_kernelINS0_14default_configENS1_21merge_config_selectorIdNS0_10empty_typeEEEZNS1_10merge_implIS3_N6thrust23THRUST_200600_302600_NS6detail15normal_iteratorINS9_10device_ptrIKdEEEESF_NSB_INSC_IdEEEEPS5_SI_SI_NS9_7greaterIdEEEE10hipError_tPvRmT0_T1_T2_T3_T4_T5_mmT6_P12ihipStream_tbEUlT_E_NS1_11comp_targetILNS1_3genE8ELNS1_11target_archE1030ELNS1_3gpuE2ELNS1_3repE0EEENS1_30default_config_static_selectorELNS0_4arch9wavefront6targetE1EEEvSP_, .Lfunc_end469-_ZN7rocprim17ROCPRIM_400000_NS6detail17trampoline_kernelINS0_14default_configENS1_21merge_config_selectorIdNS0_10empty_typeEEEZNS1_10merge_implIS3_N6thrust23THRUST_200600_302600_NS6detail15normal_iteratorINS9_10device_ptrIKdEEEESF_NSB_INSC_IdEEEEPS5_SI_SI_NS9_7greaterIdEEEE10hipError_tPvRmT0_T1_T2_T3_T4_T5_mmT6_P12ihipStream_tbEUlT_E_NS1_11comp_targetILNS1_3genE8ELNS1_11target_archE1030ELNS1_3gpuE2ELNS1_3repE0EEENS1_30default_config_static_selectorELNS0_4arch9wavefront6targetE1EEEvSP_
                                        ; -- End function
	.section	.AMDGPU.csdata,"",@progbits
; Kernel info:
; codeLenInByte = 0
; NumSgprs: 4
; NumVgprs: 0
; NumAgprs: 0
; TotalNumVgprs: 0
; ScratchSize: 0
; MemoryBound: 0
; FloatMode: 240
; IeeeMode: 1
; LDSByteSize: 0 bytes/workgroup (compile time only)
; SGPRBlocks: 0
; VGPRBlocks: 0
; NumSGPRsForWavesPerEU: 4
; NumVGPRsForWavesPerEU: 1
; AccumOffset: 4
; Occupancy: 8
; WaveLimiterHint : 0
; COMPUTE_PGM_RSRC2:SCRATCH_EN: 0
; COMPUTE_PGM_RSRC2:USER_SGPR: 6
; COMPUTE_PGM_RSRC2:TRAP_HANDLER: 0
; COMPUTE_PGM_RSRC2:TGID_X_EN: 1
; COMPUTE_PGM_RSRC2:TGID_Y_EN: 0
; COMPUTE_PGM_RSRC2:TGID_Z_EN: 0
; COMPUTE_PGM_RSRC2:TIDIG_COMP_CNT: 0
; COMPUTE_PGM_RSRC3_GFX90A:ACCUM_OFFSET: 0
; COMPUTE_PGM_RSRC3_GFX90A:TG_SPLIT: 0
	.section	.text._ZN7rocprim17ROCPRIM_400000_NS6detail17trampoline_kernelINS0_14default_configENS1_21merge_config_selectorIdNS0_10empty_typeEEEZNS1_10merge_implIS3_N6thrust23THRUST_200600_302600_NS6detail15normal_iteratorINS9_10device_ptrIKdEEEESF_NSB_INSC_IdEEEEPS5_SI_SI_NS9_7greaterIdEEEE10hipError_tPvRmT0_T1_T2_T3_T4_T5_mmT6_P12ihipStream_tbEUlT_E0_NS1_11comp_targetILNS1_3genE0ELNS1_11target_archE4294967295ELNS1_3gpuE0ELNS1_3repE0EEENS1_30default_config_static_selectorELNS0_4arch9wavefront6targetE1EEEvSP_,"axG",@progbits,_ZN7rocprim17ROCPRIM_400000_NS6detail17trampoline_kernelINS0_14default_configENS1_21merge_config_selectorIdNS0_10empty_typeEEEZNS1_10merge_implIS3_N6thrust23THRUST_200600_302600_NS6detail15normal_iteratorINS9_10device_ptrIKdEEEESF_NSB_INSC_IdEEEEPS5_SI_SI_NS9_7greaterIdEEEE10hipError_tPvRmT0_T1_T2_T3_T4_T5_mmT6_P12ihipStream_tbEUlT_E0_NS1_11comp_targetILNS1_3genE0ELNS1_11target_archE4294967295ELNS1_3gpuE0ELNS1_3repE0EEENS1_30default_config_static_selectorELNS0_4arch9wavefront6targetE1EEEvSP_,comdat
	.protected	_ZN7rocprim17ROCPRIM_400000_NS6detail17trampoline_kernelINS0_14default_configENS1_21merge_config_selectorIdNS0_10empty_typeEEEZNS1_10merge_implIS3_N6thrust23THRUST_200600_302600_NS6detail15normal_iteratorINS9_10device_ptrIKdEEEESF_NSB_INSC_IdEEEEPS5_SI_SI_NS9_7greaterIdEEEE10hipError_tPvRmT0_T1_T2_T3_T4_T5_mmT6_P12ihipStream_tbEUlT_E0_NS1_11comp_targetILNS1_3genE0ELNS1_11target_archE4294967295ELNS1_3gpuE0ELNS1_3repE0EEENS1_30default_config_static_selectorELNS0_4arch9wavefront6targetE1EEEvSP_ ; -- Begin function _ZN7rocprim17ROCPRIM_400000_NS6detail17trampoline_kernelINS0_14default_configENS1_21merge_config_selectorIdNS0_10empty_typeEEEZNS1_10merge_implIS3_N6thrust23THRUST_200600_302600_NS6detail15normal_iteratorINS9_10device_ptrIKdEEEESF_NSB_INSC_IdEEEEPS5_SI_SI_NS9_7greaterIdEEEE10hipError_tPvRmT0_T1_T2_T3_T4_T5_mmT6_P12ihipStream_tbEUlT_E0_NS1_11comp_targetILNS1_3genE0ELNS1_11target_archE4294967295ELNS1_3gpuE0ELNS1_3repE0EEENS1_30default_config_static_selectorELNS0_4arch9wavefront6targetE1EEEvSP_
	.globl	_ZN7rocprim17ROCPRIM_400000_NS6detail17trampoline_kernelINS0_14default_configENS1_21merge_config_selectorIdNS0_10empty_typeEEEZNS1_10merge_implIS3_N6thrust23THRUST_200600_302600_NS6detail15normal_iteratorINS9_10device_ptrIKdEEEESF_NSB_INSC_IdEEEEPS5_SI_SI_NS9_7greaterIdEEEE10hipError_tPvRmT0_T1_T2_T3_T4_T5_mmT6_P12ihipStream_tbEUlT_E0_NS1_11comp_targetILNS1_3genE0ELNS1_11target_archE4294967295ELNS1_3gpuE0ELNS1_3repE0EEENS1_30default_config_static_selectorELNS0_4arch9wavefront6targetE1EEEvSP_
	.p2align	8
	.type	_ZN7rocprim17ROCPRIM_400000_NS6detail17trampoline_kernelINS0_14default_configENS1_21merge_config_selectorIdNS0_10empty_typeEEEZNS1_10merge_implIS3_N6thrust23THRUST_200600_302600_NS6detail15normal_iteratorINS9_10device_ptrIKdEEEESF_NSB_INSC_IdEEEEPS5_SI_SI_NS9_7greaterIdEEEE10hipError_tPvRmT0_T1_T2_T3_T4_T5_mmT6_P12ihipStream_tbEUlT_E0_NS1_11comp_targetILNS1_3genE0ELNS1_11target_archE4294967295ELNS1_3gpuE0ELNS1_3repE0EEENS1_30default_config_static_selectorELNS0_4arch9wavefront6targetE1EEEvSP_,@function
_ZN7rocprim17ROCPRIM_400000_NS6detail17trampoline_kernelINS0_14default_configENS1_21merge_config_selectorIdNS0_10empty_typeEEEZNS1_10merge_implIS3_N6thrust23THRUST_200600_302600_NS6detail15normal_iteratorINS9_10device_ptrIKdEEEESF_NSB_INSC_IdEEEEPS5_SI_SI_NS9_7greaterIdEEEE10hipError_tPvRmT0_T1_T2_T3_T4_T5_mmT6_P12ihipStream_tbEUlT_E0_NS1_11comp_targetILNS1_3genE0ELNS1_11target_archE4294967295ELNS1_3gpuE0ELNS1_3repE0EEENS1_30default_config_static_selectorELNS0_4arch9wavefront6targetE1EEEvSP_: ; @_ZN7rocprim17ROCPRIM_400000_NS6detail17trampoline_kernelINS0_14default_configENS1_21merge_config_selectorIdNS0_10empty_typeEEEZNS1_10merge_implIS3_N6thrust23THRUST_200600_302600_NS6detail15normal_iteratorINS9_10device_ptrIKdEEEESF_NSB_INSC_IdEEEEPS5_SI_SI_NS9_7greaterIdEEEE10hipError_tPvRmT0_T1_T2_T3_T4_T5_mmT6_P12ihipStream_tbEUlT_E0_NS1_11comp_targetILNS1_3genE0ELNS1_11target_archE4294967295ELNS1_3gpuE0ELNS1_3repE0EEENS1_30default_config_static_selectorELNS0_4arch9wavefront6targetE1EEEvSP_
; %bb.0:
	.section	.rodata,"a",@progbits
	.p2align	6, 0x0
	.amdhsa_kernel _ZN7rocprim17ROCPRIM_400000_NS6detail17trampoline_kernelINS0_14default_configENS1_21merge_config_selectorIdNS0_10empty_typeEEEZNS1_10merge_implIS3_N6thrust23THRUST_200600_302600_NS6detail15normal_iteratorINS9_10device_ptrIKdEEEESF_NSB_INSC_IdEEEEPS5_SI_SI_NS9_7greaterIdEEEE10hipError_tPvRmT0_T1_T2_T3_T4_T5_mmT6_P12ihipStream_tbEUlT_E0_NS1_11comp_targetILNS1_3genE0ELNS1_11target_archE4294967295ELNS1_3gpuE0ELNS1_3repE0EEENS1_30default_config_static_selectorELNS0_4arch9wavefront6targetE1EEEvSP_
		.amdhsa_group_segment_fixed_size 0
		.amdhsa_private_segment_fixed_size 0
		.amdhsa_kernarg_size 88
		.amdhsa_user_sgpr_count 6
		.amdhsa_user_sgpr_private_segment_buffer 1
		.amdhsa_user_sgpr_dispatch_ptr 0
		.amdhsa_user_sgpr_queue_ptr 0
		.amdhsa_user_sgpr_kernarg_segment_ptr 1
		.amdhsa_user_sgpr_dispatch_id 0
		.amdhsa_user_sgpr_flat_scratch_init 0
		.amdhsa_user_sgpr_kernarg_preload_length 0
		.amdhsa_user_sgpr_kernarg_preload_offset 0
		.amdhsa_user_sgpr_private_segment_size 0
		.amdhsa_uses_dynamic_stack 0
		.amdhsa_system_sgpr_private_segment_wavefront_offset 0
		.amdhsa_system_sgpr_workgroup_id_x 1
		.amdhsa_system_sgpr_workgroup_id_y 0
		.amdhsa_system_sgpr_workgroup_id_z 0
		.amdhsa_system_sgpr_workgroup_info 0
		.amdhsa_system_vgpr_workitem_id 0
		.amdhsa_next_free_vgpr 1
		.amdhsa_next_free_sgpr 0
		.amdhsa_accum_offset 4
		.amdhsa_reserve_vcc 0
		.amdhsa_reserve_flat_scratch 0
		.amdhsa_float_round_mode_32 0
		.amdhsa_float_round_mode_16_64 0
		.amdhsa_float_denorm_mode_32 3
		.amdhsa_float_denorm_mode_16_64 3
		.amdhsa_dx10_clamp 1
		.amdhsa_ieee_mode 1
		.amdhsa_fp16_overflow 0
		.amdhsa_tg_split 0
		.amdhsa_exception_fp_ieee_invalid_op 0
		.amdhsa_exception_fp_denorm_src 0
		.amdhsa_exception_fp_ieee_div_zero 0
		.amdhsa_exception_fp_ieee_overflow 0
		.amdhsa_exception_fp_ieee_underflow 0
		.amdhsa_exception_fp_ieee_inexact 0
		.amdhsa_exception_int_div_zero 0
	.end_amdhsa_kernel
	.section	.text._ZN7rocprim17ROCPRIM_400000_NS6detail17trampoline_kernelINS0_14default_configENS1_21merge_config_selectorIdNS0_10empty_typeEEEZNS1_10merge_implIS3_N6thrust23THRUST_200600_302600_NS6detail15normal_iteratorINS9_10device_ptrIKdEEEESF_NSB_INSC_IdEEEEPS5_SI_SI_NS9_7greaterIdEEEE10hipError_tPvRmT0_T1_T2_T3_T4_T5_mmT6_P12ihipStream_tbEUlT_E0_NS1_11comp_targetILNS1_3genE0ELNS1_11target_archE4294967295ELNS1_3gpuE0ELNS1_3repE0EEENS1_30default_config_static_selectorELNS0_4arch9wavefront6targetE1EEEvSP_,"axG",@progbits,_ZN7rocprim17ROCPRIM_400000_NS6detail17trampoline_kernelINS0_14default_configENS1_21merge_config_selectorIdNS0_10empty_typeEEEZNS1_10merge_implIS3_N6thrust23THRUST_200600_302600_NS6detail15normal_iteratorINS9_10device_ptrIKdEEEESF_NSB_INSC_IdEEEEPS5_SI_SI_NS9_7greaterIdEEEE10hipError_tPvRmT0_T1_T2_T3_T4_T5_mmT6_P12ihipStream_tbEUlT_E0_NS1_11comp_targetILNS1_3genE0ELNS1_11target_archE4294967295ELNS1_3gpuE0ELNS1_3repE0EEENS1_30default_config_static_selectorELNS0_4arch9wavefront6targetE1EEEvSP_,comdat
.Lfunc_end470:
	.size	_ZN7rocprim17ROCPRIM_400000_NS6detail17trampoline_kernelINS0_14default_configENS1_21merge_config_selectorIdNS0_10empty_typeEEEZNS1_10merge_implIS3_N6thrust23THRUST_200600_302600_NS6detail15normal_iteratorINS9_10device_ptrIKdEEEESF_NSB_INSC_IdEEEEPS5_SI_SI_NS9_7greaterIdEEEE10hipError_tPvRmT0_T1_T2_T3_T4_T5_mmT6_P12ihipStream_tbEUlT_E0_NS1_11comp_targetILNS1_3genE0ELNS1_11target_archE4294967295ELNS1_3gpuE0ELNS1_3repE0EEENS1_30default_config_static_selectorELNS0_4arch9wavefront6targetE1EEEvSP_, .Lfunc_end470-_ZN7rocprim17ROCPRIM_400000_NS6detail17trampoline_kernelINS0_14default_configENS1_21merge_config_selectorIdNS0_10empty_typeEEEZNS1_10merge_implIS3_N6thrust23THRUST_200600_302600_NS6detail15normal_iteratorINS9_10device_ptrIKdEEEESF_NSB_INSC_IdEEEEPS5_SI_SI_NS9_7greaterIdEEEE10hipError_tPvRmT0_T1_T2_T3_T4_T5_mmT6_P12ihipStream_tbEUlT_E0_NS1_11comp_targetILNS1_3genE0ELNS1_11target_archE4294967295ELNS1_3gpuE0ELNS1_3repE0EEENS1_30default_config_static_selectorELNS0_4arch9wavefront6targetE1EEEvSP_
                                        ; -- End function
	.section	.AMDGPU.csdata,"",@progbits
; Kernel info:
; codeLenInByte = 0
; NumSgprs: 4
; NumVgprs: 0
; NumAgprs: 0
; TotalNumVgprs: 0
; ScratchSize: 0
; MemoryBound: 0
; FloatMode: 240
; IeeeMode: 1
; LDSByteSize: 0 bytes/workgroup (compile time only)
; SGPRBlocks: 0
; VGPRBlocks: 0
; NumSGPRsForWavesPerEU: 4
; NumVGPRsForWavesPerEU: 1
; AccumOffset: 4
; Occupancy: 8
; WaveLimiterHint : 0
; COMPUTE_PGM_RSRC2:SCRATCH_EN: 0
; COMPUTE_PGM_RSRC2:USER_SGPR: 6
; COMPUTE_PGM_RSRC2:TRAP_HANDLER: 0
; COMPUTE_PGM_RSRC2:TGID_X_EN: 1
; COMPUTE_PGM_RSRC2:TGID_Y_EN: 0
; COMPUTE_PGM_RSRC2:TGID_Z_EN: 0
; COMPUTE_PGM_RSRC2:TIDIG_COMP_CNT: 0
; COMPUTE_PGM_RSRC3_GFX90A:ACCUM_OFFSET: 0
; COMPUTE_PGM_RSRC3_GFX90A:TG_SPLIT: 0
	.section	.text._ZN7rocprim17ROCPRIM_400000_NS6detail17trampoline_kernelINS0_14default_configENS1_21merge_config_selectorIdNS0_10empty_typeEEEZNS1_10merge_implIS3_N6thrust23THRUST_200600_302600_NS6detail15normal_iteratorINS9_10device_ptrIKdEEEESF_NSB_INSC_IdEEEEPS5_SI_SI_NS9_7greaterIdEEEE10hipError_tPvRmT0_T1_T2_T3_T4_T5_mmT6_P12ihipStream_tbEUlT_E0_NS1_11comp_targetILNS1_3genE5ELNS1_11target_archE942ELNS1_3gpuE9ELNS1_3repE0EEENS1_30default_config_static_selectorELNS0_4arch9wavefront6targetE1EEEvSP_,"axG",@progbits,_ZN7rocprim17ROCPRIM_400000_NS6detail17trampoline_kernelINS0_14default_configENS1_21merge_config_selectorIdNS0_10empty_typeEEEZNS1_10merge_implIS3_N6thrust23THRUST_200600_302600_NS6detail15normal_iteratorINS9_10device_ptrIKdEEEESF_NSB_INSC_IdEEEEPS5_SI_SI_NS9_7greaterIdEEEE10hipError_tPvRmT0_T1_T2_T3_T4_T5_mmT6_P12ihipStream_tbEUlT_E0_NS1_11comp_targetILNS1_3genE5ELNS1_11target_archE942ELNS1_3gpuE9ELNS1_3repE0EEENS1_30default_config_static_selectorELNS0_4arch9wavefront6targetE1EEEvSP_,comdat
	.protected	_ZN7rocprim17ROCPRIM_400000_NS6detail17trampoline_kernelINS0_14default_configENS1_21merge_config_selectorIdNS0_10empty_typeEEEZNS1_10merge_implIS3_N6thrust23THRUST_200600_302600_NS6detail15normal_iteratorINS9_10device_ptrIKdEEEESF_NSB_INSC_IdEEEEPS5_SI_SI_NS9_7greaterIdEEEE10hipError_tPvRmT0_T1_T2_T3_T4_T5_mmT6_P12ihipStream_tbEUlT_E0_NS1_11comp_targetILNS1_3genE5ELNS1_11target_archE942ELNS1_3gpuE9ELNS1_3repE0EEENS1_30default_config_static_selectorELNS0_4arch9wavefront6targetE1EEEvSP_ ; -- Begin function _ZN7rocprim17ROCPRIM_400000_NS6detail17trampoline_kernelINS0_14default_configENS1_21merge_config_selectorIdNS0_10empty_typeEEEZNS1_10merge_implIS3_N6thrust23THRUST_200600_302600_NS6detail15normal_iteratorINS9_10device_ptrIKdEEEESF_NSB_INSC_IdEEEEPS5_SI_SI_NS9_7greaterIdEEEE10hipError_tPvRmT0_T1_T2_T3_T4_T5_mmT6_P12ihipStream_tbEUlT_E0_NS1_11comp_targetILNS1_3genE5ELNS1_11target_archE942ELNS1_3gpuE9ELNS1_3repE0EEENS1_30default_config_static_selectorELNS0_4arch9wavefront6targetE1EEEvSP_
	.globl	_ZN7rocprim17ROCPRIM_400000_NS6detail17trampoline_kernelINS0_14default_configENS1_21merge_config_selectorIdNS0_10empty_typeEEEZNS1_10merge_implIS3_N6thrust23THRUST_200600_302600_NS6detail15normal_iteratorINS9_10device_ptrIKdEEEESF_NSB_INSC_IdEEEEPS5_SI_SI_NS9_7greaterIdEEEE10hipError_tPvRmT0_T1_T2_T3_T4_T5_mmT6_P12ihipStream_tbEUlT_E0_NS1_11comp_targetILNS1_3genE5ELNS1_11target_archE942ELNS1_3gpuE9ELNS1_3repE0EEENS1_30default_config_static_selectorELNS0_4arch9wavefront6targetE1EEEvSP_
	.p2align	8
	.type	_ZN7rocprim17ROCPRIM_400000_NS6detail17trampoline_kernelINS0_14default_configENS1_21merge_config_selectorIdNS0_10empty_typeEEEZNS1_10merge_implIS3_N6thrust23THRUST_200600_302600_NS6detail15normal_iteratorINS9_10device_ptrIKdEEEESF_NSB_INSC_IdEEEEPS5_SI_SI_NS9_7greaterIdEEEE10hipError_tPvRmT0_T1_T2_T3_T4_T5_mmT6_P12ihipStream_tbEUlT_E0_NS1_11comp_targetILNS1_3genE5ELNS1_11target_archE942ELNS1_3gpuE9ELNS1_3repE0EEENS1_30default_config_static_selectorELNS0_4arch9wavefront6targetE1EEEvSP_,@function
_ZN7rocprim17ROCPRIM_400000_NS6detail17trampoline_kernelINS0_14default_configENS1_21merge_config_selectorIdNS0_10empty_typeEEEZNS1_10merge_implIS3_N6thrust23THRUST_200600_302600_NS6detail15normal_iteratorINS9_10device_ptrIKdEEEESF_NSB_INSC_IdEEEEPS5_SI_SI_NS9_7greaterIdEEEE10hipError_tPvRmT0_T1_T2_T3_T4_T5_mmT6_P12ihipStream_tbEUlT_E0_NS1_11comp_targetILNS1_3genE5ELNS1_11target_archE942ELNS1_3gpuE9ELNS1_3repE0EEENS1_30default_config_static_selectorELNS0_4arch9wavefront6targetE1EEEvSP_: ; @_ZN7rocprim17ROCPRIM_400000_NS6detail17trampoline_kernelINS0_14default_configENS1_21merge_config_selectorIdNS0_10empty_typeEEEZNS1_10merge_implIS3_N6thrust23THRUST_200600_302600_NS6detail15normal_iteratorINS9_10device_ptrIKdEEEESF_NSB_INSC_IdEEEEPS5_SI_SI_NS9_7greaterIdEEEE10hipError_tPvRmT0_T1_T2_T3_T4_T5_mmT6_P12ihipStream_tbEUlT_E0_NS1_11comp_targetILNS1_3genE5ELNS1_11target_archE942ELNS1_3gpuE9ELNS1_3repE0EEENS1_30default_config_static_selectorELNS0_4arch9wavefront6targetE1EEEvSP_
; %bb.0:
	.section	.rodata,"a",@progbits
	.p2align	6, 0x0
	.amdhsa_kernel _ZN7rocprim17ROCPRIM_400000_NS6detail17trampoline_kernelINS0_14default_configENS1_21merge_config_selectorIdNS0_10empty_typeEEEZNS1_10merge_implIS3_N6thrust23THRUST_200600_302600_NS6detail15normal_iteratorINS9_10device_ptrIKdEEEESF_NSB_INSC_IdEEEEPS5_SI_SI_NS9_7greaterIdEEEE10hipError_tPvRmT0_T1_T2_T3_T4_T5_mmT6_P12ihipStream_tbEUlT_E0_NS1_11comp_targetILNS1_3genE5ELNS1_11target_archE942ELNS1_3gpuE9ELNS1_3repE0EEENS1_30default_config_static_selectorELNS0_4arch9wavefront6targetE1EEEvSP_
		.amdhsa_group_segment_fixed_size 0
		.amdhsa_private_segment_fixed_size 0
		.amdhsa_kernarg_size 88
		.amdhsa_user_sgpr_count 6
		.amdhsa_user_sgpr_private_segment_buffer 1
		.amdhsa_user_sgpr_dispatch_ptr 0
		.amdhsa_user_sgpr_queue_ptr 0
		.amdhsa_user_sgpr_kernarg_segment_ptr 1
		.amdhsa_user_sgpr_dispatch_id 0
		.amdhsa_user_sgpr_flat_scratch_init 0
		.amdhsa_user_sgpr_kernarg_preload_length 0
		.amdhsa_user_sgpr_kernarg_preload_offset 0
		.amdhsa_user_sgpr_private_segment_size 0
		.amdhsa_uses_dynamic_stack 0
		.amdhsa_system_sgpr_private_segment_wavefront_offset 0
		.amdhsa_system_sgpr_workgroup_id_x 1
		.amdhsa_system_sgpr_workgroup_id_y 0
		.amdhsa_system_sgpr_workgroup_id_z 0
		.amdhsa_system_sgpr_workgroup_info 0
		.amdhsa_system_vgpr_workitem_id 0
		.amdhsa_next_free_vgpr 1
		.amdhsa_next_free_sgpr 0
		.amdhsa_accum_offset 4
		.amdhsa_reserve_vcc 0
		.amdhsa_reserve_flat_scratch 0
		.amdhsa_float_round_mode_32 0
		.amdhsa_float_round_mode_16_64 0
		.amdhsa_float_denorm_mode_32 3
		.amdhsa_float_denorm_mode_16_64 3
		.amdhsa_dx10_clamp 1
		.amdhsa_ieee_mode 1
		.amdhsa_fp16_overflow 0
		.amdhsa_tg_split 0
		.amdhsa_exception_fp_ieee_invalid_op 0
		.amdhsa_exception_fp_denorm_src 0
		.amdhsa_exception_fp_ieee_div_zero 0
		.amdhsa_exception_fp_ieee_overflow 0
		.amdhsa_exception_fp_ieee_underflow 0
		.amdhsa_exception_fp_ieee_inexact 0
		.amdhsa_exception_int_div_zero 0
	.end_amdhsa_kernel
	.section	.text._ZN7rocprim17ROCPRIM_400000_NS6detail17trampoline_kernelINS0_14default_configENS1_21merge_config_selectorIdNS0_10empty_typeEEEZNS1_10merge_implIS3_N6thrust23THRUST_200600_302600_NS6detail15normal_iteratorINS9_10device_ptrIKdEEEESF_NSB_INSC_IdEEEEPS5_SI_SI_NS9_7greaterIdEEEE10hipError_tPvRmT0_T1_T2_T3_T4_T5_mmT6_P12ihipStream_tbEUlT_E0_NS1_11comp_targetILNS1_3genE5ELNS1_11target_archE942ELNS1_3gpuE9ELNS1_3repE0EEENS1_30default_config_static_selectorELNS0_4arch9wavefront6targetE1EEEvSP_,"axG",@progbits,_ZN7rocprim17ROCPRIM_400000_NS6detail17trampoline_kernelINS0_14default_configENS1_21merge_config_selectorIdNS0_10empty_typeEEEZNS1_10merge_implIS3_N6thrust23THRUST_200600_302600_NS6detail15normal_iteratorINS9_10device_ptrIKdEEEESF_NSB_INSC_IdEEEEPS5_SI_SI_NS9_7greaterIdEEEE10hipError_tPvRmT0_T1_T2_T3_T4_T5_mmT6_P12ihipStream_tbEUlT_E0_NS1_11comp_targetILNS1_3genE5ELNS1_11target_archE942ELNS1_3gpuE9ELNS1_3repE0EEENS1_30default_config_static_selectorELNS0_4arch9wavefront6targetE1EEEvSP_,comdat
.Lfunc_end471:
	.size	_ZN7rocprim17ROCPRIM_400000_NS6detail17trampoline_kernelINS0_14default_configENS1_21merge_config_selectorIdNS0_10empty_typeEEEZNS1_10merge_implIS3_N6thrust23THRUST_200600_302600_NS6detail15normal_iteratorINS9_10device_ptrIKdEEEESF_NSB_INSC_IdEEEEPS5_SI_SI_NS9_7greaterIdEEEE10hipError_tPvRmT0_T1_T2_T3_T4_T5_mmT6_P12ihipStream_tbEUlT_E0_NS1_11comp_targetILNS1_3genE5ELNS1_11target_archE942ELNS1_3gpuE9ELNS1_3repE0EEENS1_30default_config_static_selectorELNS0_4arch9wavefront6targetE1EEEvSP_, .Lfunc_end471-_ZN7rocprim17ROCPRIM_400000_NS6detail17trampoline_kernelINS0_14default_configENS1_21merge_config_selectorIdNS0_10empty_typeEEEZNS1_10merge_implIS3_N6thrust23THRUST_200600_302600_NS6detail15normal_iteratorINS9_10device_ptrIKdEEEESF_NSB_INSC_IdEEEEPS5_SI_SI_NS9_7greaterIdEEEE10hipError_tPvRmT0_T1_T2_T3_T4_T5_mmT6_P12ihipStream_tbEUlT_E0_NS1_11comp_targetILNS1_3genE5ELNS1_11target_archE942ELNS1_3gpuE9ELNS1_3repE0EEENS1_30default_config_static_selectorELNS0_4arch9wavefront6targetE1EEEvSP_
                                        ; -- End function
	.section	.AMDGPU.csdata,"",@progbits
; Kernel info:
; codeLenInByte = 0
; NumSgprs: 4
; NumVgprs: 0
; NumAgprs: 0
; TotalNumVgprs: 0
; ScratchSize: 0
; MemoryBound: 0
; FloatMode: 240
; IeeeMode: 1
; LDSByteSize: 0 bytes/workgroup (compile time only)
; SGPRBlocks: 0
; VGPRBlocks: 0
; NumSGPRsForWavesPerEU: 4
; NumVGPRsForWavesPerEU: 1
; AccumOffset: 4
; Occupancy: 8
; WaveLimiterHint : 0
; COMPUTE_PGM_RSRC2:SCRATCH_EN: 0
; COMPUTE_PGM_RSRC2:USER_SGPR: 6
; COMPUTE_PGM_RSRC2:TRAP_HANDLER: 0
; COMPUTE_PGM_RSRC2:TGID_X_EN: 1
; COMPUTE_PGM_RSRC2:TGID_Y_EN: 0
; COMPUTE_PGM_RSRC2:TGID_Z_EN: 0
; COMPUTE_PGM_RSRC2:TIDIG_COMP_CNT: 0
; COMPUTE_PGM_RSRC3_GFX90A:ACCUM_OFFSET: 0
; COMPUTE_PGM_RSRC3_GFX90A:TG_SPLIT: 0
	.section	.text._ZN7rocprim17ROCPRIM_400000_NS6detail17trampoline_kernelINS0_14default_configENS1_21merge_config_selectorIdNS0_10empty_typeEEEZNS1_10merge_implIS3_N6thrust23THRUST_200600_302600_NS6detail15normal_iteratorINS9_10device_ptrIKdEEEESF_NSB_INSC_IdEEEEPS5_SI_SI_NS9_7greaterIdEEEE10hipError_tPvRmT0_T1_T2_T3_T4_T5_mmT6_P12ihipStream_tbEUlT_E0_NS1_11comp_targetILNS1_3genE4ELNS1_11target_archE910ELNS1_3gpuE8ELNS1_3repE0EEENS1_30default_config_static_selectorELNS0_4arch9wavefront6targetE1EEEvSP_,"axG",@progbits,_ZN7rocprim17ROCPRIM_400000_NS6detail17trampoline_kernelINS0_14default_configENS1_21merge_config_selectorIdNS0_10empty_typeEEEZNS1_10merge_implIS3_N6thrust23THRUST_200600_302600_NS6detail15normal_iteratorINS9_10device_ptrIKdEEEESF_NSB_INSC_IdEEEEPS5_SI_SI_NS9_7greaterIdEEEE10hipError_tPvRmT0_T1_T2_T3_T4_T5_mmT6_P12ihipStream_tbEUlT_E0_NS1_11comp_targetILNS1_3genE4ELNS1_11target_archE910ELNS1_3gpuE8ELNS1_3repE0EEENS1_30default_config_static_selectorELNS0_4arch9wavefront6targetE1EEEvSP_,comdat
	.protected	_ZN7rocprim17ROCPRIM_400000_NS6detail17trampoline_kernelINS0_14default_configENS1_21merge_config_selectorIdNS0_10empty_typeEEEZNS1_10merge_implIS3_N6thrust23THRUST_200600_302600_NS6detail15normal_iteratorINS9_10device_ptrIKdEEEESF_NSB_INSC_IdEEEEPS5_SI_SI_NS9_7greaterIdEEEE10hipError_tPvRmT0_T1_T2_T3_T4_T5_mmT6_P12ihipStream_tbEUlT_E0_NS1_11comp_targetILNS1_3genE4ELNS1_11target_archE910ELNS1_3gpuE8ELNS1_3repE0EEENS1_30default_config_static_selectorELNS0_4arch9wavefront6targetE1EEEvSP_ ; -- Begin function _ZN7rocprim17ROCPRIM_400000_NS6detail17trampoline_kernelINS0_14default_configENS1_21merge_config_selectorIdNS0_10empty_typeEEEZNS1_10merge_implIS3_N6thrust23THRUST_200600_302600_NS6detail15normal_iteratorINS9_10device_ptrIKdEEEESF_NSB_INSC_IdEEEEPS5_SI_SI_NS9_7greaterIdEEEE10hipError_tPvRmT0_T1_T2_T3_T4_T5_mmT6_P12ihipStream_tbEUlT_E0_NS1_11comp_targetILNS1_3genE4ELNS1_11target_archE910ELNS1_3gpuE8ELNS1_3repE0EEENS1_30default_config_static_selectorELNS0_4arch9wavefront6targetE1EEEvSP_
	.globl	_ZN7rocprim17ROCPRIM_400000_NS6detail17trampoline_kernelINS0_14default_configENS1_21merge_config_selectorIdNS0_10empty_typeEEEZNS1_10merge_implIS3_N6thrust23THRUST_200600_302600_NS6detail15normal_iteratorINS9_10device_ptrIKdEEEESF_NSB_INSC_IdEEEEPS5_SI_SI_NS9_7greaterIdEEEE10hipError_tPvRmT0_T1_T2_T3_T4_T5_mmT6_P12ihipStream_tbEUlT_E0_NS1_11comp_targetILNS1_3genE4ELNS1_11target_archE910ELNS1_3gpuE8ELNS1_3repE0EEENS1_30default_config_static_selectorELNS0_4arch9wavefront6targetE1EEEvSP_
	.p2align	8
	.type	_ZN7rocprim17ROCPRIM_400000_NS6detail17trampoline_kernelINS0_14default_configENS1_21merge_config_selectorIdNS0_10empty_typeEEEZNS1_10merge_implIS3_N6thrust23THRUST_200600_302600_NS6detail15normal_iteratorINS9_10device_ptrIKdEEEESF_NSB_INSC_IdEEEEPS5_SI_SI_NS9_7greaterIdEEEE10hipError_tPvRmT0_T1_T2_T3_T4_T5_mmT6_P12ihipStream_tbEUlT_E0_NS1_11comp_targetILNS1_3genE4ELNS1_11target_archE910ELNS1_3gpuE8ELNS1_3repE0EEENS1_30default_config_static_selectorELNS0_4arch9wavefront6targetE1EEEvSP_,@function
_ZN7rocprim17ROCPRIM_400000_NS6detail17trampoline_kernelINS0_14default_configENS1_21merge_config_selectorIdNS0_10empty_typeEEEZNS1_10merge_implIS3_N6thrust23THRUST_200600_302600_NS6detail15normal_iteratorINS9_10device_ptrIKdEEEESF_NSB_INSC_IdEEEEPS5_SI_SI_NS9_7greaterIdEEEE10hipError_tPvRmT0_T1_T2_T3_T4_T5_mmT6_P12ihipStream_tbEUlT_E0_NS1_11comp_targetILNS1_3genE4ELNS1_11target_archE910ELNS1_3gpuE8ELNS1_3repE0EEENS1_30default_config_static_selectorELNS0_4arch9wavefront6targetE1EEEvSP_: ; @_ZN7rocprim17ROCPRIM_400000_NS6detail17trampoline_kernelINS0_14default_configENS1_21merge_config_selectorIdNS0_10empty_typeEEEZNS1_10merge_implIS3_N6thrust23THRUST_200600_302600_NS6detail15normal_iteratorINS9_10device_ptrIKdEEEESF_NSB_INSC_IdEEEEPS5_SI_SI_NS9_7greaterIdEEEE10hipError_tPvRmT0_T1_T2_T3_T4_T5_mmT6_P12ihipStream_tbEUlT_E0_NS1_11comp_targetILNS1_3genE4ELNS1_11target_archE910ELNS1_3gpuE8ELNS1_3repE0EEENS1_30default_config_static_selectorELNS0_4arch9wavefront6targetE1EEEvSP_
; %bb.0:
	s_load_dwordx4 s[0:3], s[4:5], 0x40
	s_load_dwordx8 s[8:15], s[4:5], 0x8
	s_lshl_b32 s16, s6, 10
	s_mov_b32 s7, 0
	s_waitcnt lgkmcnt(0)
	s_mov_b32 s3, s7
	s_add_i32 s17, s2, s0
	s_add_i32 s0, s17, 0x3ff
	s_lshr_b32 s0, s0, 10
	s_min_u32 s1, s6, s0
	s_lshl_b32 s1, s1, 2
	s_add_i32 s6, s6, 1
	s_min_u32 s0, s6, s0
	s_load_dword s6, s[8:9], s1 offset:0x0
	s_lshl_b32 s0, s0, 2
	s_load_dword s8, s[8:9], s0 offset:0x0
	s_add_i32 s0, s16, 0x400
	s_min_u32 s9, s17, s0
	s_waitcnt lgkmcnt(0)
	s_sub_i32 s2, s16, s6
	s_lshl_b64 s[0:1], s[6:7], 3
	s_add_u32 s0, s10, s0
	s_addc_u32 s1, s11, s1
	s_lshl_b64 s[4:5], s[2:3], 3
	s_add_u32 s11, s12, s4
	s_addc_u32 s12, s13, s5
	s_add_i32 s2, s2, s8
	s_sub_i32 s6, s8, s6
	s_sub_i32 s10, s9, s2
	s_add_u32 s2, s10, s6
	s_addc_u32 s3, 0, 0
	v_mov_b32_e32 v1, 0
	v_cmp_le_u32_e32 vcc, s6, v0
	s_and_saveexec_b64 s[4:5], vcc
	s_xor_b64 s[4:5], exec, s[4:5]
	s_cbranch_execz .LBB472_4
; %bb.1:
	v_cmp_gt_u64_e32 vcc, s[2:3], v[0:1]
	s_and_saveexec_b64 s[8:9], vcc
	s_cbranch_execz .LBB472_3
; %bb.2:
	v_mov_b32_e32 v1, s7
	v_subrev_co_u32_e32 v2, vcc, s6, v0
	v_subb_co_u32_e32 v3, vcc, 0, v1, vcc
	v_lshlrev_b64 v[2:3], 3, v[2:3]
	v_mov_b32_e32 v1, s12
	v_add_co_u32_e32 v2, vcc, s11, v2
	v_addc_co_u32_e32 v3, vcc, v1, v3, vcc
	global_load_dwordx2 v[2:3], v[2:3], off
	v_lshlrev_b32_e32 v1, 3, v0
	s_waitcnt vmcnt(0)
	ds_write_b64 v1, v[2:3]
.LBB472_3:
	s_or_b64 exec, exec, s[8:9]
.LBB472_4:
	s_or_saveexec_b64 s[4:5], s[4:5]
	v_lshlrev_b32_e32 v1, 3, v0
	s_xor_b64 exec, exec, s[4:5]
	s_cbranch_execz .LBB472_6
; %bb.5:
	global_load_dwordx2 v[2:3], v1, s[0:1]
	s_waitcnt vmcnt(0)
	ds_write_b64 v1, v[2:3]
.LBB472_6:
	s_or_b64 exec, exec, s[4:5]
	v_or_b32_e32 v10, 0x100, v0
	v_mov_b32_e32 v11, 0
	v_cmp_le_u32_e32 vcc, s6, v10
	s_and_saveexec_b64 s[4:5], vcc
	s_xor_b64 s[4:5], exec, s[4:5]
	s_cbranch_execz .LBB472_10
; %bb.7:
	v_cmp_gt_u64_e32 vcc, s[2:3], v[10:11]
	s_and_saveexec_b64 s[8:9], vcc
	s_cbranch_execz .LBB472_9
; %bb.8:
	v_mov_b32_e32 v3, s7
	v_subrev_co_u32_e32 v2, vcc, s6, v0
	v_subb_co_u32_e32 v3, vcc, 0, v3, vcc
	v_lshlrev_b64 v[2:3], 3, v[2:3]
	v_mov_b32_e32 v4, s12
	v_add_co_u32_e32 v2, vcc, s11, v2
	v_addc_co_u32_e32 v3, vcc, v4, v3, vcc
	global_load_dwordx2 v[2:3], v[2:3], off offset:2048
	s_waitcnt vmcnt(0)
	ds_write_b64 v1, v[2:3] offset:2048
.LBB472_9:
	s_or_b64 exec, exec, s[8:9]
.LBB472_10:
	s_andn2_saveexec_b64 s[4:5], s[4:5]
	s_cbranch_execz .LBB472_12
; %bb.11:
	global_load_dwordx2 v[2:3], v1, s[0:1] offset:2048
	s_waitcnt vmcnt(0)
	ds_write_b64 v1, v[2:3] offset:2048
.LBB472_12:
	s_or_b64 exec, exec, s[4:5]
	v_or_b32_e32 v12, 0x200, v0
	v_mov_b32_e32 v13, 0
	v_cmp_le_u32_e32 vcc, s6, v12
	s_and_saveexec_b64 s[4:5], vcc
	s_xor_b64 s[4:5], exec, s[4:5]
	s_cbranch_execz .LBB472_16
; %bb.13:
	v_cmp_gt_u64_e32 vcc, s[2:3], v[12:13]
	s_and_saveexec_b64 s[8:9], vcc
	s_cbranch_execz .LBB472_15
; %bb.14:
	v_mov_b32_e32 v3, s7
	v_subrev_co_u32_e32 v2, vcc, s6, v12
	v_subb_co_u32_e32 v3, vcc, 0, v3, vcc
	v_lshlrev_b64 v[2:3], 3, v[2:3]
	v_mov_b32_e32 v4, s12
	v_add_co_u32_e32 v2, vcc, s11, v2
	v_addc_co_u32_e32 v3, vcc, v4, v3, vcc
	global_load_dwordx2 v[2:3], v[2:3], off
	s_waitcnt vmcnt(0)
	ds_write_b64 v1, v[2:3] offset:4096
.LBB472_15:
	s_or_b64 exec, exec, s[8:9]
.LBB472_16:
	s_andn2_saveexec_b64 s[4:5], s[4:5]
	s_cbranch_execz .LBB472_18
; %bb.17:
	v_lshlrev_b32_e32 v2, 3, v12
	global_load_dwordx2 v[2:3], v2, s[0:1]
	s_waitcnt vmcnt(0)
	ds_write_b64 v1, v[2:3] offset:4096
.LBB472_18:
	s_or_b64 exec, exec, s[4:5]
	v_or_b32_e32 v14, 0x300, v0
	v_mov_b32_e32 v15, 0
	v_cmp_le_u32_e32 vcc, s6, v14
	s_and_saveexec_b64 s[4:5], vcc
	s_xor_b64 s[4:5], exec, s[4:5]
	s_cbranch_execz .LBB472_22
; %bb.19:
	v_cmp_gt_u64_e32 vcc, s[2:3], v[14:15]
	s_and_saveexec_b64 s[2:3], vcc
	s_cbranch_execz .LBB472_21
; %bb.20:
	v_mov_b32_e32 v3, s7
	v_subrev_co_u32_e32 v2, vcc, s6, v14
	v_subb_co_u32_e32 v3, vcc, 0, v3, vcc
	v_lshlrev_b64 v[2:3], 3, v[2:3]
	v_mov_b32_e32 v4, s12
	v_add_co_u32_e32 v2, vcc, s11, v2
	v_addc_co_u32_e32 v3, vcc, v4, v3, vcc
	global_load_dwordx2 v[2:3], v[2:3], off
	s_waitcnt vmcnt(0)
	ds_write_b64 v1, v[2:3] offset:6144
.LBB472_21:
	s_or_b64 exec, exec, s[2:3]
.LBB472_22:
	s_andn2_saveexec_b64 s[2:3], s[4:5]
	s_cbranch_execz .LBB472_24
; %bb.23:
	v_lshlrev_b32_e32 v2, 3, v14
	global_load_dwordx2 v[2:3], v2, s[0:1]
	s_waitcnt vmcnt(0)
	ds_write_b64 v1, v[2:3] offset:6144
.LBB472_24:
	s_or_b64 exec, exec, s[2:3]
	v_lshlrev_b32_e32 v11, 2, v0
	v_sub_u32_e64 v13, v11, s10 clamp
	v_min_u32_e32 v2, s6, v11
	v_cmp_lt_u32_e32 vcc, v13, v2
	s_waitcnt lgkmcnt(0)
	s_barrier
	s_and_saveexec_b64 s[0:1], vcc
	s_cbranch_execz .LBB472_28
; %bb.25:
	v_lshlrev_b32_e32 v3, 3, v11
	v_lshl_add_u32 v3, s6, 3, v3
	s_mov_b64 s[2:3], 0
.LBB472_26:                             ; =>This Inner Loop Header: Depth=1
	v_add_u32_e32 v4, v2, v13
	v_lshrrev_b32_e32 v8, 1, v4
	v_not_b32_e32 v4, v8
	v_lshlrev_b32_e32 v5, 3, v8
	v_lshl_add_u32 v6, v4, 3, v3
	ds_read_b64 v[4:5], v5
	ds_read_b64 v[6:7], v6
	v_add_u32_e32 v9, 1, v8
	s_waitcnt lgkmcnt(0)
	v_cmp_gt_f64_e32 vcc, v[6:7], v[4:5]
	v_cndmask_b32_e32 v2, v2, v8, vcc
	v_cndmask_b32_e32 v13, v9, v13, vcc
	v_cmp_ge_u32_e32 vcc, v13, v2
	s_or_b64 s[2:3], vcc, s[2:3]
	s_andn2_b64 exec, exec, s[2:3]
	s_cbranch_execnz .LBB472_26
; %bb.27:
	s_or_b64 exec, exec, s[2:3]
.LBB472_28:
	s_or_b64 exec, exec, s[0:1]
	v_add_u32_e32 v2, s6, v11
	s_add_i32 s7, s10, s6
	v_sub_u32_e32 v15, v2, v13
	v_cmp_ge_u32_e32 vcc, s6, v13
	v_cmp_ge_u32_e64 s[0:1], s7, v15
	s_or_b64 s[0:1], vcc, s[0:1]
                                        ; implicit-def: $vgpr18_vgpr19
                                        ; implicit-def: $vgpr16_vgpr17
	s_and_saveexec_b64 s[8:9], s[0:1]
                                        ; implicit-def: $vgpr6_vgpr7_vgpr8_vgpr9
                                        ; implicit-def: $vgpr2_vgpr3_vgpr4_vgpr5
	s_cbranch_execz .LBB472_34
; %bb.29:
	v_cmp_gt_u32_e32 vcc, s6, v13
                                        ; implicit-def: $vgpr2_vgpr3
	s_and_saveexec_b64 s[0:1], vcc
	s_cbranch_execz .LBB472_31
; %bb.30:
	v_lshlrev_b32_e32 v2, 3, v13
	ds_read_b64 v[2:3], v2
.LBB472_31:
	s_or_b64 exec, exec, s[0:1]
	v_cmp_le_u32_e64 s[0:1], s7, v15
	v_cmp_gt_u32_e64 s[2:3], s7, v15
                                        ; implicit-def: $vgpr4_vgpr5
	s_and_saveexec_b64 s[4:5], s[2:3]
	s_cbranch_execz .LBB472_33
; %bb.32:
	v_lshlrev_b32_e32 v4, 3, v15
	ds_read_b64 v[4:5], v4
.LBB472_33:
	s_or_b64 exec, exec, s[4:5]
	s_waitcnt lgkmcnt(0)
	v_cmp_ngt_f64_e64 s[2:3], v[4:5], v[2:3]
	s_and_b64 s[2:3], vcc, s[2:3]
	s_or_b64 vcc, s[0:1], s[2:3]
	v_mov_b32_e32 v20, s7
	v_mov_b32_e32 v21, s6
	v_cndmask_b32_e32 v6, v15, v13, vcc
	v_cndmask_b32_e32 v7, v20, v21, vcc
	v_add_u32_e32 v16, 1, v6
	v_add_u32_e32 v6, -1, v7
	v_min_u32_e32 v6, v16, v6
	v_lshlrev_b32_e32 v6, 3, v6
	ds_read_b64 v[6:7], v6
	v_cndmask_b32_e32 v13, v13, v16, vcc
	v_cndmask_b32_e32 v15, v16, v15, vcc
	v_cmp_gt_u32_e64 s[2:3], s6, v13
	v_cmp_le_u32_e64 s[0:1], s7, v15
	s_waitcnt lgkmcnt(0)
	v_cndmask_b32_e32 v9, v7, v5, vcc
	v_cndmask_b32_e32 v8, v6, v4, vcc
	;; [unrolled: 1-line block ×4, first 2 shown]
	v_cmp_ngt_f64_e64 s[4:5], v[8:9], v[6:7]
	s_and_b64 s[2:3], s[2:3], s[4:5]
	s_or_b64 s[0:1], s[0:1], s[2:3]
	v_cndmask_b32_e64 v16, v15, v13, s[0:1]
	v_cndmask_b32_e64 v17, v20, v21, s[0:1]
	v_add_u32_e32 v22, 1, v16
	v_add_u32_e32 v16, -1, v17
	v_min_u32_e32 v16, v22, v16
	v_lshlrev_b32_e32 v16, 3, v16
	ds_read_b64 v[16:17], v16
	v_cndmask_b32_e32 v3, v5, v3, vcc
	v_cndmask_b32_e32 v2, v4, v2, vcc
	v_cndmask_b32_e64 v13, v13, v22, s[0:1]
	v_cndmask_b32_e64 v15, v22, v15, s[0:1]
	s_waitcnt lgkmcnt(0)
	v_cndmask_b32_e64 v5, v17, v9, s[0:1]
	v_cndmask_b32_e64 v4, v16, v8, s[0:1]
	;; [unrolled: 1-line block ×4, first 2 shown]
	v_cmp_gt_u32_e64 s[2:3], s6, v13
	v_cmp_ngt_f64_e64 s[4:5], v[4:5], v[18:19]
	v_cmp_le_u32_e32 vcc, s7, v15
	s_and_b64 s[2:3], s[2:3], s[4:5]
	s_or_b64 vcc, vcc, s[2:3]
	v_cndmask_b32_e32 v16, v15, v13, vcc
	v_cndmask_b32_e32 v17, v20, v21, vcc
	v_add_u32_e32 v22, 1, v16
	v_add_u32_e32 v16, -1, v17
	v_min_u32_e32 v16, v22, v16
	v_lshlrev_b32_e32 v16, 3, v16
	ds_read_b64 v[20:21], v16
	v_cndmask_b32_e64 v17, v9, v7, s[0:1]
	v_cndmask_b32_e64 v16, v8, v6, s[0:1]
	v_cndmask_b32_e32 v7, v5, v19, vcc
	v_cndmask_b32_e32 v6, v4, v18, vcc
	s_waitcnt lgkmcnt(0)
	v_cndmask_b32_e32 v5, v21, v5, vcc
	v_cndmask_b32_e32 v4, v20, v4, vcc
	;; [unrolled: 1-line block ×6, first 2 shown]
	v_cmp_gt_u32_e64 s[0:1], s6, v13
	v_cmp_ngt_f64_e64 s[2:3], v[4:5], v[8:9]
	v_cmp_le_u32_e32 vcc, s7, v15
	s_and_b64 s[0:1], s[0:1], s[2:3]
	s_or_b64 vcc, vcc, s[0:1]
	v_cndmask_b32_e32 v19, v5, v9, vcc
	v_cndmask_b32_e32 v18, v4, v8, vcc
.LBB472_34:
	s_or_b64 exec, exec, s[8:9]
	s_sub_i32 s6, s17, s16
	s_mov_b32 s17, 0
	s_lshl_b64 s[0:1], s[16:17], 3
	s_add_u32 s0, s14, s0
	v_and_b32_e32 v4, 0xf8, v0
	s_addc_u32 s1, s15, s1
	v_lshl_add_u32 v4, v11, 3, v4
	s_cmpk_gt_u32 s6, 0x3ff
	s_barrier
	ds_write2_b64 v4, v[2:3], v[16:17] offset1:1
	ds_write2_b64 v4, v[6:7], v[18:19] offset0:2 offset1:3
	v_lshrrev_b32_e32 v6, 5, v10
	v_lshrrev_b32_e32 v5, 5, v12
	;; [unrolled: 1-line block ×3, first 2 shown]
	s_waitcnt lgkmcnt(0)
	s_cbranch_scc0 .LBB472_36
; %bb.35:
	v_lshrrev_b32_e32 v2, 5, v0
	v_add_lshl_u32 v2, v2, v0, 3
	v_add_lshl_u32 v3, v6, v0, 3
	s_barrier
	v_add_lshl_u32 v7, v5, v0, 3
	v_add_lshl_u32 v11, v4, v0, 3
	ds_read_b64 v[8:9], v2
	ds_read_b64 v[16:17], v3 offset:2048
	ds_read_b64 v[18:19], v7 offset:4096
	;; [unrolled: 1-line block ×3, first 2 shown]
	v_mov_b32_e32 v7, s1
	v_add_co_u32_e32 v11, vcc, s0, v1
	v_addc_co_u32_e32 v7, vcc, 0, v7, vcc
	s_waitcnt lgkmcnt(3)
	global_store_dwordx2 v1, v[8:9], s[0:1]
	s_waitcnt lgkmcnt(2)
	global_store_dwordx2 v1, v[16:17], s[0:1] offset:2048
	v_add_co_u32_e32 v8, vcc, 0x1000, v11
	v_addc_co_u32_e32 v9, vcc, 0, v7, vcc
	s_waitcnt lgkmcnt(1)
	global_store_dwordx2 v[8:9], v[18:19], off
	s_mov_b64 s[2:3], -1
	s_cbranch_execz .LBB472_37
	s_branch .LBB472_42
.LBB472_36:
	s_mov_b64 s[2:3], 0
                                        ; implicit-def: $vgpr2_vgpr3
.LBB472_37:
	s_waitcnt lgkmcnt(0)
	v_add_lshl_u32 v2, v6, v0, 3
	v_add_lshl_u32 v3, v5, v0, 3
	s_barrier
	v_add_lshl_u32 v6, v4, v0, 3
	ds_read_b64 v[8:9], v2 offset:2048
	ds_read_b64 v[4:5], v3 offset:4096
	;; [unrolled: 1-line block ×3, first 2 shown]
	v_mov_b32_e32 v7, s1
	v_add_co_u32_e32 v6, vcc, s0, v1
	v_addc_co_u32_e32 v7, vcc, 0, v7, vcc
	v_cmp_gt_u32_e32 vcc, s6, v0
	s_and_saveexec_b64 s[2:3], vcc
	s_cbranch_execnz .LBB472_45
; %bb.38:
	s_or_b64 exec, exec, s[2:3]
	v_cmp_gt_u32_e32 vcc, s6, v10
	s_and_saveexec_b64 s[2:3], vcc
	s_cbranch_execnz .LBB472_46
.LBB472_39:
	s_or_b64 exec, exec, s[2:3]
	v_cmp_gt_u32_e32 vcc, s6, v12
	s_and_saveexec_b64 s[2:3], vcc
	s_cbranch_execz .LBB472_41
.LBB472_40:
	v_add_co_u32_e32 v6, vcc, 0x1000, v6
	v_addc_co_u32_e32 v7, vcc, 0, v7, vcc
	s_waitcnt lgkmcnt(1)
	global_store_dwordx2 v[6:7], v[4:5], off
.LBB472_41:
	s_or_b64 exec, exec, s[2:3]
	v_cmp_gt_u32_e64 s[2:3], s6, v14
.LBB472_42:
	s_and_saveexec_b64 s[4:5], s[2:3]
	s_cbranch_execnz .LBB472_44
; %bb.43:
	s_endpgm
.LBB472_44:
	v_mov_b32_e32 v0, s1
	v_add_co_u32_e32 v1, vcc, s0, v1
	s_waitcnt lgkmcnt(1)
	v_addc_co_u32_e32 v4, vcc, 0, v0, vcc
	v_add_co_u32_e32 v0, vcc, 0x1000, v1
	v_addc_co_u32_e32 v1, vcc, 0, v4, vcc
	s_waitcnt lgkmcnt(0)
	global_store_dwordx2 v[0:1], v[2:3], off offset:2048
	s_endpgm
.LBB472_45:
	v_lshrrev_b32_e32 v11, 5, v0
	v_add_lshl_u32 v0, v11, v0, 3
	ds_read_b64 v[16:17], v0
	s_waitcnt lgkmcnt(0)
	global_store_dwordx2 v[6:7], v[16:17], off
	s_or_b64 exec, exec, s[2:3]
	v_cmp_gt_u32_e32 vcc, s6, v10
	s_and_saveexec_b64 s[2:3], vcc
	s_cbranch_execz .LBB472_39
.LBB472_46:
	s_waitcnt lgkmcnt(2)
	global_store_dwordx2 v[6:7], v[8:9], off offset:2048
	s_or_b64 exec, exec, s[2:3]
	v_cmp_gt_u32_e32 vcc, s6, v12
	s_and_saveexec_b64 s[2:3], vcc
	s_cbranch_execnz .LBB472_40
	s_branch .LBB472_41
	.section	.rodata,"a",@progbits
	.p2align	6, 0x0
	.amdhsa_kernel _ZN7rocprim17ROCPRIM_400000_NS6detail17trampoline_kernelINS0_14default_configENS1_21merge_config_selectorIdNS0_10empty_typeEEEZNS1_10merge_implIS3_N6thrust23THRUST_200600_302600_NS6detail15normal_iteratorINS9_10device_ptrIKdEEEESF_NSB_INSC_IdEEEEPS5_SI_SI_NS9_7greaterIdEEEE10hipError_tPvRmT0_T1_T2_T3_T4_T5_mmT6_P12ihipStream_tbEUlT_E0_NS1_11comp_targetILNS1_3genE4ELNS1_11target_archE910ELNS1_3gpuE8ELNS1_3repE0EEENS1_30default_config_static_selectorELNS0_4arch9wavefront6targetE1EEEvSP_
		.amdhsa_group_segment_fixed_size 8448
		.amdhsa_private_segment_fixed_size 0
		.amdhsa_kernarg_size 88
		.amdhsa_user_sgpr_count 6
		.amdhsa_user_sgpr_private_segment_buffer 1
		.amdhsa_user_sgpr_dispatch_ptr 0
		.amdhsa_user_sgpr_queue_ptr 0
		.amdhsa_user_sgpr_kernarg_segment_ptr 1
		.amdhsa_user_sgpr_dispatch_id 0
		.amdhsa_user_sgpr_flat_scratch_init 0
		.amdhsa_user_sgpr_kernarg_preload_length 0
		.amdhsa_user_sgpr_kernarg_preload_offset 0
		.amdhsa_user_sgpr_private_segment_size 0
		.amdhsa_uses_dynamic_stack 0
		.amdhsa_system_sgpr_private_segment_wavefront_offset 0
		.amdhsa_system_sgpr_workgroup_id_x 1
		.amdhsa_system_sgpr_workgroup_id_y 0
		.amdhsa_system_sgpr_workgroup_id_z 0
		.amdhsa_system_sgpr_workgroup_info 0
		.amdhsa_system_vgpr_workitem_id 0
		.amdhsa_next_free_vgpr 23
		.amdhsa_next_free_sgpr 18
		.amdhsa_accum_offset 24
		.amdhsa_reserve_vcc 1
		.amdhsa_reserve_flat_scratch 0
		.amdhsa_float_round_mode_32 0
		.amdhsa_float_round_mode_16_64 0
		.amdhsa_float_denorm_mode_32 3
		.amdhsa_float_denorm_mode_16_64 3
		.amdhsa_dx10_clamp 1
		.amdhsa_ieee_mode 1
		.amdhsa_fp16_overflow 0
		.amdhsa_tg_split 0
		.amdhsa_exception_fp_ieee_invalid_op 0
		.amdhsa_exception_fp_denorm_src 0
		.amdhsa_exception_fp_ieee_div_zero 0
		.amdhsa_exception_fp_ieee_overflow 0
		.amdhsa_exception_fp_ieee_underflow 0
		.amdhsa_exception_fp_ieee_inexact 0
		.amdhsa_exception_int_div_zero 0
	.end_amdhsa_kernel
	.section	.text._ZN7rocprim17ROCPRIM_400000_NS6detail17trampoline_kernelINS0_14default_configENS1_21merge_config_selectorIdNS0_10empty_typeEEEZNS1_10merge_implIS3_N6thrust23THRUST_200600_302600_NS6detail15normal_iteratorINS9_10device_ptrIKdEEEESF_NSB_INSC_IdEEEEPS5_SI_SI_NS9_7greaterIdEEEE10hipError_tPvRmT0_T1_T2_T3_T4_T5_mmT6_P12ihipStream_tbEUlT_E0_NS1_11comp_targetILNS1_3genE4ELNS1_11target_archE910ELNS1_3gpuE8ELNS1_3repE0EEENS1_30default_config_static_selectorELNS0_4arch9wavefront6targetE1EEEvSP_,"axG",@progbits,_ZN7rocprim17ROCPRIM_400000_NS6detail17trampoline_kernelINS0_14default_configENS1_21merge_config_selectorIdNS0_10empty_typeEEEZNS1_10merge_implIS3_N6thrust23THRUST_200600_302600_NS6detail15normal_iteratorINS9_10device_ptrIKdEEEESF_NSB_INSC_IdEEEEPS5_SI_SI_NS9_7greaterIdEEEE10hipError_tPvRmT0_T1_T2_T3_T4_T5_mmT6_P12ihipStream_tbEUlT_E0_NS1_11comp_targetILNS1_3genE4ELNS1_11target_archE910ELNS1_3gpuE8ELNS1_3repE0EEENS1_30default_config_static_selectorELNS0_4arch9wavefront6targetE1EEEvSP_,comdat
.Lfunc_end472:
	.size	_ZN7rocprim17ROCPRIM_400000_NS6detail17trampoline_kernelINS0_14default_configENS1_21merge_config_selectorIdNS0_10empty_typeEEEZNS1_10merge_implIS3_N6thrust23THRUST_200600_302600_NS6detail15normal_iteratorINS9_10device_ptrIKdEEEESF_NSB_INSC_IdEEEEPS5_SI_SI_NS9_7greaterIdEEEE10hipError_tPvRmT0_T1_T2_T3_T4_T5_mmT6_P12ihipStream_tbEUlT_E0_NS1_11comp_targetILNS1_3genE4ELNS1_11target_archE910ELNS1_3gpuE8ELNS1_3repE0EEENS1_30default_config_static_selectorELNS0_4arch9wavefront6targetE1EEEvSP_, .Lfunc_end472-_ZN7rocprim17ROCPRIM_400000_NS6detail17trampoline_kernelINS0_14default_configENS1_21merge_config_selectorIdNS0_10empty_typeEEEZNS1_10merge_implIS3_N6thrust23THRUST_200600_302600_NS6detail15normal_iteratorINS9_10device_ptrIKdEEEESF_NSB_INSC_IdEEEEPS5_SI_SI_NS9_7greaterIdEEEE10hipError_tPvRmT0_T1_T2_T3_T4_T5_mmT6_P12ihipStream_tbEUlT_E0_NS1_11comp_targetILNS1_3genE4ELNS1_11target_archE910ELNS1_3gpuE8ELNS1_3repE0EEENS1_30default_config_static_selectorELNS0_4arch9wavefront6targetE1EEEvSP_
                                        ; -- End function
	.section	.AMDGPU.csdata,"",@progbits
; Kernel info:
; codeLenInByte = 1796
; NumSgprs: 22
; NumVgprs: 23
; NumAgprs: 0
; TotalNumVgprs: 23
; ScratchSize: 0
; MemoryBound: 0
; FloatMode: 240
; IeeeMode: 1
; LDSByteSize: 8448 bytes/workgroup (compile time only)
; SGPRBlocks: 2
; VGPRBlocks: 2
; NumSGPRsForWavesPerEU: 22
; NumVGPRsForWavesPerEU: 23
; AccumOffset: 24
; Occupancy: 7
; WaveLimiterHint : 1
; COMPUTE_PGM_RSRC2:SCRATCH_EN: 0
; COMPUTE_PGM_RSRC2:USER_SGPR: 6
; COMPUTE_PGM_RSRC2:TRAP_HANDLER: 0
; COMPUTE_PGM_RSRC2:TGID_X_EN: 1
; COMPUTE_PGM_RSRC2:TGID_Y_EN: 0
; COMPUTE_PGM_RSRC2:TGID_Z_EN: 0
; COMPUTE_PGM_RSRC2:TIDIG_COMP_CNT: 0
; COMPUTE_PGM_RSRC3_GFX90A:ACCUM_OFFSET: 5
; COMPUTE_PGM_RSRC3_GFX90A:TG_SPLIT: 0
	.section	.text._ZN7rocprim17ROCPRIM_400000_NS6detail17trampoline_kernelINS0_14default_configENS1_21merge_config_selectorIdNS0_10empty_typeEEEZNS1_10merge_implIS3_N6thrust23THRUST_200600_302600_NS6detail15normal_iteratorINS9_10device_ptrIKdEEEESF_NSB_INSC_IdEEEEPS5_SI_SI_NS9_7greaterIdEEEE10hipError_tPvRmT0_T1_T2_T3_T4_T5_mmT6_P12ihipStream_tbEUlT_E0_NS1_11comp_targetILNS1_3genE3ELNS1_11target_archE908ELNS1_3gpuE7ELNS1_3repE0EEENS1_30default_config_static_selectorELNS0_4arch9wavefront6targetE1EEEvSP_,"axG",@progbits,_ZN7rocprim17ROCPRIM_400000_NS6detail17trampoline_kernelINS0_14default_configENS1_21merge_config_selectorIdNS0_10empty_typeEEEZNS1_10merge_implIS3_N6thrust23THRUST_200600_302600_NS6detail15normal_iteratorINS9_10device_ptrIKdEEEESF_NSB_INSC_IdEEEEPS5_SI_SI_NS9_7greaterIdEEEE10hipError_tPvRmT0_T1_T2_T3_T4_T5_mmT6_P12ihipStream_tbEUlT_E0_NS1_11comp_targetILNS1_3genE3ELNS1_11target_archE908ELNS1_3gpuE7ELNS1_3repE0EEENS1_30default_config_static_selectorELNS0_4arch9wavefront6targetE1EEEvSP_,comdat
	.protected	_ZN7rocprim17ROCPRIM_400000_NS6detail17trampoline_kernelINS0_14default_configENS1_21merge_config_selectorIdNS0_10empty_typeEEEZNS1_10merge_implIS3_N6thrust23THRUST_200600_302600_NS6detail15normal_iteratorINS9_10device_ptrIKdEEEESF_NSB_INSC_IdEEEEPS5_SI_SI_NS9_7greaterIdEEEE10hipError_tPvRmT0_T1_T2_T3_T4_T5_mmT6_P12ihipStream_tbEUlT_E0_NS1_11comp_targetILNS1_3genE3ELNS1_11target_archE908ELNS1_3gpuE7ELNS1_3repE0EEENS1_30default_config_static_selectorELNS0_4arch9wavefront6targetE1EEEvSP_ ; -- Begin function _ZN7rocprim17ROCPRIM_400000_NS6detail17trampoline_kernelINS0_14default_configENS1_21merge_config_selectorIdNS0_10empty_typeEEEZNS1_10merge_implIS3_N6thrust23THRUST_200600_302600_NS6detail15normal_iteratorINS9_10device_ptrIKdEEEESF_NSB_INSC_IdEEEEPS5_SI_SI_NS9_7greaterIdEEEE10hipError_tPvRmT0_T1_T2_T3_T4_T5_mmT6_P12ihipStream_tbEUlT_E0_NS1_11comp_targetILNS1_3genE3ELNS1_11target_archE908ELNS1_3gpuE7ELNS1_3repE0EEENS1_30default_config_static_selectorELNS0_4arch9wavefront6targetE1EEEvSP_
	.globl	_ZN7rocprim17ROCPRIM_400000_NS6detail17trampoline_kernelINS0_14default_configENS1_21merge_config_selectorIdNS0_10empty_typeEEEZNS1_10merge_implIS3_N6thrust23THRUST_200600_302600_NS6detail15normal_iteratorINS9_10device_ptrIKdEEEESF_NSB_INSC_IdEEEEPS5_SI_SI_NS9_7greaterIdEEEE10hipError_tPvRmT0_T1_T2_T3_T4_T5_mmT6_P12ihipStream_tbEUlT_E0_NS1_11comp_targetILNS1_3genE3ELNS1_11target_archE908ELNS1_3gpuE7ELNS1_3repE0EEENS1_30default_config_static_selectorELNS0_4arch9wavefront6targetE1EEEvSP_
	.p2align	8
	.type	_ZN7rocprim17ROCPRIM_400000_NS6detail17trampoline_kernelINS0_14default_configENS1_21merge_config_selectorIdNS0_10empty_typeEEEZNS1_10merge_implIS3_N6thrust23THRUST_200600_302600_NS6detail15normal_iteratorINS9_10device_ptrIKdEEEESF_NSB_INSC_IdEEEEPS5_SI_SI_NS9_7greaterIdEEEE10hipError_tPvRmT0_T1_T2_T3_T4_T5_mmT6_P12ihipStream_tbEUlT_E0_NS1_11comp_targetILNS1_3genE3ELNS1_11target_archE908ELNS1_3gpuE7ELNS1_3repE0EEENS1_30default_config_static_selectorELNS0_4arch9wavefront6targetE1EEEvSP_,@function
_ZN7rocprim17ROCPRIM_400000_NS6detail17trampoline_kernelINS0_14default_configENS1_21merge_config_selectorIdNS0_10empty_typeEEEZNS1_10merge_implIS3_N6thrust23THRUST_200600_302600_NS6detail15normal_iteratorINS9_10device_ptrIKdEEEESF_NSB_INSC_IdEEEEPS5_SI_SI_NS9_7greaterIdEEEE10hipError_tPvRmT0_T1_T2_T3_T4_T5_mmT6_P12ihipStream_tbEUlT_E0_NS1_11comp_targetILNS1_3genE3ELNS1_11target_archE908ELNS1_3gpuE7ELNS1_3repE0EEENS1_30default_config_static_selectorELNS0_4arch9wavefront6targetE1EEEvSP_: ; @_ZN7rocprim17ROCPRIM_400000_NS6detail17trampoline_kernelINS0_14default_configENS1_21merge_config_selectorIdNS0_10empty_typeEEEZNS1_10merge_implIS3_N6thrust23THRUST_200600_302600_NS6detail15normal_iteratorINS9_10device_ptrIKdEEEESF_NSB_INSC_IdEEEEPS5_SI_SI_NS9_7greaterIdEEEE10hipError_tPvRmT0_T1_T2_T3_T4_T5_mmT6_P12ihipStream_tbEUlT_E0_NS1_11comp_targetILNS1_3genE3ELNS1_11target_archE908ELNS1_3gpuE7ELNS1_3repE0EEENS1_30default_config_static_selectorELNS0_4arch9wavefront6targetE1EEEvSP_
; %bb.0:
	.section	.rodata,"a",@progbits
	.p2align	6, 0x0
	.amdhsa_kernel _ZN7rocprim17ROCPRIM_400000_NS6detail17trampoline_kernelINS0_14default_configENS1_21merge_config_selectorIdNS0_10empty_typeEEEZNS1_10merge_implIS3_N6thrust23THRUST_200600_302600_NS6detail15normal_iteratorINS9_10device_ptrIKdEEEESF_NSB_INSC_IdEEEEPS5_SI_SI_NS9_7greaterIdEEEE10hipError_tPvRmT0_T1_T2_T3_T4_T5_mmT6_P12ihipStream_tbEUlT_E0_NS1_11comp_targetILNS1_3genE3ELNS1_11target_archE908ELNS1_3gpuE7ELNS1_3repE0EEENS1_30default_config_static_selectorELNS0_4arch9wavefront6targetE1EEEvSP_
		.amdhsa_group_segment_fixed_size 0
		.amdhsa_private_segment_fixed_size 0
		.amdhsa_kernarg_size 88
		.amdhsa_user_sgpr_count 6
		.amdhsa_user_sgpr_private_segment_buffer 1
		.amdhsa_user_sgpr_dispatch_ptr 0
		.amdhsa_user_sgpr_queue_ptr 0
		.amdhsa_user_sgpr_kernarg_segment_ptr 1
		.amdhsa_user_sgpr_dispatch_id 0
		.amdhsa_user_sgpr_flat_scratch_init 0
		.amdhsa_user_sgpr_kernarg_preload_length 0
		.amdhsa_user_sgpr_kernarg_preload_offset 0
		.amdhsa_user_sgpr_private_segment_size 0
		.amdhsa_uses_dynamic_stack 0
		.amdhsa_system_sgpr_private_segment_wavefront_offset 0
		.amdhsa_system_sgpr_workgroup_id_x 1
		.amdhsa_system_sgpr_workgroup_id_y 0
		.amdhsa_system_sgpr_workgroup_id_z 0
		.amdhsa_system_sgpr_workgroup_info 0
		.amdhsa_system_vgpr_workitem_id 0
		.amdhsa_next_free_vgpr 1
		.amdhsa_next_free_sgpr 0
		.amdhsa_accum_offset 4
		.amdhsa_reserve_vcc 0
		.amdhsa_reserve_flat_scratch 0
		.amdhsa_float_round_mode_32 0
		.amdhsa_float_round_mode_16_64 0
		.amdhsa_float_denorm_mode_32 3
		.amdhsa_float_denorm_mode_16_64 3
		.amdhsa_dx10_clamp 1
		.amdhsa_ieee_mode 1
		.amdhsa_fp16_overflow 0
		.amdhsa_tg_split 0
		.amdhsa_exception_fp_ieee_invalid_op 0
		.amdhsa_exception_fp_denorm_src 0
		.amdhsa_exception_fp_ieee_div_zero 0
		.amdhsa_exception_fp_ieee_overflow 0
		.amdhsa_exception_fp_ieee_underflow 0
		.amdhsa_exception_fp_ieee_inexact 0
		.amdhsa_exception_int_div_zero 0
	.end_amdhsa_kernel
	.section	.text._ZN7rocprim17ROCPRIM_400000_NS6detail17trampoline_kernelINS0_14default_configENS1_21merge_config_selectorIdNS0_10empty_typeEEEZNS1_10merge_implIS3_N6thrust23THRUST_200600_302600_NS6detail15normal_iteratorINS9_10device_ptrIKdEEEESF_NSB_INSC_IdEEEEPS5_SI_SI_NS9_7greaterIdEEEE10hipError_tPvRmT0_T1_T2_T3_T4_T5_mmT6_P12ihipStream_tbEUlT_E0_NS1_11comp_targetILNS1_3genE3ELNS1_11target_archE908ELNS1_3gpuE7ELNS1_3repE0EEENS1_30default_config_static_selectorELNS0_4arch9wavefront6targetE1EEEvSP_,"axG",@progbits,_ZN7rocprim17ROCPRIM_400000_NS6detail17trampoline_kernelINS0_14default_configENS1_21merge_config_selectorIdNS0_10empty_typeEEEZNS1_10merge_implIS3_N6thrust23THRUST_200600_302600_NS6detail15normal_iteratorINS9_10device_ptrIKdEEEESF_NSB_INSC_IdEEEEPS5_SI_SI_NS9_7greaterIdEEEE10hipError_tPvRmT0_T1_T2_T3_T4_T5_mmT6_P12ihipStream_tbEUlT_E0_NS1_11comp_targetILNS1_3genE3ELNS1_11target_archE908ELNS1_3gpuE7ELNS1_3repE0EEENS1_30default_config_static_selectorELNS0_4arch9wavefront6targetE1EEEvSP_,comdat
.Lfunc_end473:
	.size	_ZN7rocprim17ROCPRIM_400000_NS6detail17trampoline_kernelINS0_14default_configENS1_21merge_config_selectorIdNS0_10empty_typeEEEZNS1_10merge_implIS3_N6thrust23THRUST_200600_302600_NS6detail15normal_iteratorINS9_10device_ptrIKdEEEESF_NSB_INSC_IdEEEEPS5_SI_SI_NS9_7greaterIdEEEE10hipError_tPvRmT0_T1_T2_T3_T4_T5_mmT6_P12ihipStream_tbEUlT_E0_NS1_11comp_targetILNS1_3genE3ELNS1_11target_archE908ELNS1_3gpuE7ELNS1_3repE0EEENS1_30default_config_static_selectorELNS0_4arch9wavefront6targetE1EEEvSP_, .Lfunc_end473-_ZN7rocprim17ROCPRIM_400000_NS6detail17trampoline_kernelINS0_14default_configENS1_21merge_config_selectorIdNS0_10empty_typeEEEZNS1_10merge_implIS3_N6thrust23THRUST_200600_302600_NS6detail15normal_iteratorINS9_10device_ptrIKdEEEESF_NSB_INSC_IdEEEEPS5_SI_SI_NS9_7greaterIdEEEE10hipError_tPvRmT0_T1_T2_T3_T4_T5_mmT6_P12ihipStream_tbEUlT_E0_NS1_11comp_targetILNS1_3genE3ELNS1_11target_archE908ELNS1_3gpuE7ELNS1_3repE0EEENS1_30default_config_static_selectorELNS0_4arch9wavefront6targetE1EEEvSP_
                                        ; -- End function
	.section	.AMDGPU.csdata,"",@progbits
; Kernel info:
; codeLenInByte = 0
; NumSgprs: 4
; NumVgprs: 0
; NumAgprs: 0
; TotalNumVgprs: 0
; ScratchSize: 0
; MemoryBound: 0
; FloatMode: 240
; IeeeMode: 1
; LDSByteSize: 0 bytes/workgroup (compile time only)
; SGPRBlocks: 0
; VGPRBlocks: 0
; NumSGPRsForWavesPerEU: 4
; NumVGPRsForWavesPerEU: 1
; AccumOffset: 4
; Occupancy: 8
; WaveLimiterHint : 0
; COMPUTE_PGM_RSRC2:SCRATCH_EN: 0
; COMPUTE_PGM_RSRC2:USER_SGPR: 6
; COMPUTE_PGM_RSRC2:TRAP_HANDLER: 0
; COMPUTE_PGM_RSRC2:TGID_X_EN: 1
; COMPUTE_PGM_RSRC2:TGID_Y_EN: 0
; COMPUTE_PGM_RSRC2:TGID_Z_EN: 0
; COMPUTE_PGM_RSRC2:TIDIG_COMP_CNT: 0
; COMPUTE_PGM_RSRC3_GFX90A:ACCUM_OFFSET: 0
; COMPUTE_PGM_RSRC3_GFX90A:TG_SPLIT: 0
	.section	.text._ZN7rocprim17ROCPRIM_400000_NS6detail17trampoline_kernelINS0_14default_configENS1_21merge_config_selectorIdNS0_10empty_typeEEEZNS1_10merge_implIS3_N6thrust23THRUST_200600_302600_NS6detail15normal_iteratorINS9_10device_ptrIKdEEEESF_NSB_INSC_IdEEEEPS5_SI_SI_NS9_7greaterIdEEEE10hipError_tPvRmT0_T1_T2_T3_T4_T5_mmT6_P12ihipStream_tbEUlT_E0_NS1_11comp_targetILNS1_3genE2ELNS1_11target_archE906ELNS1_3gpuE6ELNS1_3repE0EEENS1_30default_config_static_selectorELNS0_4arch9wavefront6targetE1EEEvSP_,"axG",@progbits,_ZN7rocprim17ROCPRIM_400000_NS6detail17trampoline_kernelINS0_14default_configENS1_21merge_config_selectorIdNS0_10empty_typeEEEZNS1_10merge_implIS3_N6thrust23THRUST_200600_302600_NS6detail15normal_iteratorINS9_10device_ptrIKdEEEESF_NSB_INSC_IdEEEEPS5_SI_SI_NS9_7greaterIdEEEE10hipError_tPvRmT0_T1_T2_T3_T4_T5_mmT6_P12ihipStream_tbEUlT_E0_NS1_11comp_targetILNS1_3genE2ELNS1_11target_archE906ELNS1_3gpuE6ELNS1_3repE0EEENS1_30default_config_static_selectorELNS0_4arch9wavefront6targetE1EEEvSP_,comdat
	.protected	_ZN7rocprim17ROCPRIM_400000_NS6detail17trampoline_kernelINS0_14default_configENS1_21merge_config_selectorIdNS0_10empty_typeEEEZNS1_10merge_implIS3_N6thrust23THRUST_200600_302600_NS6detail15normal_iteratorINS9_10device_ptrIKdEEEESF_NSB_INSC_IdEEEEPS5_SI_SI_NS9_7greaterIdEEEE10hipError_tPvRmT0_T1_T2_T3_T4_T5_mmT6_P12ihipStream_tbEUlT_E0_NS1_11comp_targetILNS1_3genE2ELNS1_11target_archE906ELNS1_3gpuE6ELNS1_3repE0EEENS1_30default_config_static_selectorELNS0_4arch9wavefront6targetE1EEEvSP_ ; -- Begin function _ZN7rocprim17ROCPRIM_400000_NS6detail17trampoline_kernelINS0_14default_configENS1_21merge_config_selectorIdNS0_10empty_typeEEEZNS1_10merge_implIS3_N6thrust23THRUST_200600_302600_NS6detail15normal_iteratorINS9_10device_ptrIKdEEEESF_NSB_INSC_IdEEEEPS5_SI_SI_NS9_7greaterIdEEEE10hipError_tPvRmT0_T1_T2_T3_T4_T5_mmT6_P12ihipStream_tbEUlT_E0_NS1_11comp_targetILNS1_3genE2ELNS1_11target_archE906ELNS1_3gpuE6ELNS1_3repE0EEENS1_30default_config_static_selectorELNS0_4arch9wavefront6targetE1EEEvSP_
	.globl	_ZN7rocprim17ROCPRIM_400000_NS6detail17trampoline_kernelINS0_14default_configENS1_21merge_config_selectorIdNS0_10empty_typeEEEZNS1_10merge_implIS3_N6thrust23THRUST_200600_302600_NS6detail15normal_iteratorINS9_10device_ptrIKdEEEESF_NSB_INSC_IdEEEEPS5_SI_SI_NS9_7greaterIdEEEE10hipError_tPvRmT0_T1_T2_T3_T4_T5_mmT6_P12ihipStream_tbEUlT_E0_NS1_11comp_targetILNS1_3genE2ELNS1_11target_archE906ELNS1_3gpuE6ELNS1_3repE0EEENS1_30default_config_static_selectorELNS0_4arch9wavefront6targetE1EEEvSP_
	.p2align	8
	.type	_ZN7rocprim17ROCPRIM_400000_NS6detail17trampoline_kernelINS0_14default_configENS1_21merge_config_selectorIdNS0_10empty_typeEEEZNS1_10merge_implIS3_N6thrust23THRUST_200600_302600_NS6detail15normal_iteratorINS9_10device_ptrIKdEEEESF_NSB_INSC_IdEEEEPS5_SI_SI_NS9_7greaterIdEEEE10hipError_tPvRmT0_T1_T2_T3_T4_T5_mmT6_P12ihipStream_tbEUlT_E0_NS1_11comp_targetILNS1_3genE2ELNS1_11target_archE906ELNS1_3gpuE6ELNS1_3repE0EEENS1_30default_config_static_selectorELNS0_4arch9wavefront6targetE1EEEvSP_,@function
_ZN7rocprim17ROCPRIM_400000_NS6detail17trampoline_kernelINS0_14default_configENS1_21merge_config_selectorIdNS0_10empty_typeEEEZNS1_10merge_implIS3_N6thrust23THRUST_200600_302600_NS6detail15normal_iteratorINS9_10device_ptrIKdEEEESF_NSB_INSC_IdEEEEPS5_SI_SI_NS9_7greaterIdEEEE10hipError_tPvRmT0_T1_T2_T3_T4_T5_mmT6_P12ihipStream_tbEUlT_E0_NS1_11comp_targetILNS1_3genE2ELNS1_11target_archE906ELNS1_3gpuE6ELNS1_3repE0EEENS1_30default_config_static_selectorELNS0_4arch9wavefront6targetE1EEEvSP_: ; @_ZN7rocprim17ROCPRIM_400000_NS6detail17trampoline_kernelINS0_14default_configENS1_21merge_config_selectorIdNS0_10empty_typeEEEZNS1_10merge_implIS3_N6thrust23THRUST_200600_302600_NS6detail15normal_iteratorINS9_10device_ptrIKdEEEESF_NSB_INSC_IdEEEEPS5_SI_SI_NS9_7greaterIdEEEE10hipError_tPvRmT0_T1_T2_T3_T4_T5_mmT6_P12ihipStream_tbEUlT_E0_NS1_11comp_targetILNS1_3genE2ELNS1_11target_archE906ELNS1_3gpuE6ELNS1_3repE0EEENS1_30default_config_static_selectorELNS0_4arch9wavefront6targetE1EEEvSP_
; %bb.0:
	.section	.rodata,"a",@progbits
	.p2align	6, 0x0
	.amdhsa_kernel _ZN7rocprim17ROCPRIM_400000_NS6detail17trampoline_kernelINS0_14default_configENS1_21merge_config_selectorIdNS0_10empty_typeEEEZNS1_10merge_implIS3_N6thrust23THRUST_200600_302600_NS6detail15normal_iteratorINS9_10device_ptrIKdEEEESF_NSB_INSC_IdEEEEPS5_SI_SI_NS9_7greaterIdEEEE10hipError_tPvRmT0_T1_T2_T3_T4_T5_mmT6_P12ihipStream_tbEUlT_E0_NS1_11comp_targetILNS1_3genE2ELNS1_11target_archE906ELNS1_3gpuE6ELNS1_3repE0EEENS1_30default_config_static_selectorELNS0_4arch9wavefront6targetE1EEEvSP_
		.amdhsa_group_segment_fixed_size 0
		.amdhsa_private_segment_fixed_size 0
		.amdhsa_kernarg_size 88
		.amdhsa_user_sgpr_count 6
		.amdhsa_user_sgpr_private_segment_buffer 1
		.amdhsa_user_sgpr_dispatch_ptr 0
		.amdhsa_user_sgpr_queue_ptr 0
		.amdhsa_user_sgpr_kernarg_segment_ptr 1
		.amdhsa_user_sgpr_dispatch_id 0
		.amdhsa_user_sgpr_flat_scratch_init 0
		.amdhsa_user_sgpr_kernarg_preload_length 0
		.amdhsa_user_sgpr_kernarg_preload_offset 0
		.amdhsa_user_sgpr_private_segment_size 0
		.amdhsa_uses_dynamic_stack 0
		.amdhsa_system_sgpr_private_segment_wavefront_offset 0
		.amdhsa_system_sgpr_workgroup_id_x 1
		.amdhsa_system_sgpr_workgroup_id_y 0
		.amdhsa_system_sgpr_workgroup_id_z 0
		.amdhsa_system_sgpr_workgroup_info 0
		.amdhsa_system_vgpr_workitem_id 0
		.amdhsa_next_free_vgpr 1
		.amdhsa_next_free_sgpr 0
		.amdhsa_accum_offset 4
		.amdhsa_reserve_vcc 0
		.amdhsa_reserve_flat_scratch 0
		.amdhsa_float_round_mode_32 0
		.amdhsa_float_round_mode_16_64 0
		.amdhsa_float_denorm_mode_32 3
		.amdhsa_float_denorm_mode_16_64 3
		.amdhsa_dx10_clamp 1
		.amdhsa_ieee_mode 1
		.amdhsa_fp16_overflow 0
		.amdhsa_tg_split 0
		.amdhsa_exception_fp_ieee_invalid_op 0
		.amdhsa_exception_fp_denorm_src 0
		.amdhsa_exception_fp_ieee_div_zero 0
		.amdhsa_exception_fp_ieee_overflow 0
		.amdhsa_exception_fp_ieee_underflow 0
		.amdhsa_exception_fp_ieee_inexact 0
		.amdhsa_exception_int_div_zero 0
	.end_amdhsa_kernel
	.section	.text._ZN7rocprim17ROCPRIM_400000_NS6detail17trampoline_kernelINS0_14default_configENS1_21merge_config_selectorIdNS0_10empty_typeEEEZNS1_10merge_implIS3_N6thrust23THRUST_200600_302600_NS6detail15normal_iteratorINS9_10device_ptrIKdEEEESF_NSB_INSC_IdEEEEPS5_SI_SI_NS9_7greaterIdEEEE10hipError_tPvRmT0_T1_T2_T3_T4_T5_mmT6_P12ihipStream_tbEUlT_E0_NS1_11comp_targetILNS1_3genE2ELNS1_11target_archE906ELNS1_3gpuE6ELNS1_3repE0EEENS1_30default_config_static_selectorELNS0_4arch9wavefront6targetE1EEEvSP_,"axG",@progbits,_ZN7rocprim17ROCPRIM_400000_NS6detail17trampoline_kernelINS0_14default_configENS1_21merge_config_selectorIdNS0_10empty_typeEEEZNS1_10merge_implIS3_N6thrust23THRUST_200600_302600_NS6detail15normal_iteratorINS9_10device_ptrIKdEEEESF_NSB_INSC_IdEEEEPS5_SI_SI_NS9_7greaterIdEEEE10hipError_tPvRmT0_T1_T2_T3_T4_T5_mmT6_P12ihipStream_tbEUlT_E0_NS1_11comp_targetILNS1_3genE2ELNS1_11target_archE906ELNS1_3gpuE6ELNS1_3repE0EEENS1_30default_config_static_selectorELNS0_4arch9wavefront6targetE1EEEvSP_,comdat
.Lfunc_end474:
	.size	_ZN7rocprim17ROCPRIM_400000_NS6detail17trampoline_kernelINS0_14default_configENS1_21merge_config_selectorIdNS0_10empty_typeEEEZNS1_10merge_implIS3_N6thrust23THRUST_200600_302600_NS6detail15normal_iteratorINS9_10device_ptrIKdEEEESF_NSB_INSC_IdEEEEPS5_SI_SI_NS9_7greaterIdEEEE10hipError_tPvRmT0_T1_T2_T3_T4_T5_mmT6_P12ihipStream_tbEUlT_E0_NS1_11comp_targetILNS1_3genE2ELNS1_11target_archE906ELNS1_3gpuE6ELNS1_3repE0EEENS1_30default_config_static_selectorELNS0_4arch9wavefront6targetE1EEEvSP_, .Lfunc_end474-_ZN7rocprim17ROCPRIM_400000_NS6detail17trampoline_kernelINS0_14default_configENS1_21merge_config_selectorIdNS0_10empty_typeEEEZNS1_10merge_implIS3_N6thrust23THRUST_200600_302600_NS6detail15normal_iteratorINS9_10device_ptrIKdEEEESF_NSB_INSC_IdEEEEPS5_SI_SI_NS9_7greaterIdEEEE10hipError_tPvRmT0_T1_T2_T3_T4_T5_mmT6_P12ihipStream_tbEUlT_E0_NS1_11comp_targetILNS1_3genE2ELNS1_11target_archE906ELNS1_3gpuE6ELNS1_3repE0EEENS1_30default_config_static_selectorELNS0_4arch9wavefront6targetE1EEEvSP_
                                        ; -- End function
	.section	.AMDGPU.csdata,"",@progbits
; Kernel info:
; codeLenInByte = 0
; NumSgprs: 4
; NumVgprs: 0
; NumAgprs: 0
; TotalNumVgprs: 0
; ScratchSize: 0
; MemoryBound: 0
; FloatMode: 240
; IeeeMode: 1
; LDSByteSize: 0 bytes/workgroup (compile time only)
; SGPRBlocks: 0
; VGPRBlocks: 0
; NumSGPRsForWavesPerEU: 4
; NumVGPRsForWavesPerEU: 1
; AccumOffset: 4
; Occupancy: 8
; WaveLimiterHint : 0
; COMPUTE_PGM_RSRC2:SCRATCH_EN: 0
; COMPUTE_PGM_RSRC2:USER_SGPR: 6
; COMPUTE_PGM_RSRC2:TRAP_HANDLER: 0
; COMPUTE_PGM_RSRC2:TGID_X_EN: 1
; COMPUTE_PGM_RSRC2:TGID_Y_EN: 0
; COMPUTE_PGM_RSRC2:TGID_Z_EN: 0
; COMPUTE_PGM_RSRC2:TIDIG_COMP_CNT: 0
; COMPUTE_PGM_RSRC3_GFX90A:ACCUM_OFFSET: 0
; COMPUTE_PGM_RSRC3_GFX90A:TG_SPLIT: 0
	.section	.text._ZN7rocprim17ROCPRIM_400000_NS6detail17trampoline_kernelINS0_14default_configENS1_21merge_config_selectorIdNS0_10empty_typeEEEZNS1_10merge_implIS3_N6thrust23THRUST_200600_302600_NS6detail15normal_iteratorINS9_10device_ptrIKdEEEESF_NSB_INSC_IdEEEEPS5_SI_SI_NS9_7greaterIdEEEE10hipError_tPvRmT0_T1_T2_T3_T4_T5_mmT6_P12ihipStream_tbEUlT_E0_NS1_11comp_targetILNS1_3genE10ELNS1_11target_archE1201ELNS1_3gpuE5ELNS1_3repE0EEENS1_30default_config_static_selectorELNS0_4arch9wavefront6targetE1EEEvSP_,"axG",@progbits,_ZN7rocprim17ROCPRIM_400000_NS6detail17trampoline_kernelINS0_14default_configENS1_21merge_config_selectorIdNS0_10empty_typeEEEZNS1_10merge_implIS3_N6thrust23THRUST_200600_302600_NS6detail15normal_iteratorINS9_10device_ptrIKdEEEESF_NSB_INSC_IdEEEEPS5_SI_SI_NS9_7greaterIdEEEE10hipError_tPvRmT0_T1_T2_T3_T4_T5_mmT6_P12ihipStream_tbEUlT_E0_NS1_11comp_targetILNS1_3genE10ELNS1_11target_archE1201ELNS1_3gpuE5ELNS1_3repE0EEENS1_30default_config_static_selectorELNS0_4arch9wavefront6targetE1EEEvSP_,comdat
	.protected	_ZN7rocprim17ROCPRIM_400000_NS6detail17trampoline_kernelINS0_14default_configENS1_21merge_config_selectorIdNS0_10empty_typeEEEZNS1_10merge_implIS3_N6thrust23THRUST_200600_302600_NS6detail15normal_iteratorINS9_10device_ptrIKdEEEESF_NSB_INSC_IdEEEEPS5_SI_SI_NS9_7greaterIdEEEE10hipError_tPvRmT0_T1_T2_T3_T4_T5_mmT6_P12ihipStream_tbEUlT_E0_NS1_11comp_targetILNS1_3genE10ELNS1_11target_archE1201ELNS1_3gpuE5ELNS1_3repE0EEENS1_30default_config_static_selectorELNS0_4arch9wavefront6targetE1EEEvSP_ ; -- Begin function _ZN7rocprim17ROCPRIM_400000_NS6detail17trampoline_kernelINS0_14default_configENS1_21merge_config_selectorIdNS0_10empty_typeEEEZNS1_10merge_implIS3_N6thrust23THRUST_200600_302600_NS6detail15normal_iteratorINS9_10device_ptrIKdEEEESF_NSB_INSC_IdEEEEPS5_SI_SI_NS9_7greaterIdEEEE10hipError_tPvRmT0_T1_T2_T3_T4_T5_mmT6_P12ihipStream_tbEUlT_E0_NS1_11comp_targetILNS1_3genE10ELNS1_11target_archE1201ELNS1_3gpuE5ELNS1_3repE0EEENS1_30default_config_static_selectorELNS0_4arch9wavefront6targetE1EEEvSP_
	.globl	_ZN7rocprim17ROCPRIM_400000_NS6detail17trampoline_kernelINS0_14default_configENS1_21merge_config_selectorIdNS0_10empty_typeEEEZNS1_10merge_implIS3_N6thrust23THRUST_200600_302600_NS6detail15normal_iteratorINS9_10device_ptrIKdEEEESF_NSB_INSC_IdEEEEPS5_SI_SI_NS9_7greaterIdEEEE10hipError_tPvRmT0_T1_T2_T3_T4_T5_mmT6_P12ihipStream_tbEUlT_E0_NS1_11comp_targetILNS1_3genE10ELNS1_11target_archE1201ELNS1_3gpuE5ELNS1_3repE0EEENS1_30default_config_static_selectorELNS0_4arch9wavefront6targetE1EEEvSP_
	.p2align	8
	.type	_ZN7rocprim17ROCPRIM_400000_NS6detail17trampoline_kernelINS0_14default_configENS1_21merge_config_selectorIdNS0_10empty_typeEEEZNS1_10merge_implIS3_N6thrust23THRUST_200600_302600_NS6detail15normal_iteratorINS9_10device_ptrIKdEEEESF_NSB_INSC_IdEEEEPS5_SI_SI_NS9_7greaterIdEEEE10hipError_tPvRmT0_T1_T2_T3_T4_T5_mmT6_P12ihipStream_tbEUlT_E0_NS1_11comp_targetILNS1_3genE10ELNS1_11target_archE1201ELNS1_3gpuE5ELNS1_3repE0EEENS1_30default_config_static_selectorELNS0_4arch9wavefront6targetE1EEEvSP_,@function
_ZN7rocprim17ROCPRIM_400000_NS6detail17trampoline_kernelINS0_14default_configENS1_21merge_config_selectorIdNS0_10empty_typeEEEZNS1_10merge_implIS3_N6thrust23THRUST_200600_302600_NS6detail15normal_iteratorINS9_10device_ptrIKdEEEESF_NSB_INSC_IdEEEEPS5_SI_SI_NS9_7greaterIdEEEE10hipError_tPvRmT0_T1_T2_T3_T4_T5_mmT6_P12ihipStream_tbEUlT_E0_NS1_11comp_targetILNS1_3genE10ELNS1_11target_archE1201ELNS1_3gpuE5ELNS1_3repE0EEENS1_30default_config_static_selectorELNS0_4arch9wavefront6targetE1EEEvSP_: ; @_ZN7rocprim17ROCPRIM_400000_NS6detail17trampoline_kernelINS0_14default_configENS1_21merge_config_selectorIdNS0_10empty_typeEEEZNS1_10merge_implIS3_N6thrust23THRUST_200600_302600_NS6detail15normal_iteratorINS9_10device_ptrIKdEEEESF_NSB_INSC_IdEEEEPS5_SI_SI_NS9_7greaterIdEEEE10hipError_tPvRmT0_T1_T2_T3_T4_T5_mmT6_P12ihipStream_tbEUlT_E0_NS1_11comp_targetILNS1_3genE10ELNS1_11target_archE1201ELNS1_3gpuE5ELNS1_3repE0EEENS1_30default_config_static_selectorELNS0_4arch9wavefront6targetE1EEEvSP_
; %bb.0:
	.section	.rodata,"a",@progbits
	.p2align	6, 0x0
	.amdhsa_kernel _ZN7rocprim17ROCPRIM_400000_NS6detail17trampoline_kernelINS0_14default_configENS1_21merge_config_selectorIdNS0_10empty_typeEEEZNS1_10merge_implIS3_N6thrust23THRUST_200600_302600_NS6detail15normal_iteratorINS9_10device_ptrIKdEEEESF_NSB_INSC_IdEEEEPS5_SI_SI_NS9_7greaterIdEEEE10hipError_tPvRmT0_T1_T2_T3_T4_T5_mmT6_P12ihipStream_tbEUlT_E0_NS1_11comp_targetILNS1_3genE10ELNS1_11target_archE1201ELNS1_3gpuE5ELNS1_3repE0EEENS1_30default_config_static_selectorELNS0_4arch9wavefront6targetE1EEEvSP_
		.amdhsa_group_segment_fixed_size 0
		.amdhsa_private_segment_fixed_size 0
		.amdhsa_kernarg_size 88
		.amdhsa_user_sgpr_count 6
		.amdhsa_user_sgpr_private_segment_buffer 1
		.amdhsa_user_sgpr_dispatch_ptr 0
		.amdhsa_user_sgpr_queue_ptr 0
		.amdhsa_user_sgpr_kernarg_segment_ptr 1
		.amdhsa_user_sgpr_dispatch_id 0
		.amdhsa_user_sgpr_flat_scratch_init 0
		.amdhsa_user_sgpr_kernarg_preload_length 0
		.amdhsa_user_sgpr_kernarg_preload_offset 0
		.amdhsa_user_sgpr_private_segment_size 0
		.amdhsa_uses_dynamic_stack 0
		.amdhsa_system_sgpr_private_segment_wavefront_offset 0
		.amdhsa_system_sgpr_workgroup_id_x 1
		.amdhsa_system_sgpr_workgroup_id_y 0
		.amdhsa_system_sgpr_workgroup_id_z 0
		.amdhsa_system_sgpr_workgroup_info 0
		.amdhsa_system_vgpr_workitem_id 0
		.amdhsa_next_free_vgpr 1
		.amdhsa_next_free_sgpr 0
		.amdhsa_accum_offset 4
		.amdhsa_reserve_vcc 0
		.amdhsa_reserve_flat_scratch 0
		.amdhsa_float_round_mode_32 0
		.amdhsa_float_round_mode_16_64 0
		.amdhsa_float_denorm_mode_32 3
		.amdhsa_float_denorm_mode_16_64 3
		.amdhsa_dx10_clamp 1
		.amdhsa_ieee_mode 1
		.amdhsa_fp16_overflow 0
		.amdhsa_tg_split 0
		.amdhsa_exception_fp_ieee_invalid_op 0
		.amdhsa_exception_fp_denorm_src 0
		.amdhsa_exception_fp_ieee_div_zero 0
		.amdhsa_exception_fp_ieee_overflow 0
		.amdhsa_exception_fp_ieee_underflow 0
		.amdhsa_exception_fp_ieee_inexact 0
		.amdhsa_exception_int_div_zero 0
	.end_amdhsa_kernel
	.section	.text._ZN7rocprim17ROCPRIM_400000_NS6detail17trampoline_kernelINS0_14default_configENS1_21merge_config_selectorIdNS0_10empty_typeEEEZNS1_10merge_implIS3_N6thrust23THRUST_200600_302600_NS6detail15normal_iteratorINS9_10device_ptrIKdEEEESF_NSB_INSC_IdEEEEPS5_SI_SI_NS9_7greaterIdEEEE10hipError_tPvRmT0_T1_T2_T3_T4_T5_mmT6_P12ihipStream_tbEUlT_E0_NS1_11comp_targetILNS1_3genE10ELNS1_11target_archE1201ELNS1_3gpuE5ELNS1_3repE0EEENS1_30default_config_static_selectorELNS0_4arch9wavefront6targetE1EEEvSP_,"axG",@progbits,_ZN7rocprim17ROCPRIM_400000_NS6detail17trampoline_kernelINS0_14default_configENS1_21merge_config_selectorIdNS0_10empty_typeEEEZNS1_10merge_implIS3_N6thrust23THRUST_200600_302600_NS6detail15normal_iteratorINS9_10device_ptrIKdEEEESF_NSB_INSC_IdEEEEPS5_SI_SI_NS9_7greaterIdEEEE10hipError_tPvRmT0_T1_T2_T3_T4_T5_mmT6_P12ihipStream_tbEUlT_E0_NS1_11comp_targetILNS1_3genE10ELNS1_11target_archE1201ELNS1_3gpuE5ELNS1_3repE0EEENS1_30default_config_static_selectorELNS0_4arch9wavefront6targetE1EEEvSP_,comdat
.Lfunc_end475:
	.size	_ZN7rocprim17ROCPRIM_400000_NS6detail17trampoline_kernelINS0_14default_configENS1_21merge_config_selectorIdNS0_10empty_typeEEEZNS1_10merge_implIS3_N6thrust23THRUST_200600_302600_NS6detail15normal_iteratorINS9_10device_ptrIKdEEEESF_NSB_INSC_IdEEEEPS5_SI_SI_NS9_7greaterIdEEEE10hipError_tPvRmT0_T1_T2_T3_T4_T5_mmT6_P12ihipStream_tbEUlT_E0_NS1_11comp_targetILNS1_3genE10ELNS1_11target_archE1201ELNS1_3gpuE5ELNS1_3repE0EEENS1_30default_config_static_selectorELNS0_4arch9wavefront6targetE1EEEvSP_, .Lfunc_end475-_ZN7rocprim17ROCPRIM_400000_NS6detail17trampoline_kernelINS0_14default_configENS1_21merge_config_selectorIdNS0_10empty_typeEEEZNS1_10merge_implIS3_N6thrust23THRUST_200600_302600_NS6detail15normal_iteratorINS9_10device_ptrIKdEEEESF_NSB_INSC_IdEEEEPS5_SI_SI_NS9_7greaterIdEEEE10hipError_tPvRmT0_T1_T2_T3_T4_T5_mmT6_P12ihipStream_tbEUlT_E0_NS1_11comp_targetILNS1_3genE10ELNS1_11target_archE1201ELNS1_3gpuE5ELNS1_3repE0EEENS1_30default_config_static_selectorELNS0_4arch9wavefront6targetE1EEEvSP_
                                        ; -- End function
	.section	.AMDGPU.csdata,"",@progbits
; Kernel info:
; codeLenInByte = 0
; NumSgprs: 4
; NumVgprs: 0
; NumAgprs: 0
; TotalNumVgprs: 0
; ScratchSize: 0
; MemoryBound: 0
; FloatMode: 240
; IeeeMode: 1
; LDSByteSize: 0 bytes/workgroup (compile time only)
; SGPRBlocks: 0
; VGPRBlocks: 0
; NumSGPRsForWavesPerEU: 4
; NumVGPRsForWavesPerEU: 1
; AccumOffset: 4
; Occupancy: 8
; WaveLimiterHint : 0
; COMPUTE_PGM_RSRC2:SCRATCH_EN: 0
; COMPUTE_PGM_RSRC2:USER_SGPR: 6
; COMPUTE_PGM_RSRC2:TRAP_HANDLER: 0
; COMPUTE_PGM_RSRC2:TGID_X_EN: 1
; COMPUTE_PGM_RSRC2:TGID_Y_EN: 0
; COMPUTE_PGM_RSRC2:TGID_Z_EN: 0
; COMPUTE_PGM_RSRC2:TIDIG_COMP_CNT: 0
; COMPUTE_PGM_RSRC3_GFX90A:ACCUM_OFFSET: 0
; COMPUTE_PGM_RSRC3_GFX90A:TG_SPLIT: 0
	.section	.text._ZN7rocprim17ROCPRIM_400000_NS6detail17trampoline_kernelINS0_14default_configENS1_21merge_config_selectorIdNS0_10empty_typeEEEZNS1_10merge_implIS3_N6thrust23THRUST_200600_302600_NS6detail15normal_iteratorINS9_10device_ptrIKdEEEESF_NSB_INSC_IdEEEEPS5_SI_SI_NS9_7greaterIdEEEE10hipError_tPvRmT0_T1_T2_T3_T4_T5_mmT6_P12ihipStream_tbEUlT_E0_NS1_11comp_targetILNS1_3genE10ELNS1_11target_archE1200ELNS1_3gpuE4ELNS1_3repE0EEENS1_30default_config_static_selectorELNS0_4arch9wavefront6targetE1EEEvSP_,"axG",@progbits,_ZN7rocprim17ROCPRIM_400000_NS6detail17trampoline_kernelINS0_14default_configENS1_21merge_config_selectorIdNS0_10empty_typeEEEZNS1_10merge_implIS3_N6thrust23THRUST_200600_302600_NS6detail15normal_iteratorINS9_10device_ptrIKdEEEESF_NSB_INSC_IdEEEEPS5_SI_SI_NS9_7greaterIdEEEE10hipError_tPvRmT0_T1_T2_T3_T4_T5_mmT6_P12ihipStream_tbEUlT_E0_NS1_11comp_targetILNS1_3genE10ELNS1_11target_archE1200ELNS1_3gpuE4ELNS1_3repE0EEENS1_30default_config_static_selectorELNS0_4arch9wavefront6targetE1EEEvSP_,comdat
	.protected	_ZN7rocprim17ROCPRIM_400000_NS6detail17trampoline_kernelINS0_14default_configENS1_21merge_config_selectorIdNS0_10empty_typeEEEZNS1_10merge_implIS3_N6thrust23THRUST_200600_302600_NS6detail15normal_iteratorINS9_10device_ptrIKdEEEESF_NSB_INSC_IdEEEEPS5_SI_SI_NS9_7greaterIdEEEE10hipError_tPvRmT0_T1_T2_T3_T4_T5_mmT6_P12ihipStream_tbEUlT_E0_NS1_11comp_targetILNS1_3genE10ELNS1_11target_archE1200ELNS1_3gpuE4ELNS1_3repE0EEENS1_30default_config_static_selectorELNS0_4arch9wavefront6targetE1EEEvSP_ ; -- Begin function _ZN7rocprim17ROCPRIM_400000_NS6detail17trampoline_kernelINS0_14default_configENS1_21merge_config_selectorIdNS0_10empty_typeEEEZNS1_10merge_implIS3_N6thrust23THRUST_200600_302600_NS6detail15normal_iteratorINS9_10device_ptrIKdEEEESF_NSB_INSC_IdEEEEPS5_SI_SI_NS9_7greaterIdEEEE10hipError_tPvRmT0_T1_T2_T3_T4_T5_mmT6_P12ihipStream_tbEUlT_E0_NS1_11comp_targetILNS1_3genE10ELNS1_11target_archE1200ELNS1_3gpuE4ELNS1_3repE0EEENS1_30default_config_static_selectorELNS0_4arch9wavefront6targetE1EEEvSP_
	.globl	_ZN7rocprim17ROCPRIM_400000_NS6detail17trampoline_kernelINS0_14default_configENS1_21merge_config_selectorIdNS0_10empty_typeEEEZNS1_10merge_implIS3_N6thrust23THRUST_200600_302600_NS6detail15normal_iteratorINS9_10device_ptrIKdEEEESF_NSB_INSC_IdEEEEPS5_SI_SI_NS9_7greaterIdEEEE10hipError_tPvRmT0_T1_T2_T3_T4_T5_mmT6_P12ihipStream_tbEUlT_E0_NS1_11comp_targetILNS1_3genE10ELNS1_11target_archE1200ELNS1_3gpuE4ELNS1_3repE0EEENS1_30default_config_static_selectorELNS0_4arch9wavefront6targetE1EEEvSP_
	.p2align	8
	.type	_ZN7rocprim17ROCPRIM_400000_NS6detail17trampoline_kernelINS0_14default_configENS1_21merge_config_selectorIdNS0_10empty_typeEEEZNS1_10merge_implIS3_N6thrust23THRUST_200600_302600_NS6detail15normal_iteratorINS9_10device_ptrIKdEEEESF_NSB_INSC_IdEEEEPS5_SI_SI_NS9_7greaterIdEEEE10hipError_tPvRmT0_T1_T2_T3_T4_T5_mmT6_P12ihipStream_tbEUlT_E0_NS1_11comp_targetILNS1_3genE10ELNS1_11target_archE1200ELNS1_3gpuE4ELNS1_3repE0EEENS1_30default_config_static_selectorELNS0_4arch9wavefront6targetE1EEEvSP_,@function
_ZN7rocprim17ROCPRIM_400000_NS6detail17trampoline_kernelINS0_14default_configENS1_21merge_config_selectorIdNS0_10empty_typeEEEZNS1_10merge_implIS3_N6thrust23THRUST_200600_302600_NS6detail15normal_iteratorINS9_10device_ptrIKdEEEESF_NSB_INSC_IdEEEEPS5_SI_SI_NS9_7greaterIdEEEE10hipError_tPvRmT0_T1_T2_T3_T4_T5_mmT6_P12ihipStream_tbEUlT_E0_NS1_11comp_targetILNS1_3genE10ELNS1_11target_archE1200ELNS1_3gpuE4ELNS1_3repE0EEENS1_30default_config_static_selectorELNS0_4arch9wavefront6targetE1EEEvSP_: ; @_ZN7rocprim17ROCPRIM_400000_NS6detail17trampoline_kernelINS0_14default_configENS1_21merge_config_selectorIdNS0_10empty_typeEEEZNS1_10merge_implIS3_N6thrust23THRUST_200600_302600_NS6detail15normal_iteratorINS9_10device_ptrIKdEEEESF_NSB_INSC_IdEEEEPS5_SI_SI_NS9_7greaterIdEEEE10hipError_tPvRmT0_T1_T2_T3_T4_T5_mmT6_P12ihipStream_tbEUlT_E0_NS1_11comp_targetILNS1_3genE10ELNS1_11target_archE1200ELNS1_3gpuE4ELNS1_3repE0EEENS1_30default_config_static_selectorELNS0_4arch9wavefront6targetE1EEEvSP_
; %bb.0:
	.section	.rodata,"a",@progbits
	.p2align	6, 0x0
	.amdhsa_kernel _ZN7rocprim17ROCPRIM_400000_NS6detail17trampoline_kernelINS0_14default_configENS1_21merge_config_selectorIdNS0_10empty_typeEEEZNS1_10merge_implIS3_N6thrust23THRUST_200600_302600_NS6detail15normal_iteratorINS9_10device_ptrIKdEEEESF_NSB_INSC_IdEEEEPS5_SI_SI_NS9_7greaterIdEEEE10hipError_tPvRmT0_T1_T2_T3_T4_T5_mmT6_P12ihipStream_tbEUlT_E0_NS1_11comp_targetILNS1_3genE10ELNS1_11target_archE1200ELNS1_3gpuE4ELNS1_3repE0EEENS1_30default_config_static_selectorELNS0_4arch9wavefront6targetE1EEEvSP_
		.amdhsa_group_segment_fixed_size 0
		.amdhsa_private_segment_fixed_size 0
		.amdhsa_kernarg_size 88
		.amdhsa_user_sgpr_count 6
		.amdhsa_user_sgpr_private_segment_buffer 1
		.amdhsa_user_sgpr_dispatch_ptr 0
		.amdhsa_user_sgpr_queue_ptr 0
		.amdhsa_user_sgpr_kernarg_segment_ptr 1
		.amdhsa_user_sgpr_dispatch_id 0
		.amdhsa_user_sgpr_flat_scratch_init 0
		.amdhsa_user_sgpr_kernarg_preload_length 0
		.amdhsa_user_sgpr_kernarg_preload_offset 0
		.amdhsa_user_sgpr_private_segment_size 0
		.amdhsa_uses_dynamic_stack 0
		.amdhsa_system_sgpr_private_segment_wavefront_offset 0
		.amdhsa_system_sgpr_workgroup_id_x 1
		.amdhsa_system_sgpr_workgroup_id_y 0
		.amdhsa_system_sgpr_workgroup_id_z 0
		.amdhsa_system_sgpr_workgroup_info 0
		.amdhsa_system_vgpr_workitem_id 0
		.amdhsa_next_free_vgpr 1
		.amdhsa_next_free_sgpr 0
		.amdhsa_accum_offset 4
		.amdhsa_reserve_vcc 0
		.amdhsa_reserve_flat_scratch 0
		.amdhsa_float_round_mode_32 0
		.amdhsa_float_round_mode_16_64 0
		.amdhsa_float_denorm_mode_32 3
		.amdhsa_float_denorm_mode_16_64 3
		.amdhsa_dx10_clamp 1
		.amdhsa_ieee_mode 1
		.amdhsa_fp16_overflow 0
		.amdhsa_tg_split 0
		.amdhsa_exception_fp_ieee_invalid_op 0
		.amdhsa_exception_fp_denorm_src 0
		.amdhsa_exception_fp_ieee_div_zero 0
		.amdhsa_exception_fp_ieee_overflow 0
		.amdhsa_exception_fp_ieee_underflow 0
		.amdhsa_exception_fp_ieee_inexact 0
		.amdhsa_exception_int_div_zero 0
	.end_amdhsa_kernel
	.section	.text._ZN7rocprim17ROCPRIM_400000_NS6detail17trampoline_kernelINS0_14default_configENS1_21merge_config_selectorIdNS0_10empty_typeEEEZNS1_10merge_implIS3_N6thrust23THRUST_200600_302600_NS6detail15normal_iteratorINS9_10device_ptrIKdEEEESF_NSB_INSC_IdEEEEPS5_SI_SI_NS9_7greaterIdEEEE10hipError_tPvRmT0_T1_T2_T3_T4_T5_mmT6_P12ihipStream_tbEUlT_E0_NS1_11comp_targetILNS1_3genE10ELNS1_11target_archE1200ELNS1_3gpuE4ELNS1_3repE0EEENS1_30default_config_static_selectorELNS0_4arch9wavefront6targetE1EEEvSP_,"axG",@progbits,_ZN7rocprim17ROCPRIM_400000_NS6detail17trampoline_kernelINS0_14default_configENS1_21merge_config_selectorIdNS0_10empty_typeEEEZNS1_10merge_implIS3_N6thrust23THRUST_200600_302600_NS6detail15normal_iteratorINS9_10device_ptrIKdEEEESF_NSB_INSC_IdEEEEPS5_SI_SI_NS9_7greaterIdEEEE10hipError_tPvRmT0_T1_T2_T3_T4_T5_mmT6_P12ihipStream_tbEUlT_E0_NS1_11comp_targetILNS1_3genE10ELNS1_11target_archE1200ELNS1_3gpuE4ELNS1_3repE0EEENS1_30default_config_static_selectorELNS0_4arch9wavefront6targetE1EEEvSP_,comdat
.Lfunc_end476:
	.size	_ZN7rocprim17ROCPRIM_400000_NS6detail17trampoline_kernelINS0_14default_configENS1_21merge_config_selectorIdNS0_10empty_typeEEEZNS1_10merge_implIS3_N6thrust23THRUST_200600_302600_NS6detail15normal_iteratorINS9_10device_ptrIKdEEEESF_NSB_INSC_IdEEEEPS5_SI_SI_NS9_7greaterIdEEEE10hipError_tPvRmT0_T1_T2_T3_T4_T5_mmT6_P12ihipStream_tbEUlT_E0_NS1_11comp_targetILNS1_3genE10ELNS1_11target_archE1200ELNS1_3gpuE4ELNS1_3repE0EEENS1_30default_config_static_selectorELNS0_4arch9wavefront6targetE1EEEvSP_, .Lfunc_end476-_ZN7rocprim17ROCPRIM_400000_NS6detail17trampoline_kernelINS0_14default_configENS1_21merge_config_selectorIdNS0_10empty_typeEEEZNS1_10merge_implIS3_N6thrust23THRUST_200600_302600_NS6detail15normal_iteratorINS9_10device_ptrIKdEEEESF_NSB_INSC_IdEEEEPS5_SI_SI_NS9_7greaterIdEEEE10hipError_tPvRmT0_T1_T2_T3_T4_T5_mmT6_P12ihipStream_tbEUlT_E0_NS1_11comp_targetILNS1_3genE10ELNS1_11target_archE1200ELNS1_3gpuE4ELNS1_3repE0EEENS1_30default_config_static_selectorELNS0_4arch9wavefront6targetE1EEEvSP_
                                        ; -- End function
	.section	.AMDGPU.csdata,"",@progbits
; Kernel info:
; codeLenInByte = 0
; NumSgprs: 4
; NumVgprs: 0
; NumAgprs: 0
; TotalNumVgprs: 0
; ScratchSize: 0
; MemoryBound: 0
; FloatMode: 240
; IeeeMode: 1
; LDSByteSize: 0 bytes/workgroup (compile time only)
; SGPRBlocks: 0
; VGPRBlocks: 0
; NumSGPRsForWavesPerEU: 4
; NumVGPRsForWavesPerEU: 1
; AccumOffset: 4
; Occupancy: 8
; WaveLimiterHint : 0
; COMPUTE_PGM_RSRC2:SCRATCH_EN: 0
; COMPUTE_PGM_RSRC2:USER_SGPR: 6
; COMPUTE_PGM_RSRC2:TRAP_HANDLER: 0
; COMPUTE_PGM_RSRC2:TGID_X_EN: 1
; COMPUTE_PGM_RSRC2:TGID_Y_EN: 0
; COMPUTE_PGM_RSRC2:TGID_Z_EN: 0
; COMPUTE_PGM_RSRC2:TIDIG_COMP_CNT: 0
; COMPUTE_PGM_RSRC3_GFX90A:ACCUM_OFFSET: 0
; COMPUTE_PGM_RSRC3_GFX90A:TG_SPLIT: 0
	.section	.text._ZN7rocprim17ROCPRIM_400000_NS6detail17trampoline_kernelINS0_14default_configENS1_21merge_config_selectorIdNS0_10empty_typeEEEZNS1_10merge_implIS3_N6thrust23THRUST_200600_302600_NS6detail15normal_iteratorINS9_10device_ptrIKdEEEESF_NSB_INSC_IdEEEEPS5_SI_SI_NS9_7greaterIdEEEE10hipError_tPvRmT0_T1_T2_T3_T4_T5_mmT6_P12ihipStream_tbEUlT_E0_NS1_11comp_targetILNS1_3genE9ELNS1_11target_archE1100ELNS1_3gpuE3ELNS1_3repE0EEENS1_30default_config_static_selectorELNS0_4arch9wavefront6targetE1EEEvSP_,"axG",@progbits,_ZN7rocprim17ROCPRIM_400000_NS6detail17trampoline_kernelINS0_14default_configENS1_21merge_config_selectorIdNS0_10empty_typeEEEZNS1_10merge_implIS3_N6thrust23THRUST_200600_302600_NS6detail15normal_iteratorINS9_10device_ptrIKdEEEESF_NSB_INSC_IdEEEEPS5_SI_SI_NS9_7greaterIdEEEE10hipError_tPvRmT0_T1_T2_T3_T4_T5_mmT6_P12ihipStream_tbEUlT_E0_NS1_11comp_targetILNS1_3genE9ELNS1_11target_archE1100ELNS1_3gpuE3ELNS1_3repE0EEENS1_30default_config_static_selectorELNS0_4arch9wavefront6targetE1EEEvSP_,comdat
	.protected	_ZN7rocprim17ROCPRIM_400000_NS6detail17trampoline_kernelINS0_14default_configENS1_21merge_config_selectorIdNS0_10empty_typeEEEZNS1_10merge_implIS3_N6thrust23THRUST_200600_302600_NS6detail15normal_iteratorINS9_10device_ptrIKdEEEESF_NSB_INSC_IdEEEEPS5_SI_SI_NS9_7greaterIdEEEE10hipError_tPvRmT0_T1_T2_T3_T4_T5_mmT6_P12ihipStream_tbEUlT_E0_NS1_11comp_targetILNS1_3genE9ELNS1_11target_archE1100ELNS1_3gpuE3ELNS1_3repE0EEENS1_30default_config_static_selectorELNS0_4arch9wavefront6targetE1EEEvSP_ ; -- Begin function _ZN7rocprim17ROCPRIM_400000_NS6detail17trampoline_kernelINS0_14default_configENS1_21merge_config_selectorIdNS0_10empty_typeEEEZNS1_10merge_implIS3_N6thrust23THRUST_200600_302600_NS6detail15normal_iteratorINS9_10device_ptrIKdEEEESF_NSB_INSC_IdEEEEPS5_SI_SI_NS9_7greaterIdEEEE10hipError_tPvRmT0_T1_T2_T3_T4_T5_mmT6_P12ihipStream_tbEUlT_E0_NS1_11comp_targetILNS1_3genE9ELNS1_11target_archE1100ELNS1_3gpuE3ELNS1_3repE0EEENS1_30default_config_static_selectorELNS0_4arch9wavefront6targetE1EEEvSP_
	.globl	_ZN7rocprim17ROCPRIM_400000_NS6detail17trampoline_kernelINS0_14default_configENS1_21merge_config_selectorIdNS0_10empty_typeEEEZNS1_10merge_implIS3_N6thrust23THRUST_200600_302600_NS6detail15normal_iteratorINS9_10device_ptrIKdEEEESF_NSB_INSC_IdEEEEPS5_SI_SI_NS9_7greaterIdEEEE10hipError_tPvRmT0_T1_T2_T3_T4_T5_mmT6_P12ihipStream_tbEUlT_E0_NS1_11comp_targetILNS1_3genE9ELNS1_11target_archE1100ELNS1_3gpuE3ELNS1_3repE0EEENS1_30default_config_static_selectorELNS0_4arch9wavefront6targetE1EEEvSP_
	.p2align	8
	.type	_ZN7rocprim17ROCPRIM_400000_NS6detail17trampoline_kernelINS0_14default_configENS1_21merge_config_selectorIdNS0_10empty_typeEEEZNS1_10merge_implIS3_N6thrust23THRUST_200600_302600_NS6detail15normal_iteratorINS9_10device_ptrIKdEEEESF_NSB_INSC_IdEEEEPS5_SI_SI_NS9_7greaterIdEEEE10hipError_tPvRmT0_T1_T2_T3_T4_T5_mmT6_P12ihipStream_tbEUlT_E0_NS1_11comp_targetILNS1_3genE9ELNS1_11target_archE1100ELNS1_3gpuE3ELNS1_3repE0EEENS1_30default_config_static_selectorELNS0_4arch9wavefront6targetE1EEEvSP_,@function
_ZN7rocprim17ROCPRIM_400000_NS6detail17trampoline_kernelINS0_14default_configENS1_21merge_config_selectorIdNS0_10empty_typeEEEZNS1_10merge_implIS3_N6thrust23THRUST_200600_302600_NS6detail15normal_iteratorINS9_10device_ptrIKdEEEESF_NSB_INSC_IdEEEEPS5_SI_SI_NS9_7greaterIdEEEE10hipError_tPvRmT0_T1_T2_T3_T4_T5_mmT6_P12ihipStream_tbEUlT_E0_NS1_11comp_targetILNS1_3genE9ELNS1_11target_archE1100ELNS1_3gpuE3ELNS1_3repE0EEENS1_30default_config_static_selectorELNS0_4arch9wavefront6targetE1EEEvSP_: ; @_ZN7rocprim17ROCPRIM_400000_NS6detail17trampoline_kernelINS0_14default_configENS1_21merge_config_selectorIdNS0_10empty_typeEEEZNS1_10merge_implIS3_N6thrust23THRUST_200600_302600_NS6detail15normal_iteratorINS9_10device_ptrIKdEEEESF_NSB_INSC_IdEEEEPS5_SI_SI_NS9_7greaterIdEEEE10hipError_tPvRmT0_T1_T2_T3_T4_T5_mmT6_P12ihipStream_tbEUlT_E0_NS1_11comp_targetILNS1_3genE9ELNS1_11target_archE1100ELNS1_3gpuE3ELNS1_3repE0EEENS1_30default_config_static_selectorELNS0_4arch9wavefront6targetE1EEEvSP_
; %bb.0:
	.section	.rodata,"a",@progbits
	.p2align	6, 0x0
	.amdhsa_kernel _ZN7rocprim17ROCPRIM_400000_NS6detail17trampoline_kernelINS0_14default_configENS1_21merge_config_selectorIdNS0_10empty_typeEEEZNS1_10merge_implIS3_N6thrust23THRUST_200600_302600_NS6detail15normal_iteratorINS9_10device_ptrIKdEEEESF_NSB_INSC_IdEEEEPS5_SI_SI_NS9_7greaterIdEEEE10hipError_tPvRmT0_T1_T2_T3_T4_T5_mmT6_P12ihipStream_tbEUlT_E0_NS1_11comp_targetILNS1_3genE9ELNS1_11target_archE1100ELNS1_3gpuE3ELNS1_3repE0EEENS1_30default_config_static_selectorELNS0_4arch9wavefront6targetE1EEEvSP_
		.amdhsa_group_segment_fixed_size 0
		.amdhsa_private_segment_fixed_size 0
		.amdhsa_kernarg_size 88
		.amdhsa_user_sgpr_count 6
		.amdhsa_user_sgpr_private_segment_buffer 1
		.amdhsa_user_sgpr_dispatch_ptr 0
		.amdhsa_user_sgpr_queue_ptr 0
		.amdhsa_user_sgpr_kernarg_segment_ptr 1
		.amdhsa_user_sgpr_dispatch_id 0
		.amdhsa_user_sgpr_flat_scratch_init 0
		.amdhsa_user_sgpr_kernarg_preload_length 0
		.amdhsa_user_sgpr_kernarg_preload_offset 0
		.amdhsa_user_sgpr_private_segment_size 0
		.amdhsa_uses_dynamic_stack 0
		.amdhsa_system_sgpr_private_segment_wavefront_offset 0
		.amdhsa_system_sgpr_workgroup_id_x 1
		.amdhsa_system_sgpr_workgroup_id_y 0
		.amdhsa_system_sgpr_workgroup_id_z 0
		.amdhsa_system_sgpr_workgroup_info 0
		.amdhsa_system_vgpr_workitem_id 0
		.amdhsa_next_free_vgpr 1
		.amdhsa_next_free_sgpr 0
		.amdhsa_accum_offset 4
		.amdhsa_reserve_vcc 0
		.amdhsa_reserve_flat_scratch 0
		.amdhsa_float_round_mode_32 0
		.amdhsa_float_round_mode_16_64 0
		.amdhsa_float_denorm_mode_32 3
		.amdhsa_float_denorm_mode_16_64 3
		.amdhsa_dx10_clamp 1
		.amdhsa_ieee_mode 1
		.amdhsa_fp16_overflow 0
		.amdhsa_tg_split 0
		.amdhsa_exception_fp_ieee_invalid_op 0
		.amdhsa_exception_fp_denorm_src 0
		.amdhsa_exception_fp_ieee_div_zero 0
		.amdhsa_exception_fp_ieee_overflow 0
		.amdhsa_exception_fp_ieee_underflow 0
		.amdhsa_exception_fp_ieee_inexact 0
		.amdhsa_exception_int_div_zero 0
	.end_amdhsa_kernel
	.section	.text._ZN7rocprim17ROCPRIM_400000_NS6detail17trampoline_kernelINS0_14default_configENS1_21merge_config_selectorIdNS0_10empty_typeEEEZNS1_10merge_implIS3_N6thrust23THRUST_200600_302600_NS6detail15normal_iteratorINS9_10device_ptrIKdEEEESF_NSB_INSC_IdEEEEPS5_SI_SI_NS9_7greaterIdEEEE10hipError_tPvRmT0_T1_T2_T3_T4_T5_mmT6_P12ihipStream_tbEUlT_E0_NS1_11comp_targetILNS1_3genE9ELNS1_11target_archE1100ELNS1_3gpuE3ELNS1_3repE0EEENS1_30default_config_static_selectorELNS0_4arch9wavefront6targetE1EEEvSP_,"axG",@progbits,_ZN7rocprim17ROCPRIM_400000_NS6detail17trampoline_kernelINS0_14default_configENS1_21merge_config_selectorIdNS0_10empty_typeEEEZNS1_10merge_implIS3_N6thrust23THRUST_200600_302600_NS6detail15normal_iteratorINS9_10device_ptrIKdEEEESF_NSB_INSC_IdEEEEPS5_SI_SI_NS9_7greaterIdEEEE10hipError_tPvRmT0_T1_T2_T3_T4_T5_mmT6_P12ihipStream_tbEUlT_E0_NS1_11comp_targetILNS1_3genE9ELNS1_11target_archE1100ELNS1_3gpuE3ELNS1_3repE0EEENS1_30default_config_static_selectorELNS0_4arch9wavefront6targetE1EEEvSP_,comdat
.Lfunc_end477:
	.size	_ZN7rocprim17ROCPRIM_400000_NS6detail17trampoline_kernelINS0_14default_configENS1_21merge_config_selectorIdNS0_10empty_typeEEEZNS1_10merge_implIS3_N6thrust23THRUST_200600_302600_NS6detail15normal_iteratorINS9_10device_ptrIKdEEEESF_NSB_INSC_IdEEEEPS5_SI_SI_NS9_7greaterIdEEEE10hipError_tPvRmT0_T1_T2_T3_T4_T5_mmT6_P12ihipStream_tbEUlT_E0_NS1_11comp_targetILNS1_3genE9ELNS1_11target_archE1100ELNS1_3gpuE3ELNS1_3repE0EEENS1_30default_config_static_selectorELNS0_4arch9wavefront6targetE1EEEvSP_, .Lfunc_end477-_ZN7rocprim17ROCPRIM_400000_NS6detail17trampoline_kernelINS0_14default_configENS1_21merge_config_selectorIdNS0_10empty_typeEEEZNS1_10merge_implIS3_N6thrust23THRUST_200600_302600_NS6detail15normal_iteratorINS9_10device_ptrIKdEEEESF_NSB_INSC_IdEEEEPS5_SI_SI_NS9_7greaterIdEEEE10hipError_tPvRmT0_T1_T2_T3_T4_T5_mmT6_P12ihipStream_tbEUlT_E0_NS1_11comp_targetILNS1_3genE9ELNS1_11target_archE1100ELNS1_3gpuE3ELNS1_3repE0EEENS1_30default_config_static_selectorELNS0_4arch9wavefront6targetE1EEEvSP_
                                        ; -- End function
	.section	.AMDGPU.csdata,"",@progbits
; Kernel info:
; codeLenInByte = 0
; NumSgprs: 4
; NumVgprs: 0
; NumAgprs: 0
; TotalNumVgprs: 0
; ScratchSize: 0
; MemoryBound: 0
; FloatMode: 240
; IeeeMode: 1
; LDSByteSize: 0 bytes/workgroup (compile time only)
; SGPRBlocks: 0
; VGPRBlocks: 0
; NumSGPRsForWavesPerEU: 4
; NumVGPRsForWavesPerEU: 1
; AccumOffset: 4
; Occupancy: 8
; WaveLimiterHint : 0
; COMPUTE_PGM_RSRC2:SCRATCH_EN: 0
; COMPUTE_PGM_RSRC2:USER_SGPR: 6
; COMPUTE_PGM_RSRC2:TRAP_HANDLER: 0
; COMPUTE_PGM_RSRC2:TGID_X_EN: 1
; COMPUTE_PGM_RSRC2:TGID_Y_EN: 0
; COMPUTE_PGM_RSRC2:TGID_Z_EN: 0
; COMPUTE_PGM_RSRC2:TIDIG_COMP_CNT: 0
; COMPUTE_PGM_RSRC3_GFX90A:ACCUM_OFFSET: 0
; COMPUTE_PGM_RSRC3_GFX90A:TG_SPLIT: 0
	.section	.text._ZN7rocprim17ROCPRIM_400000_NS6detail17trampoline_kernelINS0_14default_configENS1_21merge_config_selectorIdNS0_10empty_typeEEEZNS1_10merge_implIS3_N6thrust23THRUST_200600_302600_NS6detail15normal_iteratorINS9_10device_ptrIKdEEEESF_NSB_INSC_IdEEEEPS5_SI_SI_NS9_7greaterIdEEEE10hipError_tPvRmT0_T1_T2_T3_T4_T5_mmT6_P12ihipStream_tbEUlT_E0_NS1_11comp_targetILNS1_3genE8ELNS1_11target_archE1030ELNS1_3gpuE2ELNS1_3repE0EEENS1_30default_config_static_selectorELNS0_4arch9wavefront6targetE1EEEvSP_,"axG",@progbits,_ZN7rocprim17ROCPRIM_400000_NS6detail17trampoline_kernelINS0_14default_configENS1_21merge_config_selectorIdNS0_10empty_typeEEEZNS1_10merge_implIS3_N6thrust23THRUST_200600_302600_NS6detail15normal_iteratorINS9_10device_ptrIKdEEEESF_NSB_INSC_IdEEEEPS5_SI_SI_NS9_7greaterIdEEEE10hipError_tPvRmT0_T1_T2_T3_T4_T5_mmT6_P12ihipStream_tbEUlT_E0_NS1_11comp_targetILNS1_3genE8ELNS1_11target_archE1030ELNS1_3gpuE2ELNS1_3repE0EEENS1_30default_config_static_selectorELNS0_4arch9wavefront6targetE1EEEvSP_,comdat
	.protected	_ZN7rocprim17ROCPRIM_400000_NS6detail17trampoline_kernelINS0_14default_configENS1_21merge_config_selectorIdNS0_10empty_typeEEEZNS1_10merge_implIS3_N6thrust23THRUST_200600_302600_NS6detail15normal_iteratorINS9_10device_ptrIKdEEEESF_NSB_INSC_IdEEEEPS5_SI_SI_NS9_7greaterIdEEEE10hipError_tPvRmT0_T1_T2_T3_T4_T5_mmT6_P12ihipStream_tbEUlT_E0_NS1_11comp_targetILNS1_3genE8ELNS1_11target_archE1030ELNS1_3gpuE2ELNS1_3repE0EEENS1_30default_config_static_selectorELNS0_4arch9wavefront6targetE1EEEvSP_ ; -- Begin function _ZN7rocprim17ROCPRIM_400000_NS6detail17trampoline_kernelINS0_14default_configENS1_21merge_config_selectorIdNS0_10empty_typeEEEZNS1_10merge_implIS3_N6thrust23THRUST_200600_302600_NS6detail15normal_iteratorINS9_10device_ptrIKdEEEESF_NSB_INSC_IdEEEEPS5_SI_SI_NS9_7greaterIdEEEE10hipError_tPvRmT0_T1_T2_T3_T4_T5_mmT6_P12ihipStream_tbEUlT_E0_NS1_11comp_targetILNS1_3genE8ELNS1_11target_archE1030ELNS1_3gpuE2ELNS1_3repE0EEENS1_30default_config_static_selectorELNS0_4arch9wavefront6targetE1EEEvSP_
	.globl	_ZN7rocprim17ROCPRIM_400000_NS6detail17trampoline_kernelINS0_14default_configENS1_21merge_config_selectorIdNS0_10empty_typeEEEZNS1_10merge_implIS3_N6thrust23THRUST_200600_302600_NS6detail15normal_iteratorINS9_10device_ptrIKdEEEESF_NSB_INSC_IdEEEEPS5_SI_SI_NS9_7greaterIdEEEE10hipError_tPvRmT0_T1_T2_T3_T4_T5_mmT6_P12ihipStream_tbEUlT_E0_NS1_11comp_targetILNS1_3genE8ELNS1_11target_archE1030ELNS1_3gpuE2ELNS1_3repE0EEENS1_30default_config_static_selectorELNS0_4arch9wavefront6targetE1EEEvSP_
	.p2align	8
	.type	_ZN7rocprim17ROCPRIM_400000_NS6detail17trampoline_kernelINS0_14default_configENS1_21merge_config_selectorIdNS0_10empty_typeEEEZNS1_10merge_implIS3_N6thrust23THRUST_200600_302600_NS6detail15normal_iteratorINS9_10device_ptrIKdEEEESF_NSB_INSC_IdEEEEPS5_SI_SI_NS9_7greaterIdEEEE10hipError_tPvRmT0_T1_T2_T3_T4_T5_mmT6_P12ihipStream_tbEUlT_E0_NS1_11comp_targetILNS1_3genE8ELNS1_11target_archE1030ELNS1_3gpuE2ELNS1_3repE0EEENS1_30default_config_static_selectorELNS0_4arch9wavefront6targetE1EEEvSP_,@function
_ZN7rocprim17ROCPRIM_400000_NS6detail17trampoline_kernelINS0_14default_configENS1_21merge_config_selectorIdNS0_10empty_typeEEEZNS1_10merge_implIS3_N6thrust23THRUST_200600_302600_NS6detail15normal_iteratorINS9_10device_ptrIKdEEEESF_NSB_INSC_IdEEEEPS5_SI_SI_NS9_7greaterIdEEEE10hipError_tPvRmT0_T1_T2_T3_T4_T5_mmT6_P12ihipStream_tbEUlT_E0_NS1_11comp_targetILNS1_3genE8ELNS1_11target_archE1030ELNS1_3gpuE2ELNS1_3repE0EEENS1_30default_config_static_selectorELNS0_4arch9wavefront6targetE1EEEvSP_: ; @_ZN7rocprim17ROCPRIM_400000_NS6detail17trampoline_kernelINS0_14default_configENS1_21merge_config_selectorIdNS0_10empty_typeEEEZNS1_10merge_implIS3_N6thrust23THRUST_200600_302600_NS6detail15normal_iteratorINS9_10device_ptrIKdEEEESF_NSB_INSC_IdEEEEPS5_SI_SI_NS9_7greaterIdEEEE10hipError_tPvRmT0_T1_T2_T3_T4_T5_mmT6_P12ihipStream_tbEUlT_E0_NS1_11comp_targetILNS1_3genE8ELNS1_11target_archE1030ELNS1_3gpuE2ELNS1_3repE0EEENS1_30default_config_static_selectorELNS0_4arch9wavefront6targetE1EEEvSP_
; %bb.0:
	.section	.rodata,"a",@progbits
	.p2align	6, 0x0
	.amdhsa_kernel _ZN7rocprim17ROCPRIM_400000_NS6detail17trampoline_kernelINS0_14default_configENS1_21merge_config_selectorIdNS0_10empty_typeEEEZNS1_10merge_implIS3_N6thrust23THRUST_200600_302600_NS6detail15normal_iteratorINS9_10device_ptrIKdEEEESF_NSB_INSC_IdEEEEPS5_SI_SI_NS9_7greaterIdEEEE10hipError_tPvRmT0_T1_T2_T3_T4_T5_mmT6_P12ihipStream_tbEUlT_E0_NS1_11comp_targetILNS1_3genE8ELNS1_11target_archE1030ELNS1_3gpuE2ELNS1_3repE0EEENS1_30default_config_static_selectorELNS0_4arch9wavefront6targetE1EEEvSP_
		.amdhsa_group_segment_fixed_size 0
		.amdhsa_private_segment_fixed_size 0
		.amdhsa_kernarg_size 88
		.amdhsa_user_sgpr_count 6
		.amdhsa_user_sgpr_private_segment_buffer 1
		.amdhsa_user_sgpr_dispatch_ptr 0
		.amdhsa_user_sgpr_queue_ptr 0
		.amdhsa_user_sgpr_kernarg_segment_ptr 1
		.amdhsa_user_sgpr_dispatch_id 0
		.amdhsa_user_sgpr_flat_scratch_init 0
		.amdhsa_user_sgpr_kernarg_preload_length 0
		.amdhsa_user_sgpr_kernarg_preload_offset 0
		.amdhsa_user_sgpr_private_segment_size 0
		.amdhsa_uses_dynamic_stack 0
		.amdhsa_system_sgpr_private_segment_wavefront_offset 0
		.amdhsa_system_sgpr_workgroup_id_x 1
		.amdhsa_system_sgpr_workgroup_id_y 0
		.amdhsa_system_sgpr_workgroup_id_z 0
		.amdhsa_system_sgpr_workgroup_info 0
		.amdhsa_system_vgpr_workitem_id 0
		.amdhsa_next_free_vgpr 1
		.amdhsa_next_free_sgpr 0
		.amdhsa_accum_offset 4
		.amdhsa_reserve_vcc 0
		.amdhsa_reserve_flat_scratch 0
		.amdhsa_float_round_mode_32 0
		.amdhsa_float_round_mode_16_64 0
		.amdhsa_float_denorm_mode_32 3
		.amdhsa_float_denorm_mode_16_64 3
		.amdhsa_dx10_clamp 1
		.amdhsa_ieee_mode 1
		.amdhsa_fp16_overflow 0
		.amdhsa_tg_split 0
		.amdhsa_exception_fp_ieee_invalid_op 0
		.amdhsa_exception_fp_denorm_src 0
		.amdhsa_exception_fp_ieee_div_zero 0
		.amdhsa_exception_fp_ieee_overflow 0
		.amdhsa_exception_fp_ieee_underflow 0
		.amdhsa_exception_fp_ieee_inexact 0
		.amdhsa_exception_int_div_zero 0
	.end_amdhsa_kernel
	.section	.text._ZN7rocprim17ROCPRIM_400000_NS6detail17trampoline_kernelINS0_14default_configENS1_21merge_config_selectorIdNS0_10empty_typeEEEZNS1_10merge_implIS3_N6thrust23THRUST_200600_302600_NS6detail15normal_iteratorINS9_10device_ptrIKdEEEESF_NSB_INSC_IdEEEEPS5_SI_SI_NS9_7greaterIdEEEE10hipError_tPvRmT0_T1_T2_T3_T4_T5_mmT6_P12ihipStream_tbEUlT_E0_NS1_11comp_targetILNS1_3genE8ELNS1_11target_archE1030ELNS1_3gpuE2ELNS1_3repE0EEENS1_30default_config_static_selectorELNS0_4arch9wavefront6targetE1EEEvSP_,"axG",@progbits,_ZN7rocprim17ROCPRIM_400000_NS6detail17trampoline_kernelINS0_14default_configENS1_21merge_config_selectorIdNS0_10empty_typeEEEZNS1_10merge_implIS3_N6thrust23THRUST_200600_302600_NS6detail15normal_iteratorINS9_10device_ptrIKdEEEESF_NSB_INSC_IdEEEEPS5_SI_SI_NS9_7greaterIdEEEE10hipError_tPvRmT0_T1_T2_T3_T4_T5_mmT6_P12ihipStream_tbEUlT_E0_NS1_11comp_targetILNS1_3genE8ELNS1_11target_archE1030ELNS1_3gpuE2ELNS1_3repE0EEENS1_30default_config_static_selectorELNS0_4arch9wavefront6targetE1EEEvSP_,comdat
.Lfunc_end478:
	.size	_ZN7rocprim17ROCPRIM_400000_NS6detail17trampoline_kernelINS0_14default_configENS1_21merge_config_selectorIdNS0_10empty_typeEEEZNS1_10merge_implIS3_N6thrust23THRUST_200600_302600_NS6detail15normal_iteratorINS9_10device_ptrIKdEEEESF_NSB_INSC_IdEEEEPS5_SI_SI_NS9_7greaterIdEEEE10hipError_tPvRmT0_T1_T2_T3_T4_T5_mmT6_P12ihipStream_tbEUlT_E0_NS1_11comp_targetILNS1_3genE8ELNS1_11target_archE1030ELNS1_3gpuE2ELNS1_3repE0EEENS1_30default_config_static_selectorELNS0_4arch9wavefront6targetE1EEEvSP_, .Lfunc_end478-_ZN7rocprim17ROCPRIM_400000_NS6detail17trampoline_kernelINS0_14default_configENS1_21merge_config_selectorIdNS0_10empty_typeEEEZNS1_10merge_implIS3_N6thrust23THRUST_200600_302600_NS6detail15normal_iteratorINS9_10device_ptrIKdEEEESF_NSB_INSC_IdEEEEPS5_SI_SI_NS9_7greaterIdEEEE10hipError_tPvRmT0_T1_T2_T3_T4_T5_mmT6_P12ihipStream_tbEUlT_E0_NS1_11comp_targetILNS1_3genE8ELNS1_11target_archE1030ELNS1_3gpuE2ELNS1_3repE0EEENS1_30default_config_static_selectorELNS0_4arch9wavefront6targetE1EEEvSP_
                                        ; -- End function
	.section	.AMDGPU.csdata,"",@progbits
; Kernel info:
; codeLenInByte = 0
; NumSgprs: 4
; NumVgprs: 0
; NumAgprs: 0
; TotalNumVgprs: 0
; ScratchSize: 0
; MemoryBound: 0
; FloatMode: 240
; IeeeMode: 1
; LDSByteSize: 0 bytes/workgroup (compile time only)
; SGPRBlocks: 0
; VGPRBlocks: 0
; NumSGPRsForWavesPerEU: 4
; NumVGPRsForWavesPerEU: 1
; AccumOffset: 4
; Occupancy: 8
; WaveLimiterHint : 0
; COMPUTE_PGM_RSRC2:SCRATCH_EN: 0
; COMPUTE_PGM_RSRC2:USER_SGPR: 6
; COMPUTE_PGM_RSRC2:TRAP_HANDLER: 0
; COMPUTE_PGM_RSRC2:TGID_X_EN: 1
; COMPUTE_PGM_RSRC2:TGID_Y_EN: 0
; COMPUTE_PGM_RSRC2:TGID_Z_EN: 0
; COMPUTE_PGM_RSRC2:TIDIG_COMP_CNT: 0
; COMPUTE_PGM_RSRC3_GFX90A:ACCUM_OFFSET: 0
; COMPUTE_PGM_RSRC3_GFX90A:TG_SPLIT: 0
	.section	.text._ZN7rocprim17ROCPRIM_400000_NS6detail17trampoline_kernelINS0_14default_configENS1_21merge_config_selectorIfNS0_10empty_typeEEEZNS1_10merge_implIS3_N6thrust23THRUST_200600_302600_NS6detail15normal_iteratorINS9_10device_ptrIKfEEEESF_NSB_INSC_IfEEEEPS5_SI_SI_NS9_7greaterIfEEEE10hipError_tPvRmT0_T1_T2_T3_T4_T5_mmT6_P12ihipStream_tbEUlT_E_NS1_11comp_targetILNS1_3genE0ELNS1_11target_archE4294967295ELNS1_3gpuE0ELNS1_3repE0EEENS1_30default_config_static_selectorELNS0_4arch9wavefront6targetE1EEEvSP_,"axG",@progbits,_ZN7rocprim17ROCPRIM_400000_NS6detail17trampoline_kernelINS0_14default_configENS1_21merge_config_selectorIfNS0_10empty_typeEEEZNS1_10merge_implIS3_N6thrust23THRUST_200600_302600_NS6detail15normal_iteratorINS9_10device_ptrIKfEEEESF_NSB_INSC_IfEEEEPS5_SI_SI_NS9_7greaterIfEEEE10hipError_tPvRmT0_T1_T2_T3_T4_T5_mmT6_P12ihipStream_tbEUlT_E_NS1_11comp_targetILNS1_3genE0ELNS1_11target_archE4294967295ELNS1_3gpuE0ELNS1_3repE0EEENS1_30default_config_static_selectorELNS0_4arch9wavefront6targetE1EEEvSP_,comdat
	.protected	_ZN7rocprim17ROCPRIM_400000_NS6detail17trampoline_kernelINS0_14default_configENS1_21merge_config_selectorIfNS0_10empty_typeEEEZNS1_10merge_implIS3_N6thrust23THRUST_200600_302600_NS6detail15normal_iteratorINS9_10device_ptrIKfEEEESF_NSB_INSC_IfEEEEPS5_SI_SI_NS9_7greaterIfEEEE10hipError_tPvRmT0_T1_T2_T3_T4_T5_mmT6_P12ihipStream_tbEUlT_E_NS1_11comp_targetILNS1_3genE0ELNS1_11target_archE4294967295ELNS1_3gpuE0ELNS1_3repE0EEENS1_30default_config_static_selectorELNS0_4arch9wavefront6targetE1EEEvSP_ ; -- Begin function _ZN7rocprim17ROCPRIM_400000_NS6detail17trampoline_kernelINS0_14default_configENS1_21merge_config_selectorIfNS0_10empty_typeEEEZNS1_10merge_implIS3_N6thrust23THRUST_200600_302600_NS6detail15normal_iteratorINS9_10device_ptrIKfEEEESF_NSB_INSC_IfEEEEPS5_SI_SI_NS9_7greaterIfEEEE10hipError_tPvRmT0_T1_T2_T3_T4_T5_mmT6_P12ihipStream_tbEUlT_E_NS1_11comp_targetILNS1_3genE0ELNS1_11target_archE4294967295ELNS1_3gpuE0ELNS1_3repE0EEENS1_30default_config_static_selectorELNS0_4arch9wavefront6targetE1EEEvSP_
	.globl	_ZN7rocprim17ROCPRIM_400000_NS6detail17trampoline_kernelINS0_14default_configENS1_21merge_config_selectorIfNS0_10empty_typeEEEZNS1_10merge_implIS3_N6thrust23THRUST_200600_302600_NS6detail15normal_iteratorINS9_10device_ptrIKfEEEESF_NSB_INSC_IfEEEEPS5_SI_SI_NS9_7greaterIfEEEE10hipError_tPvRmT0_T1_T2_T3_T4_T5_mmT6_P12ihipStream_tbEUlT_E_NS1_11comp_targetILNS1_3genE0ELNS1_11target_archE4294967295ELNS1_3gpuE0ELNS1_3repE0EEENS1_30default_config_static_selectorELNS0_4arch9wavefront6targetE1EEEvSP_
	.p2align	8
	.type	_ZN7rocprim17ROCPRIM_400000_NS6detail17trampoline_kernelINS0_14default_configENS1_21merge_config_selectorIfNS0_10empty_typeEEEZNS1_10merge_implIS3_N6thrust23THRUST_200600_302600_NS6detail15normal_iteratorINS9_10device_ptrIKfEEEESF_NSB_INSC_IfEEEEPS5_SI_SI_NS9_7greaterIfEEEE10hipError_tPvRmT0_T1_T2_T3_T4_T5_mmT6_P12ihipStream_tbEUlT_E_NS1_11comp_targetILNS1_3genE0ELNS1_11target_archE4294967295ELNS1_3gpuE0ELNS1_3repE0EEENS1_30default_config_static_selectorELNS0_4arch9wavefront6targetE1EEEvSP_,@function
_ZN7rocprim17ROCPRIM_400000_NS6detail17trampoline_kernelINS0_14default_configENS1_21merge_config_selectorIfNS0_10empty_typeEEEZNS1_10merge_implIS3_N6thrust23THRUST_200600_302600_NS6detail15normal_iteratorINS9_10device_ptrIKfEEEESF_NSB_INSC_IfEEEEPS5_SI_SI_NS9_7greaterIfEEEE10hipError_tPvRmT0_T1_T2_T3_T4_T5_mmT6_P12ihipStream_tbEUlT_E_NS1_11comp_targetILNS1_3genE0ELNS1_11target_archE4294967295ELNS1_3gpuE0ELNS1_3repE0EEENS1_30default_config_static_selectorELNS0_4arch9wavefront6targetE1EEEvSP_: ; @_ZN7rocprim17ROCPRIM_400000_NS6detail17trampoline_kernelINS0_14default_configENS1_21merge_config_selectorIfNS0_10empty_typeEEEZNS1_10merge_implIS3_N6thrust23THRUST_200600_302600_NS6detail15normal_iteratorINS9_10device_ptrIKfEEEESF_NSB_INSC_IfEEEEPS5_SI_SI_NS9_7greaterIfEEEE10hipError_tPvRmT0_T1_T2_T3_T4_T5_mmT6_P12ihipStream_tbEUlT_E_NS1_11comp_targetILNS1_3genE0ELNS1_11target_archE4294967295ELNS1_3gpuE0ELNS1_3repE0EEENS1_30default_config_static_selectorELNS0_4arch9wavefront6targetE1EEEvSP_
; %bb.0:
	.section	.rodata,"a",@progbits
	.p2align	6, 0x0
	.amdhsa_kernel _ZN7rocprim17ROCPRIM_400000_NS6detail17trampoline_kernelINS0_14default_configENS1_21merge_config_selectorIfNS0_10empty_typeEEEZNS1_10merge_implIS3_N6thrust23THRUST_200600_302600_NS6detail15normal_iteratorINS9_10device_ptrIKfEEEESF_NSB_INSC_IfEEEEPS5_SI_SI_NS9_7greaterIfEEEE10hipError_tPvRmT0_T1_T2_T3_T4_T5_mmT6_P12ihipStream_tbEUlT_E_NS1_11comp_targetILNS1_3genE0ELNS1_11target_archE4294967295ELNS1_3gpuE0ELNS1_3repE0EEENS1_30default_config_static_selectorELNS0_4arch9wavefront6targetE1EEEvSP_
		.amdhsa_group_segment_fixed_size 0
		.amdhsa_private_segment_fixed_size 0
		.amdhsa_kernarg_size 48
		.amdhsa_user_sgpr_count 6
		.amdhsa_user_sgpr_private_segment_buffer 1
		.amdhsa_user_sgpr_dispatch_ptr 0
		.amdhsa_user_sgpr_queue_ptr 0
		.amdhsa_user_sgpr_kernarg_segment_ptr 1
		.amdhsa_user_sgpr_dispatch_id 0
		.amdhsa_user_sgpr_flat_scratch_init 0
		.amdhsa_user_sgpr_kernarg_preload_length 0
		.amdhsa_user_sgpr_kernarg_preload_offset 0
		.amdhsa_user_sgpr_private_segment_size 0
		.amdhsa_uses_dynamic_stack 0
		.amdhsa_system_sgpr_private_segment_wavefront_offset 0
		.amdhsa_system_sgpr_workgroup_id_x 1
		.amdhsa_system_sgpr_workgroup_id_y 0
		.amdhsa_system_sgpr_workgroup_id_z 0
		.amdhsa_system_sgpr_workgroup_info 0
		.amdhsa_system_vgpr_workitem_id 0
		.amdhsa_next_free_vgpr 1
		.amdhsa_next_free_sgpr 0
		.amdhsa_accum_offset 4
		.amdhsa_reserve_vcc 0
		.amdhsa_reserve_flat_scratch 0
		.amdhsa_float_round_mode_32 0
		.amdhsa_float_round_mode_16_64 0
		.amdhsa_float_denorm_mode_32 3
		.amdhsa_float_denorm_mode_16_64 3
		.amdhsa_dx10_clamp 1
		.amdhsa_ieee_mode 1
		.amdhsa_fp16_overflow 0
		.amdhsa_tg_split 0
		.amdhsa_exception_fp_ieee_invalid_op 0
		.amdhsa_exception_fp_denorm_src 0
		.amdhsa_exception_fp_ieee_div_zero 0
		.amdhsa_exception_fp_ieee_overflow 0
		.amdhsa_exception_fp_ieee_underflow 0
		.amdhsa_exception_fp_ieee_inexact 0
		.amdhsa_exception_int_div_zero 0
	.end_amdhsa_kernel
	.section	.text._ZN7rocprim17ROCPRIM_400000_NS6detail17trampoline_kernelINS0_14default_configENS1_21merge_config_selectorIfNS0_10empty_typeEEEZNS1_10merge_implIS3_N6thrust23THRUST_200600_302600_NS6detail15normal_iteratorINS9_10device_ptrIKfEEEESF_NSB_INSC_IfEEEEPS5_SI_SI_NS9_7greaterIfEEEE10hipError_tPvRmT0_T1_T2_T3_T4_T5_mmT6_P12ihipStream_tbEUlT_E_NS1_11comp_targetILNS1_3genE0ELNS1_11target_archE4294967295ELNS1_3gpuE0ELNS1_3repE0EEENS1_30default_config_static_selectorELNS0_4arch9wavefront6targetE1EEEvSP_,"axG",@progbits,_ZN7rocprim17ROCPRIM_400000_NS6detail17trampoline_kernelINS0_14default_configENS1_21merge_config_selectorIfNS0_10empty_typeEEEZNS1_10merge_implIS3_N6thrust23THRUST_200600_302600_NS6detail15normal_iteratorINS9_10device_ptrIKfEEEESF_NSB_INSC_IfEEEEPS5_SI_SI_NS9_7greaterIfEEEE10hipError_tPvRmT0_T1_T2_T3_T4_T5_mmT6_P12ihipStream_tbEUlT_E_NS1_11comp_targetILNS1_3genE0ELNS1_11target_archE4294967295ELNS1_3gpuE0ELNS1_3repE0EEENS1_30default_config_static_selectorELNS0_4arch9wavefront6targetE1EEEvSP_,comdat
.Lfunc_end479:
	.size	_ZN7rocprim17ROCPRIM_400000_NS6detail17trampoline_kernelINS0_14default_configENS1_21merge_config_selectorIfNS0_10empty_typeEEEZNS1_10merge_implIS3_N6thrust23THRUST_200600_302600_NS6detail15normal_iteratorINS9_10device_ptrIKfEEEESF_NSB_INSC_IfEEEEPS5_SI_SI_NS9_7greaterIfEEEE10hipError_tPvRmT0_T1_T2_T3_T4_T5_mmT6_P12ihipStream_tbEUlT_E_NS1_11comp_targetILNS1_3genE0ELNS1_11target_archE4294967295ELNS1_3gpuE0ELNS1_3repE0EEENS1_30default_config_static_selectorELNS0_4arch9wavefront6targetE1EEEvSP_, .Lfunc_end479-_ZN7rocprim17ROCPRIM_400000_NS6detail17trampoline_kernelINS0_14default_configENS1_21merge_config_selectorIfNS0_10empty_typeEEEZNS1_10merge_implIS3_N6thrust23THRUST_200600_302600_NS6detail15normal_iteratorINS9_10device_ptrIKfEEEESF_NSB_INSC_IfEEEEPS5_SI_SI_NS9_7greaterIfEEEE10hipError_tPvRmT0_T1_T2_T3_T4_T5_mmT6_P12ihipStream_tbEUlT_E_NS1_11comp_targetILNS1_3genE0ELNS1_11target_archE4294967295ELNS1_3gpuE0ELNS1_3repE0EEENS1_30default_config_static_selectorELNS0_4arch9wavefront6targetE1EEEvSP_
                                        ; -- End function
	.section	.AMDGPU.csdata,"",@progbits
; Kernel info:
; codeLenInByte = 0
; NumSgprs: 4
; NumVgprs: 0
; NumAgprs: 0
; TotalNumVgprs: 0
; ScratchSize: 0
; MemoryBound: 0
; FloatMode: 240
; IeeeMode: 1
; LDSByteSize: 0 bytes/workgroup (compile time only)
; SGPRBlocks: 0
; VGPRBlocks: 0
; NumSGPRsForWavesPerEU: 4
; NumVGPRsForWavesPerEU: 1
; AccumOffset: 4
; Occupancy: 8
; WaveLimiterHint : 0
; COMPUTE_PGM_RSRC2:SCRATCH_EN: 0
; COMPUTE_PGM_RSRC2:USER_SGPR: 6
; COMPUTE_PGM_RSRC2:TRAP_HANDLER: 0
; COMPUTE_PGM_RSRC2:TGID_X_EN: 1
; COMPUTE_PGM_RSRC2:TGID_Y_EN: 0
; COMPUTE_PGM_RSRC2:TGID_Z_EN: 0
; COMPUTE_PGM_RSRC2:TIDIG_COMP_CNT: 0
; COMPUTE_PGM_RSRC3_GFX90A:ACCUM_OFFSET: 0
; COMPUTE_PGM_RSRC3_GFX90A:TG_SPLIT: 0
	.section	.text._ZN7rocprim17ROCPRIM_400000_NS6detail17trampoline_kernelINS0_14default_configENS1_21merge_config_selectorIfNS0_10empty_typeEEEZNS1_10merge_implIS3_N6thrust23THRUST_200600_302600_NS6detail15normal_iteratorINS9_10device_ptrIKfEEEESF_NSB_INSC_IfEEEEPS5_SI_SI_NS9_7greaterIfEEEE10hipError_tPvRmT0_T1_T2_T3_T4_T5_mmT6_P12ihipStream_tbEUlT_E_NS1_11comp_targetILNS1_3genE5ELNS1_11target_archE942ELNS1_3gpuE9ELNS1_3repE0EEENS1_30default_config_static_selectorELNS0_4arch9wavefront6targetE1EEEvSP_,"axG",@progbits,_ZN7rocprim17ROCPRIM_400000_NS6detail17trampoline_kernelINS0_14default_configENS1_21merge_config_selectorIfNS0_10empty_typeEEEZNS1_10merge_implIS3_N6thrust23THRUST_200600_302600_NS6detail15normal_iteratorINS9_10device_ptrIKfEEEESF_NSB_INSC_IfEEEEPS5_SI_SI_NS9_7greaterIfEEEE10hipError_tPvRmT0_T1_T2_T3_T4_T5_mmT6_P12ihipStream_tbEUlT_E_NS1_11comp_targetILNS1_3genE5ELNS1_11target_archE942ELNS1_3gpuE9ELNS1_3repE0EEENS1_30default_config_static_selectorELNS0_4arch9wavefront6targetE1EEEvSP_,comdat
	.protected	_ZN7rocprim17ROCPRIM_400000_NS6detail17trampoline_kernelINS0_14default_configENS1_21merge_config_selectorIfNS0_10empty_typeEEEZNS1_10merge_implIS3_N6thrust23THRUST_200600_302600_NS6detail15normal_iteratorINS9_10device_ptrIKfEEEESF_NSB_INSC_IfEEEEPS5_SI_SI_NS9_7greaterIfEEEE10hipError_tPvRmT0_T1_T2_T3_T4_T5_mmT6_P12ihipStream_tbEUlT_E_NS1_11comp_targetILNS1_3genE5ELNS1_11target_archE942ELNS1_3gpuE9ELNS1_3repE0EEENS1_30default_config_static_selectorELNS0_4arch9wavefront6targetE1EEEvSP_ ; -- Begin function _ZN7rocprim17ROCPRIM_400000_NS6detail17trampoline_kernelINS0_14default_configENS1_21merge_config_selectorIfNS0_10empty_typeEEEZNS1_10merge_implIS3_N6thrust23THRUST_200600_302600_NS6detail15normal_iteratorINS9_10device_ptrIKfEEEESF_NSB_INSC_IfEEEEPS5_SI_SI_NS9_7greaterIfEEEE10hipError_tPvRmT0_T1_T2_T3_T4_T5_mmT6_P12ihipStream_tbEUlT_E_NS1_11comp_targetILNS1_3genE5ELNS1_11target_archE942ELNS1_3gpuE9ELNS1_3repE0EEENS1_30default_config_static_selectorELNS0_4arch9wavefront6targetE1EEEvSP_
	.globl	_ZN7rocprim17ROCPRIM_400000_NS6detail17trampoline_kernelINS0_14default_configENS1_21merge_config_selectorIfNS0_10empty_typeEEEZNS1_10merge_implIS3_N6thrust23THRUST_200600_302600_NS6detail15normal_iteratorINS9_10device_ptrIKfEEEESF_NSB_INSC_IfEEEEPS5_SI_SI_NS9_7greaterIfEEEE10hipError_tPvRmT0_T1_T2_T3_T4_T5_mmT6_P12ihipStream_tbEUlT_E_NS1_11comp_targetILNS1_3genE5ELNS1_11target_archE942ELNS1_3gpuE9ELNS1_3repE0EEENS1_30default_config_static_selectorELNS0_4arch9wavefront6targetE1EEEvSP_
	.p2align	8
	.type	_ZN7rocprim17ROCPRIM_400000_NS6detail17trampoline_kernelINS0_14default_configENS1_21merge_config_selectorIfNS0_10empty_typeEEEZNS1_10merge_implIS3_N6thrust23THRUST_200600_302600_NS6detail15normal_iteratorINS9_10device_ptrIKfEEEESF_NSB_INSC_IfEEEEPS5_SI_SI_NS9_7greaterIfEEEE10hipError_tPvRmT0_T1_T2_T3_T4_T5_mmT6_P12ihipStream_tbEUlT_E_NS1_11comp_targetILNS1_3genE5ELNS1_11target_archE942ELNS1_3gpuE9ELNS1_3repE0EEENS1_30default_config_static_selectorELNS0_4arch9wavefront6targetE1EEEvSP_,@function
_ZN7rocprim17ROCPRIM_400000_NS6detail17trampoline_kernelINS0_14default_configENS1_21merge_config_selectorIfNS0_10empty_typeEEEZNS1_10merge_implIS3_N6thrust23THRUST_200600_302600_NS6detail15normal_iteratorINS9_10device_ptrIKfEEEESF_NSB_INSC_IfEEEEPS5_SI_SI_NS9_7greaterIfEEEE10hipError_tPvRmT0_T1_T2_T3_T4_T5_mmT6_P12ihipStream_tbEUlT_E_NS1_11comp_targetILNS1_3genE5ELNS1_11target_archE942ELNS1_3gpuE9ELNS1_3repE0EEENS1_30default_config_static_selectorELNS0_4arch9wavefront6targetE1EEEvSP_: ; @_ZN7rocprim17ROCPRIM_400000_NS6detail17trampoline_kernelINS0_14default_configENS1_21merge_config_selectorIfNS0_10empty_typeEEEZNS1_10merge_implIS3_N6thrust23THRUST_200600_302600_NS6detail15normal_iteratorINS9_10device_ptrIKfEEEESF_NSB_INSC_IfEEEEPS5_SI_SI_NS9_7greaterIfEEEE10hipError_tPvRmT0_T1_T2_T3_T4_T5_mmT6_P12ihipStream_tbEUlT_E_NS1_11comp_targetILNS1_3genE5ELNS1_11target_archE942ELNS1_3gpuE9ELNS1_3repE0EEENS1_30default_config_static_selectorELNS0_4arch9wavefront6targetE1EEEvSP_
; %bb.0:
	.section	.rodata,"a",@progbits
	.p2align	6, 0x0
	.amdhsa_kernel _ZN7rocprim17ROCPRIM_400000_NS6detail17trampoline_kernelINS0_14default_configENS1_21merge_config_selectorIfNS0_10empty_typeEEEZNS1_10merge_implIS3_N6thrust23THRUST_200600_302600_NS6detail15normal_iteratorINS9_10device_ptrIKfEEEESF_NSB_INSC_IfEEEEPS5_SI_SI_NS9_7greaterIfEEEE10hipError_tPvRmT0_T1_T2_T3_T4_T5_mmT6_P12ihipStream_tbEUlT_E_NS1_11comp_targetILNS1_3genE5ELNS1_11target_archE942ELNS1_3gpuE9ELNS1_3repE0EEENS1_30default_config_static_selectorELNS0_4arch9wavefront6targetE1EEEvSP_
		.amdhsa_group_segment_fixed_size 0
		.amdhsa_private_segment_fixed_size 0
		.amdhsa_kernarg_size 48
		.amdhsa_user_sgpr_count 6
		.amdhsa_user_sgpr_private_segment_buffer 1
		.amdhsa_user_sgpr_dispatch_ptr 0
		.amdhsa_user_sgpr_queue_ptr 0
		.amdhsa_user_sgpr_kernarg_segment_ptr 1
		.amdhsa_user_sgpr_dispatch_id 0
		.amdhsa_user_sgpr_flat_scratch_init 0
		.amdhsa_user_sgpr_kernarg_preload_length 0
		.amdhsa_user_sgpr_kernarg_preload_offset 0
		.amdhsa_user_sgpr_private_segment_size 0
		.amdhsa_uses_dynamic_stack 0
		.amdhsa_system_sgpr_private_segment_wavefront_offset 0
		.amdhsa_system_sgpr_workgroup_id_x 1
		.amdhsa_system_sgpr_workgroup_id_y 0
		.amdhsa_system_sgpr_workgroup_id_z 0
		.amdhsa_system_sgpr_workgroup_info 0
		.amdhsa_system_vgpr_workitem_id 0
		.amdhsa_next_free_vgpr 1
		.amdhsa_next_free_sgpr 0
		.amdhsa_accum_offset 4
		.amdhsa_reserve_vcc 0
		.amdhsa_reserve_flat_scratch 0
		.amdhsa_float_round_mode_32 0
		.amdhsa_float_round_mode_16_64 0
		.amdhsa_float_denorm_mode_32 3
		.amdhsa_float_denorm_mode_16_64 3
		.amdhsa_dx10_clamp 1
		.amdhsa_ieee_mode 1
		.amdhsa_fp16_overflow 0
		.amdhsa_tg_split 0
		.amdhsa_exception_fp_ieee_invalid_op 0
		.amdhsa_exception_fp_denorm_src 0
		.amdhsa_exception_fp_ieee_div_zero 0
		.amdhsa_exception_fp_ieee_overflow 0
		.amdhsa_exception_fp_ieee_underflow 0
		.amdhsa_exception_fp_ieee_inexact 0
		.amdhsa_exception_int_div_zero 0
	.end_amdhsa_kernel
	.section	.text._ZN7rocprim17ROCPRIM_400000_NS6detail17trampoline_kernelINS0_14default_configENS1_21merge_config_selectorIfNS0_10empty_typeEEEZNS1_10merge_implIS3_N6thrust23THRUST_200600_302600_NS6detail15normal_iteratorINS9_10device_ptrIKfEEEESF_NSB_INSC_IfEEEEPS5_SI_SI_NS9_7greaterIfEEEE10hipError_tPvRmT0_T1_T2_T3_T4_T5_mmT6_P12ihipStream_tbEUlT_E_NS1_11comp_targetILNS1_3genE5ELNS1_11target_archE942ELNS1_3gpuE9ELNS1_3repE0EEENS1_30default_config_static_selectorELNS0_4arch9wavefront6targetE1EEEvSP_,"axG",@progbits,_ZN7rocprim17ROCPRIM_400000_NS6detail17trampoline_kernelINS0_14default_configENS1_21merge_config_selectorIfNS0_10empty_typeEEEZNS1_10merge_implIS3_N6thrust23THRUST_200600_302600_NS6detail15normal_iteratorINS9_10device_ptrIKfEEEESF_NSB_INSC_IfEEEEPS5_SI_SI_NS9_7greaterIfEEEE10hipError_tPvRmT0_T1_T2_T3_T4_T5_mmT6_P12ihipStream_tbEUlT_E_NS1_11comp_targetILNS1_3genE5ELNS1_11target_archE942ELNS1_3gpuE9ELNS1_3repE0EEENS1_30default_config_static_selectorELNS0_4arch9wavefront6targetE1EEEvSP_,comdat
.Lfunc_end480:
	.size	_ZN7rocprim17ROCPRIM_400000_NS6detail17trampoline_kernelINS0_14default_configENS1_21merge_config_selectorIfNS0_10empty_typeEEEZNS1_10merge_implIS3_N6thrust23THRUST_200600_302600_NS6detail15normal_iteratorINS9_10device_ptrIKfEEEESF_NSB_INSC_IfEEEEPS5_SI_SI_NS9_7greaterIfEEEE10hipError_tPvRmT0_T1_T2_T3_T4_T5_mmT6_P12ihipStream_tbEUlT_E_NS1_11comp_targetILNS1_3genE5ELNS1_11target_archE942ELNS1_3gpuE9ELNS1_3repE0EEENS1_30default_config_static_selectorELNS0_4arch9wavefront6targetE1EEEvSP_, .Lfunc_end480-_ZN7rocprim17ROCPRIM_400000_NS6detail17trampoline_kernelINS0_14default_configENS1_21merge_config_selectorIfNS0_10empty_typeEEEZNS1_10merge_implIS3_N6thrust23THRUST_200600_302600_NS6detail15normal_iteratorINS9_10device_ptrIKfEEEESF_NSB_INSC_IfEEEEPS5_SI_SI_NS9_7greaterIfEEEE10hipError_tPvRmT0_T1_T2_T3_T4_T5_mmT6_P12ihipStream_tbEUlT_E_NS1_11comp_targetILNS1_3genE5ELNS1_11target_archE942ELNS1_3gpuE9ELNS1_3repE0EEENS1_30default_config_static_selectorELNS0_4arch9wavefront6targetE1EEEvSP_
                                        ; -- End function
	.section	.AMDGPU.csdata,"",@progbits
; Kernel info:
; codeLenInByte = 0
; NumSgprs: 4
; NumVgprs: 0
; NumAgprs: 0
; TotalNumVgprs: 0
; ScratchSize: 0
; MemoryBound: 0
; FloatMode: 240
; IeeeMode: 1
; LDSByteSize: 0 bytes/workgroup (compile time only)
; SGPRBlocks: 0
; VGPRBlocks: 0
; NumSGPRsForWavesPerEU: 4
; NumVGPRsForWavesPerEU: 1
; AccumOffset: 4
; Occupancy: 8
; WaveLimiterHint : 0
; COMPUTE_PGM_RSRC2:SCRATCH_EN: 0
; COMPUTE_PGM_RSRC2:USER_SGPR: 6
; COMPUTE_PGM_RSRC2:TRAP_HANDLER: 0
; COMPUTE_PGM_RSRC2:TGID_X_EN: 1
; COMPUTE_PGM_RSRC2:TGID_Y_EN: 0
; COMPUTE_PGM_RSRC2:TGID_Z_EN: 0
; COMPUTE_PGM_RSRC2:TIDIG_COMP_CNT: 0
; COMPUTE_PGM_RSRC3_GFX90A:ACCUM_OFFSET: 0
; COMPUTE_PGM_RSRC3_GFX90A:TG_SPLIT: 0
	.section	.text._ZN7rocprim17ROCPRIM_400000_NS6detail17trampoline_kernelINS0_14default_configENS1_21merge_config_selectorIfNS0_10empty_typeEEEZNS1_10merge_implIS3_N6thrust23THRUST_200600_302600_NS6detail15normal_iteratorINS9_10device_ptrIKfEEEESF_NSB_INSC_IfEEEEPS5_SI_SI_NS9_7greaterIfEEEE10hipError_tPvRmT0_T1_T2_T3_T4_T5_mmT6_P12ihipStream_tbEUlT_E_NS1_11comp_targetILNS1_3genE4ELNS1_11target_archE910ELNS1_3gpuE8ELNS1_3repE0EEENS1_30default_config_static_selectorELNS0_4arch9wavefront6targetE1EEEvSP_,"axG",@progbits,_ZN7rocprim17ROCPRIM_400000_NS6detail17trampoline_kernelINS0_14default_configENS1_21merge_config_selectorIfNS0_10empty_typeEEEZNS1_10merge_implIS3_N6thrust23THRUST_200600_302600_NS6detail15normal_iteratorINS9_10device_ptrIKfEEEESF_NSB_INSC_IfEEEEPS5_SI_SI_NS9_7greaterIfEEEE10hipError_tPvRmT0_T1_T2_T3_T4_T5_mmT6_P12ihipStream_tbEUlT_E_NS1_11comp_targetILNS1_3genE4ELNS1_11target_archE910ELNS1_3gpuE8ELNS1_3repE0EEENS1_30default_config_static_selectorELNS0_4arch9wavefront6targetE1EEEvSP_,comdat
	.protected	_ZN7rocprim17ROCPRIM_400000_NS6detail17trampoline_kernelINS0_14default_configENS1_21merge_config_selectorIfNS0_10empty_typeEEEZNS1_10merge_implIS3_N6thrust23THRUST_200600_302600_NS6detail15normal_iteratorINS9_10device_ptrIKfEEEESF_NSB_INSC_IfEEEEPS5_SI_SI_NS9_7greaterIfEEEE10hipError_tPvRmT0_T1_T2_T3_T4_T5_mmT6_P12ihipStream_tbEUlT_E_NS1_11comp_targetILNS1_3genE4ELNS1_11target_archE910ELNS1_3gpuE8ELNS1_3repE0EEENS1_30default_config_static_selectorELNS0_4arch9wavefront6targetE1EEEvSP_ ; -- Begin function _ZN7rocprim17ROCPRIM_400000_NS6detail17trampoline_kernelINS0_14default_configENS1_21merge_config_selectorIfNS0_10empty_typeEEEZNS1_10merge_implIS3_N6thrust23THRUST_200600_302600_NS6detail15normal_iteratorINS9_10device_ptrIKfEEEESF_NSB_INSC_IfEEEEPS5_SI_SI_NS9_7greaterIfEEEE10hipError_tPvRmT0_T1_T2_T3_T4_T5_mmT6_P12ihipStream_tbEUlT_E_NS1_11comp_targetILNS1_3genE4ELNS1_11target_archE910ELNS1_3gpuE8ELNS1_3repE0EEENS1_30default_config_static_selectorELNS0_4arch9wavefront6targetE1EEEvSP_
	.globl	_ZN7rocprim17ROCPRIM_400000_NS6detail17trampoline_kernelINS0_14default_configENS1_21merge_config_selectorIfNS0_10empty_typeEEEZNS1_10merge_implIS3_N6thrust23THRUST_200600_302600_NS6detail15normal_iteratorINS9_10device_ptrIKfEEEESF_NSB_INSC_IfEEEEPS5_SI_SI_NS9_7greaterIfEEEE10hipError_tPvRmT0_T1_T2_T3_T4_T5_mmT6_P12ihipStream_tbEUlT_E_NS1_11comp_targetILNS1_3genE4ELNS1_11target_archE910ELNS1_3gpuE8ELNS1_3repE0EEENS1_30default_config_static_selectorELNS0_4arch9wavefront6targetE1EEEvSP_
	.p2align	8
	.type	_ZN7rocprim17ROCPRIM_400000_NS6detail17trampoline_kernelINS0_14default_configENS1_21merge_config_selectorIfNS0_10empty_typeEEEZNS1_10merge_implIS3_N6thrust23THRUST_200600_302600_NS6detail15normal_iteratorINS9_10device_ptrIKfEEEESF_NSB_INSC_IfEEEEPS5_SI_SI_NS9_7greaterIfEEEE10hipError_tPvRmT0_T1_T2_T3_T4_T5_mmT6_P12ihipStream_tbEUlT_E_NS1_11comp_targetILNS1_3genE4ELNS1_11target_archE910ELNS1_3gpuE8ELNS1_3repE0EEENS1_30default_config_static_selectorELNS0_4arch9wavefront6targetE1EEEvSP_,@function
_ZN7rocprim17ROCPRIM_400000_NS6detail17trampoline_kernelINS0_14default_configENS1_21merge_config_selectorIfNS0_10empty_typeEEEZNS1_10merge_implIS3_N6thrust23THRUST_200600_302600_NS6detail15normal_iteratorINS9_10device_ptrIKfEEEESF_NSB_INSC_IfEEEEPS5_SI_SI_NS9_7greaterIfEEEE10hipError_tPvRmT0_T1_T2_T3_T4_T5_mmT6_P12ihipStream_tbEUlT_E_NS1_11comp_targetILNS1_3genE4ELNS1_11target_archE910ELNS1_3gpuE8ELNS1_3repE0EEENS1_30default_config_static_selectorELNS0_4arch9wavefront6targetE1EEEvSP_: ; @_ZN7rocprim17ROCPRIM_400000_NS6detail17trampoline_kernelINS0_14default_configENS1_21merge_config_selectorIfNS0_10empty_typeEEEZNS1_10merge_implIS3_N6thrust23THRUST_200600_302600_NS6detail15normal_iteratorINS9_10device_ptrIKfEEEESF_NSB_INSC_IfEEEEPS5_SI_SI_NS9_7greaterIfEEEE10hipError_tPvRmT0_T1_T2_T3_T4_T5_mmT6_P12ihipStream_tbEUlT_E_NS1_11comp_targetILNS1_3genE4ELNS1_11target_archE910ELNS1_3gpuE8ELNS1_3repE0EEENS1_30default_config_static_selectorELNS0_4arch9wavefront6targetE1EEEvSP_
; %bb.0:
	s_load_dword s7, s[4:5], 0x28
	s_load_dword s0, s[4:5], 0x3c
	s_load_dwordx4 s[8:11], s[4:5], 0x18
	s_waitcnt lgkmcnt(0)
	v_cvt_f32_u32_e32 v1, s7
	s_and_b32 s0, s0, 0xffff
	s_add_u32 s12, s10, s8
	s_addc_u32 s13, s11, s9
	v_rcp_iflag_f32_e32 v1, v1
	s_sub_i32 s1, 0, s7
	s_mul_i32 s6, s6, s0
	s_add_i32 s0, s7, s12
	v_mul_f32_e32 v1, 0x4f7ffffe, v1
	v_cvt_u32_f32_e32 v1, v1
	s_add_i32 s0, s0, -1
	v_add_u32_e32 v0, s6, v0
	v_readfirstlane_b32 s2, v1
	s_mul_i32 s1, s1, s2
	s_mul_hi_u32 s1, s2, s1
	s_add_i32 s2, s2, s1
	s_mul_hi_u32 s1, s0, s2
	s_mul_i32 s2, s1, s7
	s_sub_i32 s0, s0, s2
	s_add_i32 s3, s1, 1
	s_sub_i32 s2, s0, s7
	s_cmp_ge_u32 s0, s7
	s_cselect_b32 s1, s3, s1
	s_cselect_b32 s0, s2, s0
	s_add_i32 s2, s1, 1
	s_cmp_ge_u32 s0, s7
	s_cselect_b32 s0, s2, s1
	v_cmp_ge_u32_e32 vcc, s0, v0
	s_and_saveexec_b64 s[0:1], vcc
	s_cbranch_execz .LBB481_6
; %bb.1:
	v_mul_lo_u32 v2, v0, s7
	v_mov_b32_e32 v3, 0
	v_mov_b32_e32 v1, s13
	v_cmp_gt_u64_e32 vcc, s[12:13], v[2:3]
	v_cndmask_b32_e64 v7, v1, 0, vcc
	v_mov_b32_e32 v1, s12
	v_cndmask_b32_e32 v6, v1, v2, vcc
	v_mov_b32_e32 v1, s11
	v_subrev_co_u32_e32 v2, vcc, s10, v6
	v_subb_co_u32_e32 v3, vcc, v7, v1, vcc
	s_load_dwordx4 s[0:3], s[4:5], 0x0
	v_cmp_gt_u64_e32 vcc, v[2:3], v[6:7]
	v_cndmask_b32_e64 v3, v3, 0, vcc
	v_cndmask_b32_e64 v2, v2, 0, vcc
	v_mov_b32_e32 v1, s9
	v_cmp_gt_u64_e32 vcc, s[8:9], v[6:7]
	v_cndmask_b32_e32 v5, v1, v7, vcc
	v_mov_b32_e32 v1, s8
	v_cndmask_b32_e32 v4, v1, v6, vcc
	v_cmp_lt_u64_e32 vcc, v[2:3], v[4:5]
	s_and_saveexec_b64 s[6:7], vcc
	s_cbranch_execz .LBB481_5
; %bb.2:
	s_load_dwordx2 s[4:5], s[4:5], 0x10
	v_lshlrev_b64 v[6:7], 2, v[6:7]
	s_waitcnt lgkmcnt(0)
	v_mov_b32_e32 v8, s5
	v_add_co_u32_e32 v1, vcc, s4, v6
	v_addc_co_u32_e32 v6, vcc, v8, v7, vcc
	s_mov_b64 s[4:5], 0
	v_mov_b32_e32 v7, s3
.LBB481_3:                              ; =>This Inner Loop Header: Depth=1
	v_add_co_u32_e32 v8, vcc, v4, v2
	v_addc_co_u32_e32 v9, vcc, v5, v3, vcc
	v_lshrrev_b64 v[8:9], 1, v[8:9]
	v_lshlrev_b64 v[12:13], 2, v[8:9]
	v_not_b32_e32 v11, v9
	v_not_b32_e32 v10, v8
	v_add_co_u32_e32 v12, vcc, s2, v12
	v_addc_co_u32_e32 v13, vcc, v7, v13, vcc
	v_lshlrev_b64 v[10:11], 2, v[10:11]
	v_add_co_u32_e32 v10, vcc, v1, v10
	v_addc_co_u32_e32 v11, vcc, v6, v11, vcc
	global_load_dword v12, v[12:13], off
	s_nop 0
	global_load_dword v10, v[10:11], off
	v_add_co_u32_e32 v11, vcc, 1, v8
	v_addc_co_u32_e32 v13, vcc, 0, v9, vcc
	s_waitcnt vmcnt(0)
	v_cmp_gt_f32_e32 vcc, v10, v12
	v_cndmask_b32_e32 v5, v5, v9, vcc
	v_cndmask_b32_e32 v4, v4, v8, vcc
	;; [unrolled: 1-line block ×4, first 2 shown]
	v_cmp_ge_u64_e32 vcc, v[2:3], v[4:5]
	s_or_b64 s[4:5], vcc, s[4:5]
	s_andn2_b64 exec, exec, s[4:5]
	s_cbranch_execnz .LBB481_3
; %bb.4:
	s_or_b64 exec, exec, s[4:5]
.LBB481_5:
	s_or_b64 exec, exec, s[6:7]
	v_mov_b32_e32 v1, 0
	v_lshlrev_b64 v[0:1], 2, v[0:1]
	s_waitcnt lgkmcnt(0)
	v_mov_b32_e32 v3, s1
	v_add_co_u32_e32 v0, vcc, s0, v0
	v_addc_co_u32_e32 v1, vcc, v3, v1, vcc
	global_store_dword v[0:1], v2, off
.LBB481_6:
	s_endpgm
	.section	.rodata,"a",@progbits
	.p2align	6, 0x0
	.amdhsa_kernel _ZN7rocprim17ROCPRIM_400000_NS6detail17trampoline_kernelINS0_14default_configENS1_21merge_config_selectorIfNS0_10empty_typeEEEZNS1_10merge_implIS3_N6thrust23THRUST_200600_302600_NS6detail15normal_iteratorINS9_10device_ptrIKfEEEESF_NSB_INSC_IfEEEEPS5_SI_SI_NS9_7greaterIfEEEE10hipError_tPvRmT0_T1_T2_T3_T4_T5_mmT6_P12ihipStream_tbEUlT_E_NS1_11comp_targetILNS1_3genE4ELNS1_11target_archE910ELNS1_3gpuE8ELNS1_3repE0EEENS1_30default_config_static_selectorELNS0_4arch9wavefront6targetE1EEEvSP_
		.amdhsa_group_segment_fixed_size 0
		.amdhsa_private_segment_fixed_size 0
		.amdhsa_kernarg_size 304
		.amdhsa_user_sgpr_count 6
		.amdhsa_user_sgpr_private_segment_buffer 1
		.amdhsa_user_sgpr_dispatch_ptr 0
		.amdhsa_user_sgpr_queue_ptr 0
		.amdhsa_user_sgpr_kernarg_segment_ptr 1
		.amdhsa_user_sgpr_dispatch_id 0
		.amdhsa_user_sgpr_flat_scratch_init 0
		.amdhsa_user_sgpr_kernarg_preload_length 0
		.amdhsa_user_sgpr_kernarg_preload_offset 0
		.amdhsa_user_sgpr_private_segment_size 0
		.amdhsa_uses_dynamic_stack 0
		.amdhsa_system_sgpr_private_segment_wavefront_offset 0
		.amdhsa_system_sgpr_workgroup_id_x 1
		.amdhsa_system_sgpr_workgroup_id_y 0
		.amdhsa_system_sgpr_workgroup_id_z 0
		.amdhsa_system_sgpr_workgroup_info 0
		.amdhsa_system_vgpr_workitem_id 0
		.amdhsa_next_free_vgpr 14
		.amdhsa_next_free_sgpr 14
		.amdhsa_accum_offset 16
		.amdhsa_reserve_vcc 1
		.amdhsa_reserve_flat_scratch 0
		.amdhsa_float_round_mode_32 0
		.amdhsa_float_round_mode_16_64 0
		.amdhsa_float_denorm_mode_32 3
		.amdhsa_float_denorm_mode_16_64 3
		.amdhsa_dx10_clamp 1
		.amdhsa_ieee_mode 1
		.amdhsa_fp16_overflow 0
		.amdhsa_tg_split 0
		.amdhsa_exception_fp_ieee_invalid_op 0
		.amdhsa_exception_fp_denorm_src 0
		.amdhsa_exception_fp_ieee_div_zero 0
		.amdhsa_exception_fp_ieee_overflow 0
		.amdhsa_exception_fp_ieee_underflow 0
		.amdhsa_exception_fp_ieee_inexact 0
		.amdhsa_exception_int_div_zero 0
	.end_amdhsa_kernel
	.section	.text._ZN7rocprim17ROCPRIM_400000_NS6detail17trampoline_kernelINS0_14default_configENS1_21merge_config_selectorIfNS0_10empty_typeEEEZNS1_10merge_implIS3_N6thrust23THRUST_200600_302600_NS6detail15normal_iteratorINS9_10device_ptrIKfEEEESF_NSB_INSC_IfEEEEPS5_SI_SI_NS9_7greaterIfEEEE10hipError_tPvRmT0_T1_T2_T3_T4_T5_mmT6_P12ihipStream_tbEUlT_E_NS1_11comp_targetILNS1_3genE4ELNS1_11target_archE910ELNS1_3gpuE8ELNS1_3repE0EEENS1_30default_config_static_selectorELNS0_4arch9wavefront6targetE1EEEvSP_,"axG",@progbits,_ZN7rocprim17ROCPRIM_400000_NS6detail17trampoline_kernelINS0_14default_configENS1_21merge_config_selectorIfNS0_10empty_typeEEEZNS1_10merge_implIS3_N6thrust23THRUST_200600_302600_NS6detail15normal_iteratorINS9_10device_ptrIKfEEEESF_NSB_INSC_IfEEEEPS5_SI_SI_NS9_7greaterIfEEEE10hipError_tPvRmT0_T1_T2_T3_T4_T5_mmT6_P12ihipStream_tbEUlT_E_NS1_11comp_targetILNS1_3genE4ELNS1_11target_archE910ELNS1_3gpuE8ELNS1_3repE0EEENS1_30default_config_static_selectorELNS0_4arch9wavefront6targetE1EEEvSP_,comdat
.Lfunc_end481:
	.size	_ZN7rocprim17ROCPRIM_400000_NS6detail17trampoline_kernelINS0_14default_configENS1_21merge_config_selectorIfNS0_10empty_typeEEEZNS1_10merge_implIS3_N6thrust23THRUST_200600_302600_NS6detail15normal_iteratorINS9_10device_ptrIKfEEEESF_NSB_INSC_IfEEEEPS5_SI_SI_NS9_7greaterIfEEEE10hipError_tPvRmT0_T1_T2_T3_T4_T5_mmT6_P12ihipStream_tbEUlT_E_NS1_11comp_targetILNS1_3genE4ELNS1_11target_archE910ELNS1_3gpuE8ELNS1_3repE0EEENS1_30default_config_static_selectorELNS0_4arch9wavefront6targetE1EEEvSP_, .Lfunc_end481-_ZN7rocprim17ROCPRIM_400000_NS6detail17trampoline_kernelINS0_14default_configENS1_21merge_config_selectorIfNS0_10empty_typeEEEZNS1_10merge_implIS3_N6thrust23THRUST_200600_302600_NS6detail15normal_iteratorINS9_10device_ptrIKfEEEESF_NSB_INSC_IfEEEEPS5_SI_SI_NS9_7greaterIfEEEE10hipError_tPvRmT0_T1_T2_T3_T4_T5_mmT6_P12ihipStream_tbEUlT_E_NS1_11comp_targetILNS1_3genE4ELNS1_11target_archE910ELNS1_3gpuE8ELNS1_3repE0EEENS1_30default_config_static_selectorELNS0_4arch9wavefront6targetE1EEEvSP_
                                        ; -- End function
	.section	.AMDGPU.csdata,"",@progbits
; Kernel info:
; codeLenInByte = 476
; NumSgprs: 18
; NumVgprs: 14
; NumAgprs: 0
; TotalNumVgprs: 14
; ScratchSize: 0
; MemoryBound: 0
; FloatMode: 240
; IeeeMode: 1
; LDSByteSize: 0 bytes/workgroup (compile time only)
; SGPRBlocks: 2
; VGPRBlocks: 1
; NumSGPRsForWavesPerEU: 18
; NumVGPRsForWavesPerEU: 14
; AccumOffset: 16
; Occupancy: 8
; WaveLimiterHint : 0
; COMPUTE_PGM_RSRC2:SCRATCH_EN: 0
; COMPUTE_PGM_RSRC2:USER_SGPR: 6
; COMPUTE_PGM_RSRC2:TRAP_HANDLER: 0
; COMPUTE_PGM_RSRC2:TGID_X_EN: 1
; COMPUTE_PGM_RSRC2:TGID_Y_EN: 0
; COMPUTE_PGM_RSRC2:TGID_Z_EN: 0
; COMPUTE_PGM_RSRC2:TIDIG_COMP_CNT: 0
; COMPUTE_PGM_RSRC3_GFX90A:ACCUM_OFFSET: 3
; COMPUTE_PGM_RSRC3_GFX90A:TG_SPLIT: 0
	.section	.text._ZN7rocprim17ROCPRIM_400000_NS6detail17trampoline_kernelINS0_14default_configENS1_21merge_config_selectorIfNS0_10empty_typeEEEZNS1_10merge_implIS3_N6thrust23THRUST_200600_302600_NS6detail15normal_iteratorINS9_10device_ptrIKfEEEESF_NSB_INSC_IfEEEEPS5_SI_SI_NS9_7greaterIfEEEE10hipError_tPvRmT0_T1_T2_T3_T4_T5_mmT6_P12ihipStream_tbEUlT_E_NS1_11comp_targetILNS1_3genE3ELNS1_11target_archE908ELNS1_3gpuE7ELNS1_3repE0EEENS1_30default_config_static_selectorELNS0_4arch9wavefront6targetE1EEEvSP_,"axG",@progbits,_ZN7rocprim17ROCPRIM_400000_NS6detail17trampoline_kernelINS0_14default_configENS1_21merge_config_selectorIfNS0_10empty_typeEEEZNS1_10merge_implIS3_N6thrust23THRUST_200600_302600_NS6detail15normal_iteratorINS9_10device_ptrIKfEEEESF_NSB_INSC_IfEEEEPS5_SI_SI_NS9_7greaterIfEEEE10hipError_tPvRmT0_T1_T2_T3_T4_T5_mmT6_P12ihipStream_tbEUlT_E_NS1_11comp_targetILNS1_3genE3ELNS1_11target_archE908ELNS1_3gpuE7ELNS1_3repE0EEENS1_30default_config_static_selectorELNS0_4arch9wavefront6targetE1EEEvSP_,comdat
	.protected	_ZN7rocprim17ROCPRIM_400000_NS6detail17trampoline_kernelINS0_14default_configENS1_21merge_config_selectorIfNS0_10empty_typeEEEZNS1_10merge_implIS3_N6thrust23THRUST_200600_302600_NS6detail15normal_iteratorINS9_10device_ptrIKfEEEESF_NSB_INSC_IfEEEEPS5_SI_SI_NS9_7greaterIfEEEE10hipError_tPvRmT0_T1_T2_T3_T4_T5_mmT6_P12ihipStream_tbEUlT_E_NS1_11comp_targetILNS1_3genE3ELNS1_11target_archE908ELNS1_3gpuE7ELNS1_3repE0EEENS1_30default_config_static_selectorELNS0_4arch9wavefront6targetE1EEEvSP_ ; -- Begin function _ZN7rocprim17ROCPRIM_400000_NS6detail17trampoline_kernelINS0_14default_configENS1_21merge_config_selectorIfNS0_10empty_typeEEEZNS1_10merge_implIS3_N6thrust23THRUST_200600_302600_NS6detail15normal_iteratorINS9_10device_ptrIKfEEEESF_NSB_INSC_IfEEEEPS5_SI_SI_NS9_7greaterIfEEEE10hipError_tPvRmT0_T1_T2_T3_T4_T5_mmT6_P12ihipStream_tbEUlT_E_NS1_11comp_targetILNS1_3genE3ELNS1_11target_archE908ELNS1_3gpuE7ELNS1_3repE0EEENS1_30default_config_static_selectorELNS0_4arch9wavefront6targetE1EEEvSP_
	.globl	_ZN7rocprim17ROCPRIM_400000_NS6detail17trampoline_kernelINS0_14default_configENS1_21merge_config_selectorIfNS0_10empty_typeEEEZNS1_10merge_implIS3_N6thrust23THRUST_200600_302600_NS6detail15normal_iteratorINS9_10device_ptrIKfEEEESF_NSB_INSC_IfEEEEPS5_SI_SI_NS9_7greaterIfEEEE10hipError_tPvRmT0_T1_T2_T3_T4_T5_mmT6_P12ihipStream_tbEUlT_E_NS1_11comp_targetILNS1_3genE3ELNS1_11target_archE908ELNS1_3gpuE7ELNS1_3repE0EEENS1_30default_config_static_selectorELNS0_4arch9wavefront6targetE1EEEvSP_
	.p2align	8
	.type	_ZN7rocprim17ROCPRIM_400000_NS6detail17trampoline_kernelINS0_14default_configENS1_21merge_config_selectorIfNS0_10empty_typeEEEZNS1_10merge_implIS3_N6thrust23THRUST_200600_302600_NS6detail15normal_iteratorINS9_10device_ptrIKfEEEESF_NSB_INSC_IfEEEEPS5_SI_SI_NS9_7greaterIfEEEE10hipError_tPvRmT0_T1_T2_T3_T4_T5_mmT6_P12ihipStream_tbEUlT_E_NS1_11comp_targetILNS1_3genE3ELNS1_11target_archE908ELNS1_3gpuE7ELNS1_3repE0EEENS1_30default_config_static_selectorELNS0_4arch9wavefront6targetE1EEEvSP_,@function
_ZN7rocprim17ROCPRIM_400000_NS6detail17trampoline_kernelINS0_14default_configENS1_21merge_config_selectorIfNS0_10empty_typeEEEZNS1_10merge_implIS3_N6thrust23THRUST_200600_302600_NS6detail15normal_iteratorINS9_10device_ptrIKfEEEESF_NSB_INSC_IfEEEEPS5_SI_SI_NS9_7greaterIfEEEE10hipError_tPvRmT0_T1_T2_T3_T4_T5_mmT6_P12ihipStream_tbEUlT_E_NS1_11comp_targetILNS1_3genE3ELNS1_11target_archE908ELNS1_3gpuE7ELNS1_3repE0EEENS1_30default_config_static_selectorELNS0_4arch9wavefront6targetE1EEEvSP_: ; @_ZN7rocprim17ROCPRIM_400000_NS6detail17trampoline_kernelINS0_14default_configENS1_21merge_config_selectorIfNS0_10empty_typeEEEZNS1_10merge_implIS3_N6thrust23THRUST_200600_302600_NS6detail15normal_iteratorINS9_10device_ptrIKfEEEESF_NSB_INSC_IfEEEEPS5_SI_SI_NS9_7greaterIfEEEE10hipError_tPvRmT0_T1_T2_T3_T4_T5_mmT6_P12ihipStream_tbEUlT_E_NS1_11comp_targetILNS1_3genE3ELNS1_11target_archE908ELNS1_3gpuE7ELNS1_3repE0EEENS1_30default_config_static_selectorELNS0_4arch9wavefront6targetE1EEEvSP_
; %bb.0:
	.section	.rodata,"a",@progbits
	.p2align	6, 0x0
	.amdhsa_kernel _ZN7rocprim17ROCPRIM_400000_NS6detail17trampoline_kernelINS0_14default_configENS1_21merge_config_selectorIfNS0_10empty_typeEEEZNS1_10merge_implIS3_N6thrust23THRUST_200600_302600_NS6detail15normal_iteratorINS9_10device_ptrIKfEEEESF_NSB_INSC_IfEEEEPS5_SI_SI_NS9_7greaterIfEEEE10hipError_tPvRmT0_T1_T2_T3_T4_T5_mmT6_P12ihipStream_tbEUlT_E_NS1_11comp_targetILNS1_3genE3ELNS1_11target_archE908ELNS1_3gpuE7ELNS1_3repE0EEENS1_30default_config_static_selectorELNS0_4arch9wavefront6targetE1EEEvSP_
		.amdhsa_group_segment_fixed_size 0
		.amdhsa_private_segment_fixed_size 0
		.amdhsa_kernarg_size 48
		.amdhsa_user_sgpr_count 6
		.amdhsa_user_sgpr_private_segment_buffer 1
		.amdhsa_user_sgpr_dispatch_ptr 0
		.amdhsa_user_sgpr_queue_ptr 0
		.amdhsa_user_sgpr_kernarg_segment_ptr 1
		.amdhsa_user_sgpr_dispatch_id 0
		.amdhsa_user_sgpr_flat_scratch_init 0
		.amdhsa_user_sgpr_kernarg_preload_length 0
		.amdhsa_user_sgpr_kernarg_preload_offset 0
		.amdhsa_user_sgpr_private_segment_size 0
		.amdhsa_uses_dynamic_stack 0
		.amdhsa_system_sgpr_private_segment_wavefront_offset 0
		.amdhsa_system_sgpr_workgroup_id_x 1
		.amdhsa_system_sgpr_workgroup_id_y 0
		.amdhsa_system_sgpr_workgroup_id_z 0
		.amdhsa_system_sgpr_workgroup_info 0
		.amdhsa_system_vgpr_workitem_id 0
		.amdhsa_next_free_vgpr 1
		.amdhsa_next_free_sgpr 0
		.amdhsa_accum_offset 4
		.amdhsa_reserve_vcc 0
		.amdhsa_reserve_flat_scratch 0
		.amdhsa_float_round_mode_32 0
		.amdhsa_float_round_mode_16_64 0
		.amdhsa_float_denorm_mode_32 3
		.amdhsa_float_denorm_mode_16_64 3
		.amdhsa_dx10_clamp 1
		.amdhsa_ieee_mode 1
		.amdhsa_fp16_overflow 0
		.amdhsa_tg_split 0
		.amdhsa_exception_fp_ieee_invalid_op 0
		.amdhsa_exception_fp_denorm_src 0
		.amdhsa_exception_fp_ieee_div_zero 0
		.amdhsa_exception_fp_ieee_overflow 0
		.amdhsa_exception_fp_ieee_underflow 0
		.amdhsa_exception_fp_ieee_inexact 0
		.amdhsa_exception_int_div_zero 0
	.end_amdhsa_kernel
	.section	.text._ZN7rocprim17ROCPRIM_400000_NS6detail17trampoline_kernelINS0_14default_configENS1_21merge_config_selectorIfNS0_10empty_typeEEEZNS1_10merge_implIS3_N6thrust23THRUST_200600_302600_NS6detail15normal_iteratorINS9_10device_ptrIKfEEEESF_NSB_INSC_IfEEEEPS5_SI_SI_NS9_7greaterIfEEEE10hipError_tPvRmT0_T1_T2_T3_T4_T5_mmT6_P12ihipStream_tbEUlT_E_NS1_11comp_targetILNS1_3genE3ELNS1_11target_archE908ELNS1_3gpuE7ELNS1_3repE0EEENS1_30default_config_static_selectorELNS0_4arch9wavefront6targetE1EEEvSP_,"axG",@progbits,_ZN7rocprim17ROCPRIM_400000_NS6detail17trampoline_kernelINS0_14default_configENS1_21merge_config_selectorIfNS0_10empty_typeEEEZNS1_10merge_implIS3_N6thrust23THRUST_200600_302600_NS6detail15normal_iteratorINS9_10device_ptrIKfEEEESF_NSB_INSC_IfEEEEPS5_SI_SI_NS9_7greaterIfEEEE10hipError_tPvRmT0_T1_T2_T3_T4_T5_mmT6_P12ihipStream_tbEUlT_E_NS1_11comp_targetILNS1_3genE3ELNS1_11target_archE908ELNS1_3gpuE7ELNS1_3repE0EEENS1_30default_config_static_selectorELNS0_4arch9wavefront6targetE1EEEvSP_,comdat
.Lfunc_end482:
	.size	_ZN7rocprim17ROCPRIM_400000_NS6detail17trampoline_kernelINS0_14default_configENS1_21merge_config_selectorIfNS0_10empty_typeEEEZNS1_10merge_implIS3_N6thrust23THRUST_200600_302600_NS6detail15normal_iteratorINS9_10device_ptrIKfEEEESF_NSB_INSC_IfEEEEPS5_SI_SI_NS9_7greaterIfEEEE10hipError_tPvRmT0_T1_T2_T3_T4_T5_mmT6_P12ihipStream_tbEUlT_E_NS1_11comp_targetILNS1_3genE3ELNS1_11target_archE908ELNS1_3gpuE7ELNS1_3repE0EEENS1_30default_config_static_selectorELNS0_4arch9wavefront6targetE1EEEvSP_, .Lfunc_end482-_ZN7rocprim17ROCPRIM_400000_NS6detail17trampoline_kernelINS0_14default_configENS1_21merge_config_selectorIfNS0_10empty_typeEEEZNS1_10merge_implIS3_N6thrust23THRUST_200600_302600_NS6detail15normal_iteratorINS9_10device_ptrIKfEEEESF_NSB_INSC_IfEEEEPS5_SI_SI_NS9_7greaterIfEEEE10hipError_tPvRmT0_T1_T2_T3_T4_T5_mmT6_P12ihipStream_tbEUlT_E_NS1_11comp_targetILNS1_3genE3ELNS1_11target_archE908ELNS1_3gpuE7ELNS1_3repE0EEENS1_30default_config_static_selectorELNS0_4arch9wavefront6targetE1EEEvSP_
                                        ; -- End function
	.section	.AMDGPU.csdata,"",@progbits
; Kernel info:
; codeLenInByte = 0
; NumSgprs: 4
; NumVgprs: 0
; NumAgprs: 0
; TotalNumVgprs: 0
; ScratchSize: 0
; MemoryBound: 0
; FloatMode: 240
; IeeeMode: 1
; LDSByteSize: 0 bytes/workgroup (compile time only)
; SGPRBlocks: 0
; VGPRBlocks: 0
; NumSGPRsForWavesPerEU: 4
; NumVGPRsForWavesPerEU: 1
; AccumOffset: 4
; Occupancy: 8
; WaveLimiterHint : 0
; COMPUTE_PGM_RSRC2:SCRATCH_EN: 0
; COMPUTE_PGM_RSRC2:USER_SGPR: 6
; COMPUTE_PGM_RSRC2:TRAP_HANDLER: 0
; COMPUTE_PGM_RSRC2:TGID_X_EN: 1
; COMPUTE_PGM_RSRC2:TGID_Y_EN: 0
; COMPUTE_PGM_RSRC2:TGID_Z_EN: 0
; COMPUTE_PGM_RSRC2:TIDIG_COMP_CNT: 0
; COMPUTE_PGM_RSRC3_GFX90A:ACCUM_OFFSET: 0
; COMPUTE_PGM_RSRC3_GFX90A:TG_SPLIT: 0
	.section	.text._ZN7rocprim17ROCPRIM_400000_NS6detail17trampoline_kernelINS0_14default_configENS1_21merge_config_selectorIfNS0_10empty_typeEEEZNS1_10merge_implIS3_N6thrust23THRUST_200600_302600_NS6detail15normal_iteratorINS9_10device_ptrIKfEEEESF_NSB_INSC_IfEEEEPS5_SI_SI_NS9_7greaterIfEEEE10hipError_tPvRmT0_T1_T2_T3_T4_T5_mmT6_P12ihipStream_tbEUlT_E_NS1_11comp_targetILNS1_3genE2ELNS1_11target_archE906ELNS1_3gpuE6ELNS1_3repE0EEENS1_30default_config_static_selectorELNS0_4arch9wavefront6targetE1EEEvSP_,"axG",@progbits,_ZN7rocprim17ROCPRIM_400000_NS6detail17trampoline_kernelINS0_14default_configENS1_21merge_config_selectorIfNS0_10empty_typeEEEZNS1_10merge_implIS3_N6thrust23THRUST_200600_302600_NS6detail15normal_iteratorINS9_10device_ptrIKfEEEESF_NSB_INSC_IfEEEEPS5_SI_SI_NS9_7greaterIfEEEE10hipError_tPvRmT0_T1_T2_T3_T4_T5_mmT6_P12ihipStream_tbEUlT_E_NS1_11comp_targetILNS1_3genE2ELNS1_11target_archE906ELNS1_3gpuE6ELNS1_3repE0EEENS1_30default_config_static_selectorELNS0_4arch9wavefront6targetE1EEEvSP_,comdat
	.protected	_ZN7rocprim17ROCPRIM_400000_NS6detail17trampoline_kernelINS0_14default_configENS1_21merge_config_selectorIfNS0_10empty_typeEEEZNS1_10merge_implIS3_N6thrust23THRUST_200600_302600_NS6detail15normal_iteratorINS9_10device_ptrIKfEEEESF_NSB_INSC_IfEEEEPS5_SI_SI_NS9_7greaterIfEEEE10hipError_tPvRmT0_T1_T2_T3_T4_T5_mmT6_P12ihipStream_tbEUlT_E_NS1_11comp_targetILNS1_3genE2ELNS1_11target_archE906ELNS1_3gpuE6ELNS1_3repE0EEENS1_30default_config_static_selectorELNS0_4arch9wavefront6targetE1EEEvSP_ ; -- Begin function _ZN7rocprim17ROCPRIM_400000_NS6detail17trampoline_kernelINS0_14default_configENS1_21merge_config_selectorIfNS0_10empty_typeEEEZNS1_10merge_implIS3_N6thrust23THRUST_200600_302600_NS6detail15normal_iteratorINS9_10device_ptrIKfEEEESF_NSB_INSC_IfEEEEPS5_SI_SI_NS9_7greaterIfEEEE10hipError_tPvRmT0_T1_T2_T3_T4_T5_mmT6_P12ihipStream_tbEUlT_E_NS1_11comp_targetILNS1_3genE2ELNS1_11target_archE906ELNS1_3gpuE6ELNS1_3repE0EEENS1_30default_config_static_selectorELNS0_4arch9wavefront6targetE1EEEvSP_
	.globl	_ZN7rocprim17ROCPRIM_400000_NS6detail17trampoline_kernelINS0_14default_configENS1_21merge_config_selectorIfNS0_10empty_typeEEEZNS1_10merge_implIS3_N6thrust23THRUST_200600_302600_NS6detail15normal_iteratorINS9_10device_ptrIKfEEEESF_NSB_INSC_IfEEEEPS5_SI_SI_NS9_7greaterIfEEEE10hipError_tPvRmT0_T1_T2_T3_T4_T5_mmT6_P12ihipStream_tbEUlT_E_NS1_11comp_targetILNS1_3genE2ELNS1_11target_archE906ELNS1_3gpuE6ELNS1_3repE0EEENS1_30default_config_static_selectorELNS0_4arch9wavefront6targetE1EEEvSP_
	.p2align	8
	.type	_ZN7rocprim17ROCPRIM_400000_NS6detail17trampoline_kernelINS0_14default_configENS1_21merge_config_selectorIfNS0_10empty_typeEEEZNS1_10merge_implIS3_N6thrust23THRUST_200600_302600_NS6detail15normal_iteratorINS9_10device_ptrIKfEEEESF_NSB_INSC_IfEEEEPS5_SI_SI_NS9_7greaterIfEEEE10hipError_tPvRmT0_T1_T2_T3_T4_T5_mmT6_P12ihipStream_tbEUlT_E_NS1_11comp_targetILNS1_3genE2ELNS1_11target_archE906ELNS1_3gpuE6ELNS1_3repE0EEENS1_30default_config_static_selectorELNS0_4arch9wavefront6targetE1EEEvSP_,@function
_ZN7rocprim17ROCPRIM_400000_NS6detail17trampoline_kernelINS0_14default_configENS1_21merge_config_selectorIfNS0_10empty_typeEEEZNS1_10merge_implIS3_N6thrust23THRUST_200600_302600_NS6detail15normal_iteratorINS9_10device_ptrIKfEEEESF_NSB_INSC_IfEEEEPS5_SI_SI_NS9_7greaterIfEEEE10hipError_tPvRmT0_T1_T2_T3_T4_T5_mmT6_P12ihipStream_tbEUlT_E_NS1_11comp_targetILNS1_3genE2ELNS1_11target_archE906ELNS1_3gpuE6ELNS1_3repE0EEENS1_30default_config_static_selectorELNS0_4arch9wavefront6targetE1EEEvSP_: ; @_ZN7rocprim17ROCPRIM_400000_NS6detail17trampoline_kernelINS0_14default_configENS1_21merge_config_selectorIfNS0_10empty_typeEEEZNS1_10merge_implIS3_N6thrust23THRUST_200600_302600_NS6detail15normal_iteratorINS9_10device_ptrIKfEEEESF_NSB_INSC_IfEEEEPS5_SI_SI_NS9_7greaterIfEEEE10hipError_tPvRmT0_T1_T2_T3_T4_T5_mmT6_P12ihipStream_tbEUlT_E_NS1_11comp_targetILNS1_3genE2ELNS1_11target_archE906ELNS1_3gpuE6ELNS1_3repE0EEENS1_30default_config_static_selectorELNS0_4arch9wavefront6targetE1EEEvSP_
; %bb.0:
	.section	.rodata,"a",@progbits
	.p2align	6, 0x0
	.amdhsa_kernel _ZN7rocprim17ROCPRIM_400000_NS6detail17trampoline_kernelINS0_14default_configENS1_21merge_config_selectorIfNS0_10empty_typeEEEZNS1_10merge_implIS3_N6thrust23THRUST_200600_302600_NS6detail15normal_iteratorINS9_10device_ptrIKfEEEESF_NSB_INSC_IfEEEEPS5_SI_SI_NS9_7greaterIfEEEE10hipError_tPvRmT0_T1_T2_T3_T4_T5_mmT6_P12ihipStream_tbEUlT_E_NS1_11comp_targetILNS1_3genE2ELNS1_11target_archE906ELNS1_3gpuE6ELNS1_3repE0EEENS1_30default_config_static_selectorELNS0_4arch9wavefront6targetE1EEEvSP_
		.amdhsa_group_segment_fixed_size 0
		.amdhsa_private_segment_fixed_size 0
		.amdhsa_kernarg_size 48
		.amdhsa_user_sgpr_count 6
		.amdhsa_user_sgpr_private_segment_buffer 1
		.amdhsa_user_sgpr_dispatch_ptr 0
		.amdhsa_user_sgpr_queue_ptr 0
		.amdhsa_user_sgpr_kernarg_segment_ptr 1
		.amdhsa_user_sgpr_dispatch_id 0
		.amdhsa_user_sgpr_flat_scratch_init 0
		.amdhsa_user_sgpr_kernarg_preload_length 0
		.amdhsa_user_sgpr_kernarg_preload_offset 0
		.amdhsa_user_sgpr_private_segment_size 0
		.amdhsa_uses_dynamic_stack 0
		.amdhsa_system_sgpr_private_segment_wavefront_offset 0
		.amdhsa_system_sgpr_workgroup_id_x 1
		.amdhsa_system_sgpr_workgroup_id_y 0
		.amdhsa_system_sgpr_workgroup_id_z 0
		.amdhsa_system_sgpr_workgroup_info 0
		.amdhsa_system_vgpr_workitem_id 0
		.amdhsa_next_free_vgpr 1
		.amdhsa_next_free_sgpr 0
		.amdhsa_accum_offset 4
		.amdhsa_reserve_vcc 0
		.amdhsa_reserve_flat_scratch 0
		.amdhsa_float_round_mode_32 0
		.amdhsa_float_round_mode_16_64 0
		.amdhsa_float_denorm_mode_32 3
		.amdhsa_float_denorm_mode_16_64 3
		.amdhsa_dx10_clamp 1
		.amdhsa_ieee_mode 1
		.amdhsa_fp16_overflow 0
		.amdhsa_tg_split 0
		.amdhsa_exception_fp_ieee_invalid_op 0
		.amdhsa_exception_fp_denorm_src 0
		.amdhsa_exception_fp_ieee_div_zero 0
		.amdhsa_exception_fp_ieee_overflow 0
		.amdhsa_exception_fp_ieee_underflow 0
		.amdhsa_exception_fp_ieee_inexact 0
		.amdhsa_exception_int_div_zero 0
	.end_amdhsa_kernel
	.section	.text._ZN7rocprim17ROCPRIM_400000_NS6detail17trampoline_kernelINS0_14default_configENS1_21merge_config_selectorIfNS0_10empty_typeEEEZNS1_10merge_implIS3_N6thrust23THRUST_200600_302600_NS6detail15normal_iteratorINS9_10device_ptrIKfEEEESF_NSB_INSC_IfEEEEPS5_SI_SI_NS9_7greaterIfEEEE10hipError_tPvRmT0_T1_T2_T3_T4_T5_mmT6_P12ihipStream_tbEUlT_E_NS1_11comp_targetILNS1_3genE2ELNS1_11target_archE906ELNS1_3gpuE6ELNS1_3repE0EEENS1_30default_config_static_selectorELNS0_4arch9wavefront6targetE1EEEvSP_,"axG",@progbits,_ZN7rocprim17ROCPRIM_400000_NS6detail17trampoline_kernelINS0_14default_configENS1_21merge_config_selectorIfNS0_10empty_typeEEEZNS1_10merge_implIS3_N6thrust23THRUST_200600_302600_NS6detail15normal_iteratorINS9_10device_ptrIKfEEEESF_NSB_INSC_IfEEEEPS5_SI_SI_NS9_7greaterIfEEEE10hipError_tPvRmT0_T1_T2_T3_T4_T5_mmT6_P12ihipStream_tbEUlT_E_NS1_11comp_targetILNS1_3genE2ELNS1_11target_archE906ELNS1_3gpuE6ELNS1_3repE0EEENS1_30default_config_static_selectorELNS0_4arch9wavefront6targetE1EEEvSP_,comdat
.Lfunc_end483:
	.size	_ZN7rocprim17ROCPRIM_400000_NS6detail17trampoline_kernelINS0_14default_configENS1_21merge_config_selectorIfNS0_10empty_typeEEEZNS1_10merge_implIS3_N6thrust23THRUST_200600_302600_NS6detail15normal_iteratorINS9_10device_ptrIKfEEEESF_NSB_INSC_IfEEEEPS5_SI_SI_NS9_7greaterIfEEEE10hipError_tPvRmT0_T1_T2_T3_T4_T5_mmT6_P12ihipStream_tbEUlT_E_NS1_11comp_targetILNS1_3genE2ELNS1_11target_archE906ELNS1_3gpuE6ELNS1_3repE0EEENS1_30default_config_static_selectorELNS0_4arch9wavefront6targetE1EEEvSP_, .Lfunc_end483-_ZN7rocprim17ROCPRIM_400000_NS6detail17trampoline_kernelINS0_14default_configENS1_21merge_config_selectorIfNS0_10empty_typeEEEZNS1_10merge_implIS3_N6thrust23THRUST_200600_302600_NS6detail15normal_iteratorINS9_10device_ptrIKfEEEESF_NSB_INSC_IfEEEEPS5_SI_SI_NS9_7greaterIfEEEE10hipError_tPvRmT0_T1_T2_T3_T4_T5_mmT6_P12ihipStream_tbEUlT_E_NS1_11comp_targetILNS1_3genE2ELNS1_11target_archE906ELNS1_3gpuE6ELNS1_3repE0EEENS1_30default_config_static_selectorELNS0_4arch9wavefront6targetE1EEEvSP_
                                        ; -- End function
	.section	.AMDGPU.csdata,"",@progbits
; Kernel info:
; codeLenInByte = 0
; NumSgprs: 4
; NumVgprs: 0
; NumAgprs: 0
; TotalNumVgprs: 0
; ScratchSize: 0
; MemoryBound: 0
; FloatMode: 240
; IeeeMode: 1
; LDSByteSize: 0 bytes/workgroup (compile time only)
; SGPRBlocks: 0
; VGPRBlocks: 0
; NumSGPRsForWavesPerEU: 4
; NumVGPRsForWavesPerEU: 1
; AccumOffset: 4
; Occupancy: 8
; WaveLimiterHint : 0
; COMPUTE_PGM_RSRC2:SCRATCH_EN: 0
; COMPUTE_PGM_RSRC2:USER_SGPR: 6
; COMPUTE_PGM_RSRC2:TRAP_HANDLER: 0
; COMPUTE_PGM_RSRC2:TGID_X_EN: 1
; COMPUTE_PGM_RSRC2:TGID_Y_EN: 0
; COMPUTE_PGM_RSRC2:TGID_Z_EN: 0
; COMPUTE_PGM_RSRC2:TIDIG_COMP_CNT: 0
; COMPUTE_PGM_RSRC3_GFX90A:ACCUM_OFFSET: 0
; COMPUTE_PGM_RSRC3_GFX90A:TG_SPLIT: 0
	.section	.text._ZN7rocprim17ROCPRIM_400000_NS6detail17trampoline_kernelINS0_14default_configENS1_21merge_config_selectorIfNS0_10empty_typeEEEZNS1_10merge_implIS3_N6thrust23THRUST_200600_302600_NS6detail15normal_iteratorINS9_10device_ptrIKfEEEESF_NSB_INSC_IfEEEEPS5_SI_SI_NS9_7greaterIfEEEE10hipError_tPvRmT0_T1_T2_T3_T4_T5_mmT6_P12ihipStream_tbEUlT_E_NS1_11comp_targetILNS1_3genE10ELNS1_11target_archE1201ELNS1_3gpuE5ELNS1_3repE0EEENS1_30default_config_static_selectorELNS0_4arch9wavefront6targetE1EEEvSP_,"axG",@progbits,_ZN7rocprim17ROCPRIM_400000_NS6detail17trampoline_kernelINS0_14default_configENS1_21merge_config_selectorIfNS0_10empty_typeEEEZNS1_10merge_implIS3_N6thrust23THRUST_200600_302600_NS6detail15normal_iteratorINS9_10device_ptrIKfEEEESF_NSB_INSC_IfEEEEPS5_SI_SI_NS9_7greaterIfEEEE10hipError_tPvRmT0_T1_T2_T3_T4_T5_mmT6_P12ihipStream_tbEUlT_E_NS1_11comp_targetILNS1_3genE10ELNS1_11target_archE1201ELNS1_3gpuE5ELNS1_3repE0EEENS1_30default_config_static_selectorELNS0_4arch9wavefront6targetE1EEEvSP_,comdat
	.protected	_ZN7rocprim17ROCPRIM_400000_NS6detail17trampoline_kernelINS0_14default_configENS1_21merge_config_selectorIfNS0_10empty_typeEEEZNS1_10merge_implIS3_N6thrust23THRUST_200600_302600_NS6detail15normal_iteratorINS9_10device_ptrIKfEEEESF_NSB_INSC_IfEEEEPS5_SI_SI_NS9_7greaterIfEEEE10hipError_tPvRmT0_T1_T2_T3_T4_T5_mmT6_P12ihipStream_tbEUlT_E_NS1_11comp_targetILNS1_3genE10ELNS1_11target_archE1201ELNS1_3gpuE5ELNS1_3repE0EEENS1_30default_config_static_selectorELNS0_4arch9wavefront6targetE1EEEvSP_ ; -- Begin function _ZN7rocprim17ROCPRIM_400000_NS6detail17trampoline_kernelINS0_14default_configENS1_21merge_config_selectorIfNS0_10empty_typeEEEZNS1_10merge_implIS3_N6thrust23THRUST_200600_302600_NS6detail15normal_iteratorINS9_10device_ptrIKfEEEESF_NSB_INSC_IfEEEEPS5_SI_SI_NS9_7greaterIfEEEE10hipError_tPvRmT0_T1_T2_T3_T4_T5_mmT6_P12ihipStream_tbEUlT_E_NS1_11comp_targetILNS1_3genE10ELNS1_11target_archE1201ELNS1_3gpuE5ELNS1_3repE0EEENS1_30default_config_static_selectorELNS0_4arch9wavefront6targetE1EEEvSP_
	.globl	_ZN7rocprim17ROCPRIM_400000_NS6detail17trampoline_kernelINS0_14default_configENS1_21merge_config_selectorIfNS0_10empty_typeEEEZNS1_10merge_implIS3_N6thrust23THRUST_200600_302600_NS6detail15normal_iteratorINS9_10device_ptrIKfEEEESF_NSB_INSC_IfEEEEPS5_SI_SI_NS9_7greaterIfEEEE10hipError_tPvRmT0_T1_T2_T3_T4_T5_mmT6_P12ihipStream_tbEUlT_E_NS1_11comp_targetILNS1_3genE10ELNS1_11target_archE1201ELNS1_3gpuE5ELNS1_3repE0EEENS1_30default_config_static_selectorELNS0_4arch9wavefront6targetE1EEEvSP_
	.p2align	8
	.type	_ZN7rocprim17ROCPRIM_400000_NS6detail17trampoline_kernelINS0_14default_configENS1_21merge_config_selectorIfNS0_10empty_typeEEEZNS1_10merge_implIS3_N6thrust23THRUST_200600_302600_NS6detail15normal_iteratorINS9_10device_ptrIKfEEEESF_NSB_INSC_IfEEEEPS5_SI_SI_NS9_7greaterIfEEEE10hipError_tPvRmT0_T1_T2_T3_T4_T5_mmT6_P12ihipStream_tbEUlT_E_NS1_11comp_targetILNS1_3genE10ELNS1_11target_archE1201ELNS1_3gpuE5ELNS1_3repE0EEENS1_30default_config_static_selectorELNS0_4arch9wavefront6targetE1EEEvSP_,@function
_ZN7rocprim17ROCPRIM_400000_NS6detail17trampoline_kernelINS0_14default_configENS1_21merge_config_selectorIfNS0_10empty_typeEEEZNS1_10merge_implIS3_N6thrust23THRUST_200600_302600_NS6detail15normal_iteratorINS9_10device_ptrIKfEEEESF_NSB_INSC_IfEEEEPS5_SI_SI_NS9_7greaterIfEEEE10hipError_tPvRmT0_T1_T2_T3_T4_T5_mmT6_P12ihipStream_tbEUlT_E_NS1_11comp_targetILNS1_3genE10ELNS1_11target_archE1201ELNS1_3gpuE5ELNS1_3repE0EEENS1_30default_config_static_selectorELNS0_4arch9wavefront6targetE1EEEvSP_: ; @_ZN7rocprim17ROCPRIM_400000_NS6detail17trampoline_kernelINS0_14default_configENS1_21merge_config_selectorIfNS0_10empty_typeEEEZNS1_10merge_implIS3_N6thrust23THRUST_200600_302600_NS6detail15normal_iteratorINS9_10device_ptrIKfEEEESF_NSB_INSC_IfEEEEPS5_SI_SI_NS9_7greaterIfEEEE10hipError_tPvRmT0_T1_T2_T3_T4_T5_mmT6_P12ihipStream_tbEUlT_E_NS1_11comp_targetILNS1_3genE10ELNS1_11target_archE1201ELNS1_3gpuE5ELNS1_3repE0EEENS1_30default_config_static_selectorELNS0_4arch9wavefront6targetE1EEEvSP_
; %bb.0:
	.section	.rodata,"a",@progbits
	.p2align	6, 0x0
	.amdhsa_kernel _ZN7rocprim17ROCPRIM_400000_NS6detail17trampoline_kernelINS0_14default_configENS1_21merge_config_selectorIfNS0_10empty_typeEEEZNS1_10merge_implIS3_N6thrust23THRUST_200600_302600_NS6detail15normal_iteratorINS9_10device_ptrIKfEEEESF_NSB_INSC_IfEEEEPS5_SI_SI_NS9_7greaterIfEEEE10hipError_tPvRmT0_T1_T2_T3_T4_T5_mmT6_P12ihipStream_tbEUlT_E_NS1_11comp_targetILNS1_3genE10ELNS1_11target_archE1201ELNS1_3gpuE5ELNS1_3repE0EEENS1_30default_config_static_selectorELNS0_4arch9wavefront6targetE1EEEvSP_
		.amdhsa_group_segment_fixed_size 0
		.amdhsa_private_segment_fixed_size 0
		.amdhsa_kernarg_size 48
		.amdhsa_user_sgpr_count 6
		.amdhsa_user_sgpr_private_segment_buffer 1
		.amdhsa_user_sgpr_dispatch_ptr 0
		.amdhsa_user_sgpr_queue_ptr 0
		.amdhsa_user_sgpr_kernarg_segment_ptr 1
		.amdhsa_user_sgpr_dispatch_id 0
		.amdhsa_user_sgpr_flat_scratch_init 0
		.amdhsa_user_sgpr_kernarg_preload_length 0
		.amdhsa_user_sgpr_kernarg_preload_offset 0
		.amdhsa_user_sgpr_private_segment_size 0
		.amdhsa_uses_dynamic_stack 0
		.amdhsa_system_sgpr_private_segment_wavefront_offset 0
		.amdhsa_system_sgpr_workgroup_id_x 1
		.amdhsa_system_sgpr_workgroup_id_y 0
		.amdhsa_system_sgpr_workgroup_id_z 0
		.amdhsa_system_sgpr_workgroup_info 0
		.amdhsa_system_vgpr_workitem_id 0
		.amdhsa_next_free_vgpr 1
		.amdhsa_next_free_sgpr 0
		.amdhsa_accum_offset 4
		.amdhsa_reserve_vcc 0
		.amdhsa_reserve_flat_scratch 0
		.amdhsa_float_round_mode_32 0
		.amdhsa_float_round_mode_16_64 0
		.amdhsa_float_denorm_mode_32 3
		.amdhsa_float_denorm_mode_16_64 3
		.amdhsa_dx10_clamp 1
		.amdhsa_ieee_mode 1
		.amdhsa_fp16_overflow 0
		.amdhsa_tg_split 0
		.amdhsa_exception_fp_ieee_invalid_op 0
		.amdhsa_exception_fp_denorm_src 0
		.amdhsa_exception_fp_ieee_div_zero 0
		.amdhsa_exception_fp_ieee_overflow 0
		.amdhsa_exception_fp_ieee_underflow 0
		.amdhsa_exception_fp_ieee_inexact 0
		.amdhsa_exception_int_div_zero 0
	.end_amdhsa_kernel
	.section	.text._ZN7rocprim17ROCPRIM_400000_NS6detail17trampoline_kernelINS0_14default_configENS1_21merge_config_selectorIfNS0_10empty_typeEEEZNS1_10merge_implIS3_N6thrust23THRUST_200600_302600_NS6detail15normal_iteratorINS9_10device_ptrIKfEEEESF_NSB_INSC_IfEEEEPS5_SI_SI_NS9_7greaterIfEEEE10hipError_tPvRmT0_T1_T2_T3_T4_T5_mmT6_P12ihipStream_tbEUlT_E_NS1_11comp_targetILNS1_3genE10ELNS1_11target_archE1201ELNS1_3gpuE5ELNS1_3repE0EEENS1_30default_config_static_selectorELNS0_4arch9wavefront6targetE1EEEvSP_,"axG",@progbits,_ZN7rocprim17ROCPRIM_400000_NS6detail17trampoline_kernelINS0_14default_configENS1_21merge_config_selectorIfNS0_10empty_typeEEEZNS1_10merge_implIS3_N6thrust23THRUST_200600_302600_NS6detail15normal_iteratorINS9_10device_ptrIKfEEEESF_NSB_INSC_IfEEEEPS5_SI_SI_NS9_7greaterIfEEEE10hipError_tPvRmT0_T1_T2_T3_T4_T5_mmT6_P12ihipStream_tbEUlT_E_NS1_11comp_targetILNS1_3genE10ELNS1_11target_archE1201ELNS1_3gpuE5ELNS1_3repE0EEENS1_30default_config_static_selectorELNS0_4arch9wavefront6targetE1EEEvSP_,comdat
.Lfunc_end484:
	.size	_ZN7rocprim17ROCPRIM_400000_NS6detail17trampoline_kernelINS0_14default_configENS1_21merge_config_selectorIfNS0_10empty_typeEEEZNS1_10merge_implIS3_N6thrust23THRUST_200600_302600_NS6detail15normal_iteratorINS9_10device_ptrIKfEEEESF_NSB_INSC_IfEEEEPS5_SI_SI_NS9_7greaterIfEEEE10hipError_tPvRmT0_T1_T2_T3_T4_T5_mmT6_P12ihipStream_tbEUlT_E_NS1_11comp_targetILNS1_3genE10ELNS1_11target_archE1201ELNS1_3gpuE5ELNS1_3repE0EEENS1_30default_config_static_selectorELNS0_4arch9wavefront6targetE1EEEvSP_, .Lfunc_end484-_ZN7rocprim17ROCPRIM_400000_NS6detail17trampoline_kernelINS0_14default_configENS1_21merge_config_selectorIfNS0_10empty_typeEEEZNS1_10merge_implIS3_N6thrust23THRUST_200600_302600_NS6detail15normal_iteratorINS9_10device_ptrIKfEEEESF_NSB_INSC_IfEEEEPS5_SI_SI_NS9_7greaterIfEEEE10hipError_tPvRmT0_T1_T2_T3_T4_T5_mmT6_P12ihipStream_tbEUlT_E_NS1_11comp_targetILNS1_3genE10ELNS1_11target_archE1201ELNS1_3gpuE5ELNS1_3repE0EEENS1_30default_config_static_selectorELNS0_4arch9wavefront6targetE1EEEvSP_
                                        ; -- End function
	.section	.AMDGPU.csdata,"",@progbits
; Kernel info:
; codeLenInByte = 0
; NumSgprs: 4
; NumVgprs: 0
; NumAgprs: 0
; TotalNumVgprs: 0
; ScratchSize: 0
; MemoryBound: 0
; FloatMode: 240
; IeeeMode: 1
; LDSByteSize: 0 bytes/workgroup (compile time only)
; SGPRBlocks: 0
; VGPRBlocks: 0
; NumSGPRsForWavesPerEU: 4
; NumVGPRsForWavesPerEU: 1
; AccumOffset: 4
; Occupancy: 8
; WaveLimiterHint : 0
; COMPUTE_PGM_RSRC2:SCRATCH_EN: 0
; COMPUTE_PGM_RSRC2:USER_SGPR: 6
; COMPUTE_PGM_RSRC2:TRAP_HANDLER: 0
; COMPUTE_PGM_RSRC2:TGID_X_EN: 1
; COMPUTE_PGM_RSRC2:TGID_Y_EN: 0
; COMPUTE_PGM_RSRC2:TGID_Z_EN: 0
; COMPUTE_PGM_RSRC2:TIDIG_COMP_CNT: 0
; COMPUTE_PGM_RSRC3_GFX90A:ACCUM_OFFSET: 0
; COMPUTE_PGM_RSRC3_GFX90A:TG_SPLIT: 0
	.section	.text._ZN7rocprim17ROCPRIM_400000_NS6detail17trampoline_kernelINS0_14default_configENS1_21merge_config_selectorIfNS0_10empty_typeEEEZNS1_10merge_implIS3_N6thrust23THRUST_200600_302600_NS6detail15normal_iteratorINS9_10device_ptrIKfEEEESF_NSB_INSC_IfEEEEPS5_SI_SI_NS9_7greaterIfEEEE10hipError_tPvRmT0_T1_T2_T3_T4_T5_mmT6_P12ihipStream_tbEUlT_E_NS1_11comp_targetILNS1_3genE10ELNS1_11target_archE1200ELNS1_3gpuE4ELNS1_3repE0EEENS1_30default_config_static_selectorELNS0_4arch9wavefront6targetE1EEEvSP_,"axG",@progbits,_ZN7rocprim17ROCPRIM_400000_NS6detail17trampoline_kernelINS0_14default_configENS1_21merge_config_selectorIfNS0_10empty_typeEEEZNS1_10merge_implIS3_N6thrust23THRUST_200600_302600_NS6detail15normal_iteratorINS9_10device_ptrIKfEEEESF_NSB_INSC_IfEEEEPS5_SI_SI_NS9_7greaterIfEEEE10hipError_tPvRmT0_T1_T2_T3_T4_T5_mmT6_P12ihipStream_tbEUlT_E_NS1_11comp_targetILNS1_3genE10ELNS1_11target_archE1200ELNS1_3gpuE4ELNS1_3repE0EEENS1_30default_config_static_selectorELNS0_4arch9wavefront6targetE1EEEvSP_,comdat
	.protected	_ZN7rocprim17ROCPRIM_400000_NS6detail17trampoline_kernelINS0_14default_configENS1_21merge_config_selectorIfNS0_10empty_typeEEEZNS1_10merge_implIS3_N6thrust23THRUST_200600_302600_NS6detail15normal_iteratorINS9_10device_ptrIKfEEEESF_NSB_INSC_IfEEEEPS5_SI_SI_NS9_7greaterIfEEEE10hipError_tPvRmT0_T1_T2_T3_T4_T5_mmT6_P12ihipStream_tbEUlT_E_NS1_11comp_targetILNS1_3genE10ELNS1_11target_archE1200ELNS1_3gpuE4ELNS1_3repE0EEENS1_30default_config_static_selectorELNS0_4arch9wavefront6targetE1EEEvSP_ ; -- Begin function _ZN7rocprim17ROCPRIM_400000_NS6detail17trampoline_kernelINS0_14default_configENS1_21merge_config_selectorIfNS0_10empty_typeEEEZNS1_10merge_implIS3_N6thrust23THRUST_200600_302600_NS6detail15normal_iteratorINS9_10device_ptrIKfEEEESF_NSB_INSC_IfEEEEPS5_SI_SI_NS9_7greaterIfEEEE10hipError_tPvRmT0_T1_T2_T3_T4_T5_mmT6_P12ihipStream_tbEUlT_E_NS1_11comp_targetILNS1_3genE10ELNS1_11target_archE1200ELNS1_3gpuE4ELNS1_3repE0EEENS1_30default_config_static_selectorELNS0_4arch9wavefront6targetE1EEEvSP_
	.globl	_ZN7rocprim17ROCPRIM_400000_NS6detail17trampoline_kernelINS0_14default_configENS1_21merge_config_selectorIfNS0_10empty_typeEEEZNS1_10merge_implIS3_N6thrust23THRUST_200600_302600_NS6detail15normal_iteratorINS9_10device_ptrIKfEEEESF_NSB_INSC_IfEEEEPS5_SI_SI_NS9_7greaterIfEEEE10hipError_tPvRmT0_T1_T2_T3_T4_T5_mmT6_P12ihipStream_tbEUlT_E_NS1_11comp_targetILNS1_3genE10ELNS1_11target_archE1200ELNS1_3gpuE4ELNS1_3repE0EEENS1_30default_config_static_selectorELNS0_4arch9wavefront6targetE1EEEvSP_
	.p2align	8
	.type	_ZN7rocprim17ROCPRIM_400000_NS6detail17trampoline_kernelINS0_14default_configENS1_21merge_config_selectorIfNS0_10empty_typeEEEZNS1_10merge_implIS3_N6thrust23THRUST_200600_302600_NS6detail15normal_iteratorINS9_10device_ptrIKfEEEESF_NSB_INSC_IfEEEEPS5_SI_SI_NS9_7greaterIfEEEE10hipError_tPvRmT0_T1_T2_T3_T4_T5_mmT6_P12ihipStream_tbEUlT_E_NS1_11comp_targetILNS1_3genE10ELNS1_11target_archE1200ELNS1_3gpuE4ELNS1_3repE0EEENS1_30default_config_static_selectorELNS0_4arch9wavefront6targetE1EEEvSP_,@function
_ZN7rocprim17ROCPRIM_400000_NS6detail17trampoline_kernelINS0_14default_configENS1_21merge_config_selectorIfNS0_10empty_typeEEEZNS1_10merge_implIS3_N6thrust23THRUST_200600_302600_NS6detail15normal_iteratorINS9_10device_ptrIKfEEEESF_NSB_INSC_IfEEEEPS5_SI_SI_NS9_7greaterIfEEEE10hipError_tPvRmT0_T1_T2_T3_T4_T5_mmT6_P12ihipStream_tbEUlT_E_NS1_11comp_targetILNS1_3genE10ELNS1_11target_archE1200ELNS1_3gpuE4ELNS1_3repE0EEENS1_30default_config_static_selectorELNS0_4arch9wavefront6targetE1EEEvSP_: ; @_ZN7rocprim17ROCPRIM_400000_NS6detail17trampoline_kernelINS0_14default_configENS1_21merge_config_selectorIfNS0_10empty_typeEEEZNS1_10merge_implIS3_N6thrust23THRUST_200600_302600_NS6detail15normal_iteratorINS9_10device_ptrIKfEEEESF_NSB_INSC_IfEEEEPS5_SI_SI_NS9_7greaterIfEEEE10hipError_tPvRmT0_T1_T2_T3_T4_T5_mmT6_P12ihipStream_tbEUlT_E_NS1_11comp_targetILNS1_3genE10ELNS1_11target_archE1200ELNS1_3gpuE4ELNS1_3repE0EEENS1_30default_config_static_selectorELNS0_4arch9wavefront6targetE1EEEvSP_
; %bb.0:
	.section	.rodata,"a",@progbits
	.p2align	6, 0x0
	.amdhsa_kernel _ZN7rocprim17ROCPRIM_400000_NS6detail17trampoline_kernelINS0_14default_configENS1_21merge_config_selectorIfNS0_10empty_typeEEEZNS1_10merge_implIS3_N6thrust23THRUST_200600_302600_NS6detail15normal_iteratorINS9_10device_ptrIKfEEEESF_NSB_INSC_IfEEEEPS5_SI_SI_NS9_7greaterIfEEEE10hipError_tPvRmT0_T1_T2_T3_T4_T5_mmT6_P12ihipStream_tbEUlT_E_NS1_11comp_targetILNS1_3genE10ELNS1_11target_archE1200ELNS1_3gpuE4ELNS1_3repE0EEENS1_30default_config_static_selectorELNS0_4arch9wavefront6targetE1EEEvSP_
		.amdhsa_group_segment_fixed_size 0
		.amdhsa_private_segment_fixed_size 0
		.amdhsa_kernarg_size 48
		.amdhsa_user_sgpr_count 6
		.amdhsa_user_sgpr_private_segment_buffer 1
		.amdhsa_user_sgpr_dispatch_ptr 0
		.amdhsa_user_sgpr_queue_ptr 0
		.amdhsa_user_sgpr_kernarg_segment_ptr 1
		.amdhsa_user_sgpr_dispatch_id 0
		.amdhsa_user_sgpr_flat_scratch_init 0
		.amdhsa_user_sgpr_kernarg_preload_length 0
		.amdhsa_user_sgpr_kernarg_preload_offset 0
		.amdhsa_user_sgpr_private_segment_size 0
		.amdhsa_uses_dynamic_stack 0
		.amdhsa_system_sgpr_private_segment_wavefront_offset 0
		.amdhsa_system_sgpr_workgroup_id_x 1
		.amdhsa_system_sgpr_workgroup_id_y 0
		.amdhsa_system_sgpr_workgroup_id_z 0
		.amdhsa_system_sgpr_workgroup_info 0
		.amdhsa_system_vgpr_workitem_id 0
		.amdhsa_next_free_vgpr 1
		.amdhsa_next_free_sgpr 0
		.amdhsa_accum_offset 4
		.amdhsa_reserve_vcc 0
		.amdhsa_reserve_flat_scratch 0
		.amdhsa_float_round_mode_32 0
		.amdhsa_float_round_mode_16_64 0
		.amdhsa_float_denorm_mode_32 3
		.amdhsa_float_denorm_mode_16_64 3
		.amdhsa_dx10_clamp 1
		.amdhsa_ieee_mode 1
		.amdhsa_fp16_overflow 0
		.amdhsa_tg_split 0
		.amdhsa_exception_fp_ieee_invalid_op 0
		.amdhsa_exception_fp_denorm_src 0
		.amdhsa_exception_fp_ieee_div_zero 0
		.amdhsa_exception_fp_ieee_overflow 0
		.amdhsa_exception_fp_ieee_underflow 0
		.amdhsa_exception_fp_ieee_inexact 0
		.amdhsa_exception_int_div_zero 0
	.end_amdhsa_kernel
	.section	.text._ZN7rocprim17ROCPRIM_400000_NS6detail17trampoline_kernelINS0_14default_configENS1_21merge_config_selectorIfNS0_10empty_typeEEEZNS1_10merge_implIS3_N6thrust23THRUST_200600_302600_NS6detail15normal_iteratorINS9_10device_ptrIKfEEEESF_NSB_INSC_IfEEEEPS5_SI_SI_NS9_7greaterIfEEEE10hipError_tPvRmT0_T1_T2_T3_T4_T5_mmT6_P12ihipStream_tbEUlT_E_NS1_11comp_targetILNS1_3genE10ELNS1_11target_archE1200ELNS1_3gpuE4ELNS1_3repE0EEENS1_30default_config_static_selectorELNS0_4arch9wavefront6targetE1EEEvSP_,"axG",@progbits,_ZN7rocprim17ROCPRIM_400000_NS6detail17trampoline_kernelINS0_14default_configENS1_21merge_config_selectorIfNS0_10empty_typeEEEZNS1_10merge_implIS3_N6thrust23THRUST_200600_302600_NS6detail15normal_iteratorINS9_10device_ptrIKfEEEESF_NSB_INSC_IfEEEEPS5_SI_SI_NS9_7greaterIfEEEE10hipError_tPvRmT0_T1_T2_T3_T4_T5_mmT6_P12ihipStream_tbEUlT_E_NS1_11comp_targetILNS1_3genE10ELNS1_11target_archE1200ELNS1_3gpuE4ELNS1_3repE0EEENS1_30default_config_static_selectorELNS0_4arch9wavefront6targetE1EEEvSP_,comdat
.Lfunc_end485:
	.size	_ZN7rocprim17ROCPRIM_400000_NS6detail17trampoline_kernelINS0_14default_configENS1_21merge_config_selectorIfNS0_10empty_typeEEEZNS1_10merge_implIS3_N6thrust23THRUST_200600_302600_NS6detail15normal_iteratorINS9_10device_ptrIKfEEEESF_NSB_INSC_IfEEEEPS5_SI_SI_NS9_7greaterIfEEEE10hipError_tPvRmT0_T1_T2_T3_T4_T5_mmT6_P12ihipStream_tbEUlT_E_NS1_11comp_targetILNS1_3genE10ELNS1_11target_archE1200ELNS1_3gpuE4ELNS1_3repE0EEENS1_30default_config_static_selectorELNS0_4arch9wavefront6targetE1EEEvSP_, .Lfunc_end485-_ZN7rocprim17ROCPRIM_400000_NS6detail17trampoline_kernelINS0_14default_configENS1_21merge_config_selectorIfNS0_10empty_typeEEEZNS1_10merge_implIS3_N6thrust23THRUST_200600_302600_NS6detail15normal_iteratorINS9_10device_ptrIKfEEEESF_NSB_INSC_IfEEEEPS5_SI_SI_NS9_7greaterIfEEEE10hipError_tPvRmT0_T1_T2_T3_T4_T5_mmT6_P12ihipStream_tbEUlT_E_NS1_11comp_targetILNS1_3genE10ELNS1_11target_archE1200ELNS1_3gpuE4ELNS1_3repE0EEENS1_30default_config_static_selectorELNS0_4arch9wavefront6targetE1EEEvSP_
                                        ; -- End function
	.section	.AMDGPU.csdata,"",@progbits
; Kernel info:
; codeLenInByte = 0
; NumSgprs: 4
; NumVgprs: 0
; NumAgprs: 0
; TotalNumVgprs: 0
; ScratchSize: 0
; MemoryBound: 0
; FloatMode: 240
; IeeeMode: 1
; LDSByteSize: 0 bytes/workgroup (compile time only)
; SGPRBlocks: 0
; VGPRBlocks: 0
; NumSGPRsForWavesPerEU: 4
; NumVGPRsForWavesPerEU: 1
; AccumOffset: 4
; Occupancy: 8
; WaveLimiterHint : 0
; COMPUTE_PGM_RSRC2:SCRATCH_EN: 0
; COMPUTE_PGM_RSRC2:USER_SGPR: 6
; COMPUTE_PGM_RSRC2:TRAP_HANDLER: 0
; COMPUTE_PGM_RSRC2:TGID_X_EN: 1
; COMPUTE_PGM_RSRC2:TGID_Y_EN: 0
; COMPUTE_PGM_RSRC2:TGID_Z_EN: 0
; COMPUTE_PGM_RSRC2:TIDIG_COMP_CNT: 0
; COMPUTE_PGM_RSRC3_GFX90A:ACCUM_OFFSET: 0
; COMPUTE_PGM_RSRC3_GFX90A:TG_SPLIT: 0
	.section	.text._ZN7rocprim17ROCPRIM_400000_NS6detail17trampoline_kernelINS0_14default_configENS1_21merge_config_selectorIfNS0_10empty_typeEEEZNS1_10merge_implIS3_N6thrust23THRUST_200600_302600_NS6detail15normal_iteratorINS9_10device_ptrIKfEEEESF_NSB_INSC_IfEEEEPS5_SI_SI_NS9_7greaterIfEEEE10hipError_tPvRmT0_T1_T2_T3_T4_T5_mmT6_P12ihipStream_tbEUlT_E_NS1_11comp_targetILNS1_3genE9ELNS1_11target_archE1100ELNS1_3gpuE3ELNS1_3repE0EEENS1_30default_config_static_selectorELNS0_4arch9wavefront6targetE1EEEvSP_,"axG",@progbits,_ZN7rocprim17ROCPRIM_400000_NS6detail17trampoline_kernelINS0_14default_configENS1_21merge_config_selectorIfNS0_10empty_typeEEEZNS1_10merge_implIS3_N6thrust23THRUST_200600_302600_NS6detail15normal_iteratorINS9_10device_ptrIKfEEEESF_NSB_INSC_IfEEEEPS5_SI_SI_NS9_7greaterIfEEEE10hipError_tPvRmT0_T1_T2_T3_T4_T5_mmT6_P12ihipStream_tbEUlT_E_NS1_11comp_targetILNS1_3genE9ELNS1_11target_archE1100ELNS1_3gpuE3ELNS1_3repE0EEENS1_30default_config_static_selectorELNS0_4arch9wavefront6targetE1EEEvSP_,comdat
	.protected	_ZN7rocprim17ROCPRIM_400000_NS6detail17trampoline_kernelINS0_14default_configENS1_21merge_config_selectorIfNS0_10empty_typeEEEZNS1_10merge_implIS3_N6thrust23THRUST_200600_302600_NS6detail15normal_iteratorINS9_10device_ptrIKfEEEESF_NSB_INSC_IfEEEEPS5_SI_SI_NS9_7greaterIfEEEE10hipError_tPvRmT0_T1_T2_T3_T4_T5_mmT6_P12ihipStream_tbEUlT_E_NS1_11comp_targetILNS1_3genE9ELNS1_11target_archE1100ELNS1_3gpuE3ELNS1_3repE0EEENS1_30default_config_static_selectorELNS0_4arch9wavefront6targetE1EEEvSP_ ; -- Begin function _ZN7rocprim17ROCPRIM_400000_NS6detail17trampoline_kernelINS0_14default_configENS1_21merge_config_selectorIfNS0_10empty_typeEEEZNS1_10merge_implIS3_N6thrust23THRUST_200600_302600_NS6detail15normal_iteratorINS9_10device_ptrIKfEEEESF_NSB_INSC_IfEEEEPS5_SI_SI_NS9_7greaterIfEEEE10hipError_tPvRmT0_T1_T2_T3_T4_T5_mmT6_P12ihipStream_tbEUlT_E_NS1_11comp_targetILNS1_3genE9ELNS1_11target_archE1100ELNS1_3gpuE3ELNS1_3repE0EEENS1_30default_config_static_selectorELNS0_4arch9wavefront6targetE1EEEvSP_
	.globl	_ZN7rocprim17ROCPRIM_400000_NS6detail17trampoline_kernelINS0_14default_configENS1_21merge_config_selectorIfNS0_10empty_typeEEEZNS1_10merge_implIS3_N6thrust23THRUST_200600_302600_NS6detail15normal_iteratorINS9_10device_ptrIKfEEEESF_NSB_INSC_IfEEEEPS5_SI_SI_NS9_7greaterIfEEEE10hipError_tPvRmT0_T1_T2_T3_T4_T5_mmT6_P12ihipStream_tbEUlT_E_NS1_11comp_targetILNS1_3genE9ELNS1_11target_archE1100ELNS1_3gpuE3ELNS1_3repE0EEENS1_30default_config_static_selectorELNS0_4arch9wavefront6targetE1EEEvSP_
	.p2align	8
	.type	_ZN7rocprim17ROCPRIM_400000_NS6detail17trampoline_kernelINS0_14default_configENS1_21merge_config_selectorIfNS0_10empty_typeEEEZNS1_10merge_implIS3_N6thrust23THRUST_200600_302600_NS6detail15normal_iteratorINS9_10device_ptrIKfEEEESF_NSB_INSC_IfEEEEPS5_SI_SI_NS9_7greaterIfEEEE10hipError_tPvRmT0_T1_T2_T3_T4_T5_mmT6_P12ihipStream_tbEUlT_E_NS1_11comp_targetILNS1_3genE9ELNS1_11target_archE1100ELNS1_3gpuE3ELNS1_3repE0EEENS1_30default_config_static_selectorELNS0_4arch9wavefront6targetE1EEEvSP_,@function
_ZN7rocprim17ROCPRIM_400000_NS6detail17trampoline_kernelINS0_14default_configENS1_21merge_config_selectorIfNS0_10empty_typeEEEZNS1_10merge_implIS3_N6thrust23THRUST_200600_302600_NS6detail15normal_iteratorINS9_10device_ptrIKfEEEESF_NSB_INSC_IfEEEEPS5_SI_SI_NS9_7greaterIfEEEE10hipError_tPvRmT0_T1_T2_T3_T4_T5_mmT6_P12ihipStream_tbEUlT_E_NS1_11comp_targetILNS1_3genE9ELNS1_11target_archE1100ELNS1_3gpuE3ELNS1_3repE0EEENS1_30default_config_static_selectorELNS0_4arch9wavefront6targetE1EEEvSP_: ; @_ZN7rocprim17ROCPRIM_400000_NS6detail17trampoline_kernelINS0_14default_configENS1_21merge_config_selectorIfNS0_10empty_typeEEEZNS1_10merge_implIS3_N6thrust23THRUST_200600_302600_NS6detail15normal_iteratorINS9_10device_ptrIKfEEEESF_NSB_INSC_IfEEEEPS5_SI_SI_NS9_7greaterIfEEEE10hipError_tPvRmT0_T1_T2_T3_T4_T5_mmT6_P12ihipStream_tbEUlT_E_NS1_11comp_targetILNS1_3genE9ELNS1_11target_archE1100ELNS1_3gpuE3ELNS1_3repE0EEENS1_30default_config_static_selectorELNS0_4arch9wavefront6targetE1EEEvSP_
; %bb.0:
	.section	.rodata,"a",@progbits
	.p2align	6, 0x0
	.amdhsa_kernel _ZN7rocprim17ROCPRIM_400000_NS6detail17trampoline_kernelINS0_14default_configENS1_21merge_config_selectorIfNS0_10empty_typeEEEZNS1_10merge_implIS3_N6thrust23THRUST_200600_302600_NS6detail15normal_iteratorINS9_10device_ptrIKfEEEESF_NSB_INSC_IfEEEEPS5_SI_SI_NS9_7greaterIfEEEE10hipError_tPvRmT0_T1_T2_T3_T4_T5_mmT6_P12ihipStream_tbEUlT_E_NS1_11comp_targetILNS1_3genE9ELNS1_11target_archE1100ELNS1_3gpuE3ELNS1_3repE0EEENS1_30default_config_static_selectorELNS0_4arch9wavefront6targetE1EEEvSP_
		.amdhsa_group_segment_fixed_size 0
		.amdhsa_private_segment_fixed_size 0
		.amdhsa_kernarg_size 48
		.amdhsa_user_sgpr_count 6
		.amdhsa_user_sgpr_private_segment_buffer 1
		.amdhsa_user_sgpr_dispatch_ptr 0
		.amdhsa_user_sgpr_queue_ptr 0
		.amdhsa_user_sgpr_kernarg_segment_ptr 1
		.amdhsa_user_sgpr_dispatch_id 0
		.amdhsa_user_sgpr_flat_scratch_init 0
		.amdhsa_user_sgpr_kernarg_preload_length 0
		.amdhsa_user_sgpr_kernarg_preload_offset 0
		.amdhsa_user_sgpr_private_segment_size 0
		.amdhsa_uses_dynamic_stack 0
		.amdhsa_system_sgpr_private_segment_wavefront_offset 0
		.amdhsa_system_sgpr_workgroup_id_x 1
		.amdhsa_system_sgpr_workgroup_id_y 0
		.amdhsa_system_sgpr_workgroup_id_z 0
		.amdhsa_system_sgpr_workgroup_info 0
		.amdhsa_system_vgpr_workitem_id 0
		.amdhsa_next_free_vgpr 1
		.amdhsa_next_free_sgpr 0
		.amdhsa_accum_offset 4
		.amdhsa_reserve_vcc 0
		.amdhsa_reserve_flat_scratch 0
		.amdhsa_float_round_mode_32 0
		.amdhsa_float_round_mode_16_64 0
		.amdhsa_float_denorm_mode_32 3
		.amdhsa_float_denorm_mode_16_64 3
		.amdhsa_dx10_clamp 1
		.amdhsa_ieee_mode 1
		.amdhsa_fp16_overflow 0
		.amdhsa_tg_split 0
		.amdhsa_exception_fp_ieee_invalid_op 0
		.amdhsa_exception_fp_denorm_src 0
		.amdhsa_exception_fp_ieee_div_zero 0
		.amdhsa_exception_fp_ieee_overflow 0
		.amdhsa_exception_fp_ieee_underflow 0
		.amdhsa_exception_fp_ieee_inexact 0
		.amdhsa_exception_int_div_zero 0
	.end_amdhsa_kernel
	.section	.text._ZN7rocprim17ROCPRIM_400000_NS6detail17trampoline_kernelINS0_14default_configENS1_21merge_config_selectorIfNS0_10empty_typeEEEZNS1_10merge_implIS3_N6thrust23THRUST_200600_302600_NS6detail15normal_iteratorINS9_10device_ptrIKfEEEESF_NSB_INSC_IfEEEEPS5_SI_SI_NS9_7greaterIfEEEE10hipError_tPvRmT0_T1_T2_T3_T4_T5_mmT6_P12ihipStream_tbEUlT_E_NS1_11comp_targetILNS1_3genE9ELNS1_11target_archE1100ELNS1_3gpuE3ELNS1_3repE0EEENS1_30default_config_static_selectorELNS0_4arch9wavefront6targetE1EEEvSP_,"axG",@progbits,_ZN7rocprim17ROCPRIM_400000_NS6detail17trampoline_kernelINS0_14default_configENS1_21merge_config_selectorIfNS0_10empty_typeEEEZNS1_10merge_implIS3_N6thrust23THRUST_200600_302600_NS6detail15normal_iteratorINS9_10device_ptrIKfEEEESF_NSB_INSC_IfEEEEPS5_SI_SI_NS9_7greaterIfEEEE10hipError_tPvRmT0_T1_T2_T3_T4_T5_mmT6_P12ihipStream_tbEUlT_E_NS1_11comp_targetILNS1_3genE9ELNS1_11target_archE1100ELNS1_3gpuE3ELNS1_3repE0EEENS1_30default_config_static_selectorELNS0_4arch9wavefront6targetE1EEEvSP_,comdat
.Lfunc_end486:
	.size	_ZN7rocprim17ROCPRIM_400000_NS6detail17trampoline_kernelINS0_14default_configENS1_21merge_config_selectorIfNS0_10empty_typeEEEZNS1_10merge_implIS3_N6thrust23THRUST_200600_302600_NS6detail15normal_iteratorINS9_10device_ptrIKfEEEESF_NSB_INSC_IfEEEEPS5_SI_SI_NS9_7greaterIfEEEE10hipError_tPvRmT0_T1_T2_T3_T4_T5_mmT6_P12ihipStream_tbEUlT_E_NS1_11comp_targetILNS1_3genE9ELNS1_11target_archE1100ELNS1_3gpuE3ELNS1_3repE0EEENS1_30default_config_static_selectorELNS0_4arch9wavefront6targetE1EEEvSP_, .Lfunc_end486-_ZN7rocprim17ROCPRIM_400000_NS6detail17trampoline_kernelINS0_14default_configENS1_21merge_config_selectorIfNS0_10empty_typeEEEZNS1_10merge_implIS3_N6thrust23THRUST_200600_302600_NS6detail15normal_iteratorINS9_10device_ptrIKfEEEESF_NSB_INSC_IfEEEEPS5_SI_SI_NS9_7greaterIfEEEE10hipError_tPvRmT0_T1_T2_T3_T4_T5_mmT6_P12ihipStream_tbEUlT_E_NS1_11comp_targetILNS1_3genE9ELNS1_11target_archE1100ELNS1_3gpuE3ELNS1_3repE0EEENS1_30default_config_static_selectorELNS0_4arch9wavefront6targetE1EEEvSP_
                                        ; -- End function
	.section	.AMDGPU.csdata,"",@progbits
; Kernel info:
; codeLenInByte = 0
; NumSgprs: 4
; NumVgprs: 0
; NumAgprs: 0
; TotalNumVgprs: 0
; ScratchSize: 0
; MemoryBound: 0
; FloatMode: 240
; IeeeMode: 1
; LDSByteSize: 0 bytes/workgroup (compile time only)
; SGPRBlocks: 0
; VGPRBlocks: 0
; NumSGPRsForWavesPerEU: 4
; NumVGPRsForWavesPerEU: 1
; AccumOffset: 4
; Occupancy: 8
; WaveLimiterHint : 0
; COMPUTE_PGM_RSRC2:SCRATCH_EN: 0
; COMPUTE_PGM_RSRC2:USER_SGPR: 6
; COMPUTE_PGM_RSRC2:TRAP_HANDLER: 0
; COMPUTE_PGM_RSRC2:TGID_X_EN: 1
; COMPUTE_PGM_RSRC2:TGID_Y_EN: 0
; COMPUTE_PGM_RSRC2:TGID_Z_EN: 0
; COMPUTE_PGM_RSRC2:TIDIG_COMP_CNT: 0
; COMPUTE_PGM_RSRC3_GFX90A:ACCUM_OFFSET: 0
; COMPUTE_PGM_RSRC3_GFX90A:TG_SPLIT: 0
	.section	.text._ZN7rocprim17ROCPRIM_400000_NS6detail17trampoline_kernelINS0_14default_configENS1_21merge_config_selectorIfNS0_10empty_typeEEEZNS1_10merge_implIS3_N6thrust23THRUST_200600_302600_NS6detail15normal_iteratorINS9_10device_ptrIKfEEEESF_NSB_INSC_IfEEEEPS5_SI_SI_NS9_7greaterIfEEEE10hipError_tPvRmT0_T1_T2_T3_T4_T5_mmT6_P12ihipStream_tbEUlT_E_NS1_11comp_targetILNS1_3genE8ELNS1_11target_archE1030ELNS1_3gpuE2ELNS1_3repE0EEENS1_30default_config_static_selectorELNS0_4arch9wavefront6targetE1EEEvSP_,"axG",@progbits,_ZN7rocprim17ROCPRIM_400000_NS6detail17trampoline_kernelINS0_14default_configENS1_21merge_config_selectorIfNS0_10empty_typeEEEZNS1_10merge_implIS3_N6thrust23THRUST_200600_302600_NS6detail15normal_iteratorINS9_10device_ptrIKfEEEESF_NSB_INSC_IfEEEEPS5_SI_SI_NS9_7greaterIfEEEE10hipError_tPvRmT0_T1_T2_T3_T4_T5_mmT6_P12ihipStream_tbEUlT_E_NS1_11comp_targetILNS1_3genE8ELNS1_11target_archE1030ELNS1_3gpuE2ELNS1_3repE0EEENS1_30default_config_static_selectorELNS0_4arch9wavefront6targetE1EEEvSP_,comdat
	.protected	_ZN7rocprim17ROCPRIM_400000_NS6detail17trampoline_kernelINS0_14default_configENS1_21merge_config_selectorIfNS0_10empty_typeEEEZNS1_10merge_implIS3_N6thrust23THRUST_200600_302600_NS6detail15normal_iteratorINS9_10device_ptrIKfEEEESF_NSB_INSC_IfEEEEPS5_SI_SI_NS9_7greaterIfEEEE10hipError_tPvRmT0_T1_T2_T3_T4_T5_mmT6_P12ihipStream_tbEUlT_E_NS1_11comp_targetILNS1_3genE8ELNS1_11target_archE1030ELNS1_3gpuE2ELNS1_3repE0EEENS1_30default_config_static_selectorELNS0_4arch9wavefront6targetE1EEEvSP_ ; -- Begin function _ZN7rocprim17ROCPRIM_400000_NS6detail17trampoline_kernelINS0_14default_configENS1_21merge_config_selectorIfNS0_10empty_typeEEEZNS1_10merge_implIS3_N6thrust23THRUST_200600_302600_NS6detail15normal_iteratorINS9_10device_ptrIKfEEEESF_NSB_INSC_IfEEEEPS5_SI_SI_NS9_7greaterIfEEEE10hipError_tPvRmT0_T1_T2_T3_T4_T5_mmT6_P12ihipStream_tbEUlT_E_NS1_11comp_targetILNS1_3genE8ELNS1_11target_archE1030ELNS1_3gpuE2ELNS1_3repE0EEENS1_30default_config_static_selectorELNS0_4arch9wavefront6targetE1EEEvSP_
	.globl	_ZN7rocprim17ROCPRIM_400000_NS6detail17trampoline_kernelINS0_14default_configENS1_21merge_config_selectorIfNS0_10empty_typeEEEZNS1_10merge_implIS3_N6thrust23THRUST_200600_302600_NS6detail15normal_iteratorINS9_10device_ptrIKfEEEESF_NSB_INSC_IfEEEEPS5_SI_SI_NS9_7greaterIfEEEE10hipError_tPvRmT0_T1_T2_T3_T4_T5_mmT6_P12ihipStream_tbEUlT_E_NS1_11comp_targetILNS1_3genE8ELNS1_11target_archE1030ELNS1_3gpuE2ELNS1_3repE0EEENS1_30default_config_static_selectorELNS0_4arch9wavefront6targetE1EEEvSP_
	.p2align	8
	.type	_ZN7rocprim17ROCPRIM_400000_NS6detail17trampoline_kernelINS0_14default_configENS1_21merge_config_selectorIfNS0_10empty_typeEEEZNS1_10merge_implIS3_N6thrust23THRUST_200600_302600_NS6detail15normal_iteratorINS9_10device_ptrIKfEEEESF_NSB_INSC_IfEEEEPS5_SI_SI_NS9_7greaterIfEEEE10hipError_tPvRmT0_T1_T2_T3_T4_T5_mmT6_P12ihipStream_tbEUlT_E_NS1_11comp_targetILNS1_3genE8ELNS1_11target_archE1030ELNS1_3gpuE2ELNS1_3repE0EEENS1_30default_config_static_selectorELNS0_4arch9wavefront6targetE1EEEvSP_,@function
_ZN7rocprim17ROCPRIM_400000_NS6detail17trampoline_kernelINS0_14default_configENS1_21merge_config_selectorIfNS0_10empty_typeEEEZNS1_10merge_implIS3_N6thrust23THRUST_200600_302600_NS6detail15normal_iteratorINS9_10device_ptrIKfEEEESF_NSB_INSC_IfEEEEPS5_SI_SI_NS9_7greaterIfEEEE10hipError_tPvRmT0_T1_T2_T3_T4_T5_mmT6_P12ihipStream_tbEUlT_E_NS1_11comp_targetILNS1_3genE8ELNS1_11target_archE1030ELNS1_3gpuE2ELNS1_3repE0EEENS1_30default_config_static_selectorELNS0_4arch9wavefront6targetE1EEEvSP_: ; @_ZN7rocprim17ROCPRIM_400000_NS6detail17trampoline_kernelINS0_14default_configENS1_21merge_config_selectorIfNS0_10empty_typeEEEZNS1_10merge_implIS3_N6thrust23THRUST_200600_302600_NS6detail15normal_iteratorINS9_10device_ptrIKfEEEESF_NSB_INSC_IfEEEEPS5_SI_SI_NS9_7greaterIfEEEE10hipError_tPvRmT0_T1_T2_T3_T4_T5_mmT6_P12ihipStream_tbEUlT_E_NS1_11comp_targetILNS1_3genE8ELNS1_11target_archE1030ELNS1_3gpuE2ELNS1_3repE0EEENS1_30default_config_static_selectorELNS0_4arch9wavefront6targetE1EEEvSP_
; %bb.0:
	.section	.rodata,"a",@progbits
	.p2align	6, 0x0
	.amdhsa_kernel _ZN7rocprim17ROCPRIM_400000_NS6detail17trampoline_kernelINS0_14default_configENS1_21merge_config_selectorIfNS0_10empty_typeEEEZNS1_10merge_implIS3_N6thrust23THRUST_200600_302600_NS6detail15normal_iteratorINS9_10device_ptrIKfEEEESF_NSB_INSC_IfEEEEPS5_SI_SI_NS9_7greaterIfEEEE10hipError_tPvRmT0_T1_T2_T3_T4_T5_mmT6_P12ihipStream_tbEUlT_E_NS1_11comp_targetILNS1_3genE8ELNS1_11target_archE1030ELNS1_3gpuE2ELNS1_3repE0EEENS1_30default_config_static_selectorELNS0_4arch9wavefront6targetE1EEEvSP_
		.amdhsa_group_segment_fixed_size 0
		.amdhsa_private_segment_fixed_size 0
		.amdhsa_kernarg_size 48
		.amdhsa_user_sgpr_count 6
		.amdhsa_user_sgpr_private_segment_buffer 1
		.amdhsa_user_sgpr_dispatch_ptr 0
		.amdhsa_user_sgpr_queue_ptr 0
		.amdhsa_user_sgpr_kernarg_segment_ptr 1
		.amdhsa_user_sgpr_dispatch_id 0
		.amdhsa_user_sgpr_flat_scratch_init 0
		.amdhsa_user_sgpr_kernarg_preload_length 0
		.amdhsa_user_sgpr_kernarg_preload_offset 0
		.amdhsa_user_sgpr_private_segment_size 0
		.amdhsa_uses_dynamic_stack 0
		.amdhsa_system_sgpr_private_segment_wavefront_offset 0
		.amdhsa_system_sgpr_workgroup_id_x 1
		.amdhsa_system_sgpr_workgroup_id_y 0
		.amdhsa_system_sgpr_workgroup_id_z 0
		.amdhsa_system_sgpr_workgroup_info 0
		.amdhsa_system_vgpr_workitem_id 0
		.amdhsa_next_free_vgpr 1
		.amdhsa_next_free_sgpr 0
		.amdhsa_accum_offset 4
		.amdhsa_reserve_vcc 0
		.amdhsa_reserve_flat_scratch 0
		.amdhsa_float_round_mode_32 0
		.amdhsa_float_round_mode_16_64 0
		.amdhsa_float_denorm_mode_32 3
		.amdhsa_float_denorm_mode_16_64 3
		.amdhsa_dx10_clamp 1
		.amdhsa_ieee_mode 1
		.amdhsa_fp16_overflow 0
		.amdhsa_tg_split 0
		.amdhsa_exception_fp_ieee_invalid_op 0
		.amdhsa_exception_fp_denorm_src 0
		.amdhsa_exception_fp_ieee_div_zero 0
		.amdhsa_exception_fp_ieee_overflow 0
		.amdhsa_exception_fp_ieee_underflow 0
		.amdhsa_exception_fp_ieee_inexact 0
		.amdhsa_exception_int_div_zero 0
	.end_amdhsa_kernel
	.section	.text._ZN7rocprim17ROCPRIM_400000_NS6detail17trampoline_kernelINS0_14default_configENS1_21merge_config_selectorIfNS0_10empty_typeEEEZNS1_10merge_implIS3_N6thrust23THRUST_200600_302600_NS6detail15normal_iteratorINS9_10device_ptrIKfEEEESF_NSB_INSC_IfEEEEPS5_SI_SI_NS9_7greaterIfEEEE10hipError_tPvRmT0_T1_T2_T3_T4_T5_mmT6_P12ihipStream_tbEUlT_E_NS1_11comp_targetILNS1_3genE8ELNS1_11target_archE1030ELNS1_3gpuE2ELNS1_3repE0EEENS1_30default_config_static_selectorELNS0_4arch9wavefront6targetE1EEEvSP_,"axG",@progbits,_ZN7rocprim17ROCPRIM_400000_NS6detail17trampoline_kernelINS0_14default_configENS1_21merge_config_selectorIfNS0_10empty_typeEEEZNS1_10merge_implIS3_N6thrust23THRUST_200600_302600_NS6detail15normal_iteratorINS9_10device_ptrIKfEEEESF_NSB_INSC_IfEEEEPS5_SI_SI_NS9_7greaterIfEEEE10hipError_tPvRmT0_T1_T2_T3_T4_T5_mmT6_P12ihipStream_tbEUlT_E_NS1_11comp_targetILNS1_3genE8ELNS1_11target_archE1030ELNS1_3gpuE2ELNS1_3repE0EEENS1_30default_config_static_selectorELNS0_4arch9wavefront6targetE1EEEvSP_,comdat
.Lfunc_end487:
	.size	_ZN7rocprim17ROCPRIM_400000_NS6detail17trampoline_kernelINS0_14default_configENS1_21merge_config_selectorIfNS0_10empty_typeEEEZNS1_10merge_implIS3_N6thrust23THRUST_200600_302600_NS6detail15normal_iteratorINS9_10device_ptrIKfEEEESF_NSB_INSC_IfEEEEPS5_SI_SI_NS9_7greaterIfEEEE10hipError_tPvRmT0_T1_T2_T3_T4_T5_mmT6_P12ihipStream_tbEUlT_E_NS1_11comp_targetILNS1_3genE8ELNS1_11target_archE1030ELNS1_3gpuE2ELNS1_3repE0EEENS1_30default_config_static_selectorELNS0_4arch9wavefront6targetE1EEEvSP_, .Lfunc_end487-_ZN7rocprim17ROCPRIM_400000_NS6detail17trampoline_kernelINS0_14default_configENS1_21merge_config_selectorIfNS0_10empty_typeEEEZNS1_10merge_implIS3_N6thrust23THRUST_200600_302600_NS6detail15normal_iteratorINS9_10device_ptrIKfEEEESF_NSB_INSC_IfEEEEPS5_SI_SI_NS9_7greaterIfEEEE10hipError_tPvRmT0_T1_T2_T3_T4_T5_mmT6_P12ihipStream_tbEUlT_E_NS1_11comp_targetILNS1_3genE8ELNS1_11target_archE1030ELNS1_3gpuE2ELNS1_3repE0EEENS1_30default_config_static_selectorELNS0_4arch9wavefront6targetE1EEEvSP_
                                        ; -- End function
	.section	.AMDGPU.csdata,"",@progbits
; Kernel info:
; codeLenInByte = 0
; NumSgprs: 4
; NumVgprs: 0
; NumAgprs: 0
; TotalNumVgprs: 0
; ScratchSize: 0
; MemoryBound: 0
; FloatMode: 240
; IeeeMode: 1
; LDSByteSize: 0 bytes/workgroup (compile time only)
; SGPRBlocks: 0
; VGPRBlocks: 0
; NumSGPRsForWavesPerEU: 4
; NumVGPRsForWavesPerEU: 1
; AccumOffset: 4
; Occupancy: 8
; WaveLimiterHint : 0
; COMPUTE_PGM_RSRC2:SCRATCH_EN: 0
; COMPUTE_PGM_RSRC2:USER_SGPR: 6
; COMPUTE_PGM_RSRC2:TRAP_HANDLER: 0
; COMPUTE_PGM_RSRC2:TGID_X_EN: 1
; COMPUTE_PGM_RSRC2:TGID_Y_EN: 0
; COMPUTE_PGM_RSRC2:TGID_Z_EN: 0
; COMPUTE_PGM_RSRC2:TIDIG_COMP_CNT: 0
; COMPUTE_PGM_RSRC3_GFX90A:ACCUM_OFFSET: 0
; COMPUTE_PGM_RSRC3_GFX90A:TG_SPLIT: 0
	.section	.text._ZN7rocprim17ROCPRIM_400000_NS6detail17trampoline_kernelINS0_14default_configENS1_21merge_config_selectorIfNS0_10empty_typeEEEZNS1_10merge_implIS3_N6thrust23THRUST_200600_302600_NS6detail15normal_iteratorINS9_10device_ptrIKfEEEESF_NSB_INSC_IfEEEEPS5_SI_SI_NS9_7greaterIfEEEE10hipError_tPvRmT0_T1_T2_T3_T4_T5_mmT6_P12ihipStream_tbEUlT_E0_NS1_11comp_targetILNS1_3genE0ELNS1_11target_archE4294967295ELNS1_3gpuE0ELNS1_3repE0EEENS1_30default_config_static_selectorELNS0_4arch9wavefront6targetE1EEEvSP_,"axG",@progbits,_ZN7rocprim17ROCPRIM_400000_NS6detail17trampoline_kernelINS0_14default_configENS1_21merge_config_selectorIfNS0_10empty_typeEEEZNS1_10merge_implIS3_N6thrust23THRUST_200600_302600_NS6detail15normal_iteratorINS9_10device_ptrIKfEEEESF_NSB_INSC_IfEEEEPS5_SI_SI_NS9_7greaterIfEEEE10hipError_tPvRmT0_T1_T2_T3_T4_T5_mmT6_P12ihipStream_tbEUlT_E0_NS1_11comp_targetILNS1_3genE0ELNS1_11target_archE4294967295ELNS1_3gpuE0ELNS1_3repE0EEENS1_30default_config_static_selectorELNS0_4arch9wavefront6targetE1EEEvSP_,comdat
	.protected	_ZN7rocprim17ROCPRIM_400000_NS6detail17trampoline_kernelINS0_14default_configENS1_21merge_config_selectorIfNS0_10empty_typeEEEZNS1_10merge_implIS3_N6thrust23THRUST_200600_302600_NS6detail15normal_iteratorINS9_10device_ptrIKfEEEESF_NSB_INSC_IfEEEEPS5_SI_SI_NS9_7greaterIfEEEE10hipError_tPvRmT0_T1_T2_T3_T4_T5_mmT6_P12ihipStream_tbEUlT_E0_NS1_11comp_targetILNS1_3genE0ELNS1_11target_archE4294967295ELNS1_3gpuE0ELNS1_3repE0EEENS1_30default_config_static_selectorELNS0_4arch9wavefront6targetE1EEEvSP_ ; -- Begin function _ZN7rocprim17ROCPRIM_400000_NS6detail17trampoline_kernelINS0_14default_configENS1_21merge_config_selectorIfNS0_10empty_typeEEEZNS1_10merge_implIS3_N6thrust23THRUST_200600_302600_NS6detail15normal_iteratorINS9_10device_ptrIKfEEEESF_NSB_INSC_IfEEEEPS5_SI_SI_NS9_7greaterIfEEEE10hipError_tPvRmT0_T1_T2_T3_T4_T5_mmT6_P12ihipStream_tbEUlT_E0_NS1_11comp_targetILNS1_3genE0ELNS1_11target_archE4294967295ELNS1_3gpuE0ELNS1_3repE0EEENS1_30default_config_static_selectorELNS0_4arch9wavefront6targetE1EEEvSP_
	.globl	_ZN7rocprim17ROCPRIM_400000_NS6detail17trampoline_kernelINS0_14default_configENS1_21merge_config_selectorIfNS0_10empty_typeEEEZNS1_10merge_implIS3_N6thrust23THRUST_200600_302600_NS6detail15normal_iteratorINS9_10device_ptrIKfEEEESF_NSB_INSC_IfEEEEPS5_SI_SI_NS9_7greaterIfEEEE10hipError_tPvRmT0_T1_T2_T3_T4_T5_mmT6_P12ihipStream_tbEUlT_E0_NS1_11comp_targetILNS1_3genE0ELNS1_11target_archE4294967295ELNS1_3gpuE0ELNS1_3repE0EEENS1_30default_config_static_selectorELNS0_4arch9wavefront6targetE1EEEvSP_
	.p2align	8
	.type	_ZN7rocprim17ROCPRIM_400000_NS6detail17trampoline_kernelINS0_14default_configENS1_21merge_config_selectorIfNS0_10empty_typeEEEZNS1_10merge_implIS3_N6thrust23THRUST_200600_302600_NS6detail15normal_iteratorINS9_10device_ptrIKfEEEESF_NSB_INSC_IfEEEEPS5_SI_SI_NS9_7greaterIfEEEE10hipError_tPvRmT0_T1_T2_T3_T4_T5_mmT6_P12ihipStream_tbEUlT_E0_NS1_11comp_targetILNS1_3genE0ELNS1_11target_archE4294967295ELNS1_3gpuE0ELNS1_3repE0EEENS1_30default_config_static_selectorELNS0_4arch9wavefront6targetE1EEEvSP_,@function
_ZN7rocprim17ROCPRIM_400000_NS6detail17trampoline_kernelINS0_14default_configENS1_21merge_config_selectorIfNS0_10empty_typeEEEZNS1_10merge_implIS3_N6thrust23THRUST_200600_302600_NS6detail15normal_iteratorINS9_10device_ptrIKfEEEESF_NSB_INSC_IfEEEEPS5_SI_SI_NS9_7greaterIfEEEE10hipError_tPvRmT0_T1_T2_T3_T4_T5_mmT6_P12ihipStream_tbEUlT_E0_NS1_11comp_targetILNS1_3genE0ELNS1_11target_archE4294967295ELNS1_3gpuE0ELNS1_3repE0EEENS1_30default_config_static_selectorELNS0_4arch9wavefront6targetE1EEEvSP_: ; @_ZN7rocprim17ROCPRIM_400000_NS6detail17trampoline_kernelINS0_14default_configENS1_21merge_config_selectorIfNS0_10empty_typeEEEZNS1_10merge_implIS3_N6thrust23THRUST_200600_302600_NS6detail15normal_iteratorINS9_10device_ptrIKfEEEESF_NSB_INSC_IfEEEEPS5_SI_SI_NS9_7greaterIfEEEE10hipError_tPvRmT0_T1_T2_T3_T4_T5_mmT6_P12ihipStream_tbEUlT_E0_NS1_11comp_targetILNS1_3genE0ELNS1_11target_archE4294967295ELNS1_3gpuE0ELNS1_3repE0EEENS1_30default_config_static_selectorELNS0_4arch9wavefront6targetE1EEEvSP_
; %bb.0:
	.section	.rodata,"a",@progbits
	.p2align	6, 0x0
	.amdhsa_kernel _ZN7rocprim17ROCPRIM_400000_NS6detail17trampoline_kernelINS0_14default_configENS1_21merge_config_selectorIfNS0_10empty_typeEEEZNS1_10merge_implIS3_N6thrust23THRUST_200600_302600_NS6detail15normal_iteratorINS9_10device_ptrIKfEEEESF_NSB_INSC_IfEEEEPS5_SI_SI_NS9_7greaterIfEEEE10hipError_tPvRmT0_T1_T2_T3_T4_T5_mmT6_P12ihipStream_tbEUlT_E0_NS1_11comp_targetILNS1_3genE0ELNS1_11target_archE4294967295ELNS1_3gpuE0ELNS1_3repE0EEENS1_30default_config_static_selectorELNS0_4arch9wavefront6targetE1EEEvSP_
		.amdhsa_group_segment_fixed_size 0
		.amdhsa_private_segment_fixed_size 0
		.amdhsa_kernarg_size 88
		.amdhsa_user_sgpr_count 6
		.amdhsa_user_sgpr_private_segment_buffer 1
		.amdhsa_user_sgpr_dispatch_ptr 0
		.amdhsa_user_sgpr_queue_ptr 0
		.amdhsa_user_sgpr_kernarg_segment_ptr 1
		.amdhsa_user_sgpr_dispatch_id 0
		.amdhsa_user_sgpr_flat_scratch_init 0
		.amdhsa_user_sgpr_kernarg_preload_length 0
		.amdhsa_user_sgpr_kernarg_preload_offset 0
		.amdhsa_user_sgpr_private_segment_size 0
		.amdhsa_uses_dynamic_stack 0
		.amdhsa_system_sgpr_private_segment_wavefront_offset 0
		.amdhsa_system_sgpr_workgroup_id_x 1
		.amdhsa_system_sgpr_workgroup_id_y 0
		.amdhsa_system_sgpr_workgroup_id_z 0
		.amdhsa_system_sgpr_workgroup_info 0
		.amdhsa_system_vgpr_workitem_id 0
		.amdhsa_next_free_vgpr 1
		.amdhsa_next_free_sgpr 0
		.amdhsa_accum_offset 4
		.amdhsa_reserve_vcc 0
		.amdhsa_reserve_flat_scratch 0
		.amdhsa_float_round_mode_32 0
		.amdhsa_float_round_mode_16_64 0
		.amdhsa_float_denorm_mode_32 3
		.amdhsa_float_denorm_mode_16_64 3
		.amdhsa_dx10_clamp 1
		.amdhsa_ieee_mode 1
		.amdhsa_fp16_overflow 0
		.amdhsa_tg_split 0
		.amdhsa_exception_fp_ieee_invalid_op 0
		.amdhsa_exception_fp_denorm_src 0
		.amdhsa_exception_fp_ieee_div_zero 0
		.amdhsa_exception_fp_ieee_overflow 0
		.amdhsa_exception_fp_ieee_underflow 0
		.amdhsa_exception_fp_ieee_inexact 0
		.amdhsa_exception_int_div_zero 0
	.end_amdhsa_kernel
	.section	.text._ZN7rocprim17ROCPRIM_400000_NS6detail17trampoline_kernelINS0_14default_configENS1_21merge_config_selectorIfNS0_10empty_typeEEEZNS1_10merge_implIS3_N6thrust23THRUST_200600_302600_NS6detail15normal_iteratorINS9_10device_ptrIKfEEEESF_NSB_INSC_IfEEEEPS5_SI_SI_NS9_7greaterIfEEEE10hipError_tPvRmT0_T1_T2_T3_T4_T5_mmT6_P12ihipStream_tbEUlT_E0_NS1_11comp_targetILNS1_3genE0ELNS1_11target_archE4294967295ELNS1_3gpuE0ELNS1_3repE0EEENS1_30default_config_static_selectorELNS0_4arch9wavefront6targetE1EEEvSP_,"axG",@progbits,_ZN7rocprim17ROCPRIM_400000_NS6detail17trampoline_kernelINS0_14default_configENS1_21merge_config_selectorIfNS0_10empty_typeEEEZNS1_10merge_implIS3_N6thrust23THRUST_200600_302600_NS6detail15normal_iteratorINS9_10device_ptrIKfEEEESF_NSB_INSC_IfEEEEPS5_SI_SI_NS9_7greaterIfEEEE10hipError_tPvRmT0_T1_T2_T3_T4_T5_mmT6_P12ihipStream_tbEUlT_E0_NS1_11comp_targetILNS1_3genE0ELNS1_11target_archE4294967295ELNS1_3gpuE0ELNS1_3repE0EEENS1_30default_config_static_selectorELNS0_4arch9wavefront6targetE1EEEvSP_,comdat
.Lfunc_end488:
	.size	_ZN7rocprim17ROCPRIM_400000_NS6detail17trampoline_kernelINS0_14default_configENS1_21merge_config_selectorIfNS0_10empty_typeEEEZNS1_10merge_implIS3_N6thrust23THRUST_200600_302600_NS6detail15normal_iteratorINS9_10device_ptrIKfEEEESF_NSB_INSC_IfEEEEPS5_SI_SI_NS9_7greaterIfEEEE10hipError_tPvRmT0_T1_T2_T3_T4_T5_mmT6_P12ihipStream_tbEUlT_E0_NS1_11comp_targetILNS1_3genE0ELNS1_11target_archE4294967295ELNS1_3gpuE0ELNS1_3repE0EEENS1_30default_config_static_selectorELNS0_4arch9wavefront6targetE1EEEvSP_, .Lfunc_end488-_ZN7rocprim17ROCPRIM_400000_NS6detail17trampoline_kernelINS0_14default_configENS1_21merge_config_selectorIfNS0_10empty_typeEEEZNS1_10merge_implIS3_N6thrust23THRUST_200600_302600_NS6detail15normal_iteratorINS9_10device_ptrIKfEEEESF_NSB_INSC_IfEEEEPS5_SI_SI_NS9_7greaterIfEEEE10hipError_tPvRmT0_T1_T2_T3_T4_T5_mmT6_P12ihipStream_tbEUlT_E0_NS1_11comp_targetILNS1_3genE0ELNS1_11target_archE4294967295ELNS1_3gpuE0ELNS1_3repE0EEENS1_30default_config_static_selectorELNS0_4arch9wavefront6targetE1EEEvSP_
                                        ; -- End function
	.section	.AMDGPU.csdata,"",@progbits
; Kernel info:
; codeLenInByte = 0
; NumSgprs: 4
; NumVgprs: 0
; NumAgprs: 0
; TotalNumVgprs: 0
; ScratchSize: 0
; MemoryBound: 0
; FloatMode: 240
; IeeeMode: 1
; LDSByteSize: 0 bytes/workgroup (compile time only)
; SGPRBlocks: 0
; VGPRBlocks: 0
; NumSGPRsForWavesPerEU: 4
; NumVGPRsForWavesPerEU: 1
; AccumOffset: 4
; Occupancy: 8
; WaveLimiterHint : 0
; COMPUTE_PGM_RSRC2:SCRATCH_EN: 0
; COMPUTE_PGM_RSRC2:USER_SGPR: 6
; COMPUTE_PGM_RSRC2:TRAP_HANDLER: 0
; COMPUTE_PGM_RSRC2:TGID_X_EN: 1
; COMPUTE_PGM_RSRC2:TGID_Y_EN: 0
; COMPUTE_PGM_RSRC2:TGID_Z_EN: 0
; COMPUTE_PGM_RSRC2:TIDIG_COMP_CNT: 0
; COMPUTE_PGM_RSRC3_GFX90A:ACCUM_OFFSET: 0
; COMPUTE_PGM_RSRC3_GFX90A:TG_SPLIT: 0
	.section	.text._ZN7rocprim17ROCPRIM_400000_NS6detail17trampoline_kernelINS0_14default_configENS1_21merge_config_selectorIfNS0_10empty_typeEEEZNS1_10merge_implIS3_N6thrust23THRUST_200600_302600_NS6detail15normal_iteratorINS9_10device_ptrIKfEEEESF_NSB_INSC_IfEEEEPS5_SI_SI_NS9_7greaterIfEEEE10hipError_tPvRmT0_T1_T2_T3_T4_T5_mmT6_P12ihipStream_tbEUlT_E0_NS1_11comp_targetILNS1_3genE5ELNS1_11target_archE942ELNS1_3gpuE9ELNS1_3repE0EEENS1_30default_config_static_selectorELNS0_4arch9wavefront6targetE1EEEvSP_,"axG",@progbits,_ZN7rocprim17ROCPRIM_400000_NS6detail17trampoline_kernelINS0_14default_configENS1_21merge_config_selectorIfNS0_10empty_typeEEEZNS1_10merge_implIS3_N6thrust23THRUST_200600_302600_NS6detail15normal_iteratorINS9_10device_ptrIKfEEEESF_NSB_INSC_IfEEEEPS5_SI_SI_NS9_7greaterIfEEEE10hipError_tPvRmT0_T1_T2_T3_T4_T5_mmT6_P12ihipStream_tbEUlT_E0_NS1_11comp_targetILNS1_3genE5ELNS1_11target_archE942ELNS1_3gpuE9ELNS1_3repE0EEENS1_30default_config_static_selectorELNS0_4arch9wavefront6targetE1EEEvSP_,comdat
	.protected	_ZN7rocprim17ROCPRIM_400000_NS6detail17trampoline_kernelINS0_14default_configENS1_21merge_config_selectorIfNS0_10empty_typeEEEZNS1_10merge_implIS3_N6thrust23THRUST_200600_302600_NS6detail15normal_iteratorINS9_10device_ptrIKfEEEESF_NSB_INSC_IfEEEEPS5_SI_SI_NS9_7greaterIfEEEE10hipError_tPvRmT0_T1_T2_T3_T4_T5_mmT6_P12ihipStream_tbEUlT_E0_NS1_11comp_targetILNS1_3genE5ELNS1_11target_archE942ELNS1_3gpuE9ELNS1_3repE0EEENS1_30default_config_static_selectorELNS0_4arch9wavefront6targetE1EEEvSP_ ; -- Begin function _ZN7rocprim17ROCPRIM_400000_NS6detail17trampoline_kernelINS0_14default_configENS1_21merge_config_selectorIfNS0_10empty_typeEEEZNS1_10merge_implIS3_N6thrust23THRUST_200600_302600_NS6detail15normal_iteratorINS9_10device_ptrIKfEEEESF_NSB_INSC_IfEEEEPS5_SI_SI_NS9_7greaterIfEEEE10hipError_tPvRmT0_T1_T2_T3_T4_T5_mmT6_P12ihipStream_tbEUlT_E0_NS1_11comp_targetILNS1_3genE5ELNS1_11target_archE942ELNS1_3gpuE9ELNS1_3repE0EEENS1_30default_config_static_selectorELNS0_4arch9wavefront6targetE1EEEvSP_
	.globl	_ZN7rocprim17ROCPRIM_400000_NS6detail17trampoline_kernelINS0_14default_configENS1_21merge_config_selectorIfNS0_10empty_typeEEEZNS1_10merge_implIS3_N6thrust23THRUST_200600_302600_NS6detail15normal_iteratorINS9_10device_ptrIKfEEEESF_NSB_INSC_IfEEEEPS5_SI_SI_NS9_7greaterIfEEEE10hipError_tPvRmT0_T1_T2_T3_T4_T5_mmT6_P12ihipStream_tbEUlT_E0_NS1_11comp_targetILNS1_3genE5ELNS1_11target_archE942ELNS1_3gpuE9ELNS1_3repE0EEENS1_30default_config_static_selectorELNS0_4arch9wavefront6targetE1EEEvSP_
	.p2align	8
	.type	_ZN7rocprim17ROCPRIM_400000_NS6detail17trampoline_kernelINS0_14default_configENS1_21merge_config_selectorIfNS0_10empty_typeEEEZNS1_10merge_implIS3_N6thrust23THRUST_200600_302600_NS6detail15normal_iteratorINS9_10device_ptrIKfEEEESF_NSB_INSC_IfEEEEPS5_SI_SI_NS9_7greaterIfEEEE10hipError_tPvRmT0_T1_T2_T3_T4_T5_mmT6_P12ihipStream_tbEUlT_E0_NS1_11comp_targetILNS1_3genE5ELNS1_11target_archE942ELNS1_3gpuE9ELNS1_3repE0EEENS1_30default_config_static_selectorELNS0_4arch9wavefront6targetE1EEEvSP_,@function
_ZN7rocprim17ROCPRIM_400000_NS6detail17trampoline_kernelINS0_14default_configENS1_21merge_config_selectorIfNS0_10empty_typeEEEZNS1_10merge_implIS3_N6thrust23THRUST_200600_302600_NS6detail15normal_iteratorINS9_10device_ptrIKfEEEESF_NSB_INSC_IfEEEEPS5_SI_SI_NS9_7greaterIfEEEE10hipError_tPvRmT0_T1_T2_T3_T4_T5_mmT6_P12ihipStream_tbEUlT_E0_NS1_11comp_targetILNS1_3genE5ELNS1_11target_archE942ELNS1_3gpuE9ELNS1_3repE0EEENS1_30default_config_static_selectorELNS0_4arch9wavefront6targetE1EEEvSP_: ; @_ZN7rocprim17ROCPRIM_400000_NS6detail17trampoline_kernelINS0_14default_configENS1_21merge_config_selectorIfNS0_10empty_typeEEEZNS1_10merge_implIS3_N6thrust23THRUST_200600_302600_NS6detail15normal_iteratorINS9_10device_ptrIKfEEEESF_NSB_INSC_IfEEEEPS5_SI_SI_NS9_7greaterIfEEEE10hipError_tPvRmT0_T1_T2_T3_T4_T5_mmT6_P12ihipStream_tbEUlT_E0_NS1_11comp_targetILNS1_3genE5ELNS1_11target_archE942ELNS1_3gpuE9ELNS1_3repE0EEENS1_30default_config_static_selectorELNS0_4arch9wavefront6targetE1EEEvSP_
; %bb.0:
	.section	.rodata,"a",@progbits
	.p2align	6, 0x0
	.amdhsa_kernel _ZN7rocprim17ROCPRIM_400000_NS6detail17trampoline_kernelINS0_14default_configENS1_21merge_config_selectorIfNS0_10empty_typeEEEZNS1_10merge_implIS3_N6thrust23THRUST_200600_302600_NS6detail15normal_iteratorINS9_10device_ptrIKfEEEESF_NSB_INSC_IfEEEEPS5_SI_SI_NS9_7greaterIfEEEE10hipError_tPvRmT0_T1_T2_T3_T4_T5_mmT6_P12ihipStream_tbEUlT_E0_NS1_11comp_targetILNS1_3genE5ELNS1_11target_archE942ELNS1_3gpuE9ELNS1_3repE0EEENS1_30default_config_static_selectorELNS0_4arch9wavefront6targetE1EEEvSP_
		.amdhsa_group_segment_fixed_size 0
		.amdhsa_private_segment_fixed_size 0
		.amdhsa_kernarg_size 88
		.amdhsa_user_sgpr_count 6
		.amdhsa_user_sgpr_private_segment_buffer 1
		.amdhsa_user_sgpr_dispatch_ptr 0
		.amdhsa_user_sgpr_queue_ptr 0
		.amdhsa_user_sgpr_kernarg_segment_ptr 1
		.amdhsa_user_sgpr_dispatch_id 0
		.amdhsa_user_sgpr_flat_scratch_init 0
		.amdhsa_user_sgpr_kernarg_preload_length 0
		.amdhsa_user_sgpr_kernarg_preload_offset 0
		.amdhsa_user_sgpr_private_segment_size 0
		.amdhsa_uses_dynamic_stack 0
		.amdhsa_system_sgpr_private_segment_wavefront_offset 0
		.amdhsa_system_sgpr_workgroup_id_x 1
		.amdhsa_system_sgpr_workgroup_id_y 0
		.amdhsa_system_sgpr_workgroup_id_z 0
		.amdhsa_system_sgpr_workgroup_info 0
		.amdhsa_system_vgpr_workitem_id 0
		.amdhsa_next_free_vgpr 1
		.amdhsa_next_free_sgpr 0
		.amdhsa_accum_offset 4
		.amdhsa_reserve_vcc 0
		.amdhsa_reserve_flat_scratch 0
		.amdhsa_float_round_mode_32 0
		.amdhsa_float_round_mode_16_64 0
		.amdhsa_float_denorm_mode_32 3
		.amdhsa_float_denorm_mode_16_64 3
		.amdhsa_dx10_clamp 1
		.amdhsa_ieee_mode 1
		.amdhsa_fp16_overflow 0
		.amdhsa_tg_split 0
		.amdhsa_exception_fp_ieee_invalid_op 0
		.amdhsa_exception_fp_denorm_src 0
		.amdhsa_exception_fp_ieee_div_zero 0
		.amdhsa_exception_fp_ieee_overflow 0
		.amdhsa_exception_fp_ieee_underflow 0
		.amdhsa_exception_fp_ieee_inexact 0
		.amdhsa_exception_int_div_zero 0
	.end_amdhsa_kernel
	.section	.text._ZN7rocprim17ROCPRIM_400000_NS6detail17trampoline_kernelINS0_14default_configENS1_21merge_config_selectorIfNS0_10empty_typeEEEZNS1_10merge_implIS3_N6thrust23THRUST_200600_302600_NS6detail15normal_iteratorINS9_10device_ptrIKfEEEESF_NSB_INSC_IfEEEEPS5_SI_SI_NS9_7greaterIfEEEE10hipError_tPvRmT0_T1_T2_T3_T4_T5_mmT6_P12ihipStream_tbEUlT_E0_NS1_11comp_targetILNS1_3genE5ELNS1_11target_archE942ELNS1_3gpuE9ELNS1_3repE0EEENS1_30default_config_static_selectorELNS0_4arch9wavefront6targetE1EEEvSP_,"axG",@progbits,_ZN7rocprim17ROCPRIM_400000_NS6detail17trampoline_kernelINS0_14default_configENS1_21merge_config_selectorIfNS0_10empty_typeEEEZNS1_10merge_implIS3_N6thrust23THRUST_200600_302600_NS6detail15normal_iteratorINS9_10device_ptrIKfEEEESF_NSB_INSC_IfEEEEPS5_SI_SI_NS9_7greaterIfEEEE10hipError_tPvRmT0_T1_T2_T3_T4_T5_mmT6_P12ihipStream_tbEUlT_E0_NS1_11comp_targetILNS1_3genE5ELNS1_11target_archE942ELNS1_3gpuE9ELNS1_3repE0EEENS1_30default_config_static_selectorELNS0_4arch9wavefront6targetE1EEEvSP_,comdat
.Lfunc_end489:
	.size	_ZN7rocprim17ROCPRIM_400000_NS6detail17trampoline_kernelINS0_14default_configENS1_21merge_config_selectorIfNS0_10empty_typeEEEZNS1_10merge_implIS3_N6thrust23THRUST_200600_302600_NS6detail15normal_iteratorINS9_10device_ptrIKfEEEESF_NSB_INSC_IfEEEEPS5_SI_SI_NS9_7greaterIfEEEE10hipError_tPvRmT0_T1_T2_T3_T4_T5_mmT6_P12ihipStream_tbEUlT_E0_NS1_11comp_targetILNS1_3genE5ELNS1_11target_archE942ELNS1_3gpuE9ELNS1_3repE0EEENS1_30default_config_static_selectorELNS0_4arch9wavefront6targetE1EEEvSP_, .Lfunc_end489-_ZN7rocprim17ROCPRIM_400000_NS6detail17trampoline_kernelINS0_14default_configENS1_21merge_config_selectorIfNS0_10empty_typeEEEZNS1_10merge_implIS3_N6thrust23THRUST_200600_302600_NS6detail15normal_iteratorINS9_10device_ptrIKfEEEESF_NSB_INSC_IfEEEEPS5_SI_SI_NS9_7greaterIfEEEE10hipError_tPvRmT0_T1_T2_T3_T4_T5_mmT6_P12ihipStream_tbEUlT_E0_NS1_11comp_targetILNS1_3genE5ELNS1_11target_archE942ELNS1_3gpuE9ELNS1_3repE0EEENS1_30default_config_static_selectorELNS0_4arch9wavefront6targetE1EEEvSP_
                                        ; -- End function
	.section	.AMDGPU.csdata,"",@progbits
; Kernel info:
; codeLenInByte = 0
; NumSgprs: 4
; NumVgprs: 0
; NumAgprs: 0
; TotalNumVgprs: 0
; ScratchSize: 0
; MemoryBound: 0
; FloatMode: 240
; IeeeMode: 1
; LDSByteSize: 0 bytes/workgroup (compile time only)
; SGPRBlocks: 0
; VGPRBlocks: 0
; NumSGPRsForWavesPerEU: 4
; NumVGPRsForWavesPerEU: 1
; AccumOffset: 4
; Occupancy: 8
; WaveLimiterHint : 0
; COMPUTE_PGM_RSRC2:SCRATCH_EN: 0
; COMPUTE_PGM_RSRC2:USER_SGPR: 6
; COMPUTE_PGM_RSRC2:TRAP_HANDLER: 0
; COMPUTE_PGM_RSRC2:TGID_X_EN: 1
; COMPUTE_PGM_RSRC2:TGID_Y_EN: 0
; COMPUTE_PGM_RSRC2:TGID_Z_EN: 0
; COMPUTE_PGM_RSRC2:TIDIG_COMP_CNT: 0
; COMPUTE_PGM_RSRC3_GFX90A:ACCUM_OFFSET: 0
; COMPUTE_PGM_RSRC3_GFX90A:TG_SPLIT: 0
	.section	.text._ZN7rocprim17ROCPRIM_400000_NS6detail17trampoline_kernelINS0_14default_configENS1_21merge_config_selectorIfNS0_10empty_typeEEEZNS1_10merge_implIS3_N6thrust23THRUST_200600_302600_NS6detail15normal_iteratorINS9_10device_ptrIKfEEEESF_NSB_INSC_IfEEEEPS5_SI_SI_NS9_7greaterIfEEEE10hipError_tPvRmT0_T1_T2_T3_T4_T5_mmT6_P12ihipStream_tbEUlT_E0_NS1_11comp_targetILNS1_3genE4ELNS1_11target_archE910ELNS1_3gpuE8ELNS1_3repE0EEENS1_30default_config_static_selectorELNS0_4arch9wavefront6targetE1EEEvSP_,"axG",@progbits,_ZN7rocprim17ROCPRIM_400000_NS6detail17trampoline_kernelINS0_14default_configENS1_21merge_config_selectorIfNS0_10empty_typeEEEZNS1_10merge_implIS3_N6thrust23THRUST_200600_302600_NS6detail15normal_iteratorINS9_10device_ptrIKfEEEESF_NSB_INSC_IfEEEEPS5_SI_SI_NS9_7greaterIfEEEE10hipError_tPvRmT0_T1_T2_T3_T4_T5_mmT6_P12ihipStream_tbEUlT_E0_NS1_11comp_targetILNS1_3genE4ELNS1_11target_archE910ELNS1_3gpuE8ELNS1_3repE0EEENS1_30default_config_static_selectorELNS0_4arch9wavefront6targetE1EEEvSP_,comdat
	.protected	_ZN7rocprim17ROCPRIM_400000_NS6detail17trampoline_kernelINS0_14default_configENS1_21merge_config_selectorIfNS0_10empty_typeEEEZNS1_10merge_implIS3_N6thrust23THRUST_200600_302600_NS6detail15normal_iteratorINS9_10device_ptrIKfEEEESF_NSB_INSC_IfEEEEPS5_SI_SI_NS9_7greaterIfEEEE10hipError_tPvRmT0_T1_T2_T3_T4_T5_mmT6_P12ihipStream_tbEUlT_E0_NS1_11comp_targetILNS1_3genE4ELNS1_11target_archE910ELNS1_3gpuE8ELNS1_3repE0EEENS1_30default_config_static_selectorELNS0_4arch9wavefront6targetE1EEEvSP_ ; -- Begin function _ZN7rocprim17ROCPRIM_400000_NS6detail17trampoline_kernelINS0_14default_configENS1_21merge_config_selectorIfNS0_10empty_typeEEEZNS1_10merge_implIS3_N6thrust23THRUST_200600_302600_NS6detail15normal_iteratorINS9_10device_ptrIKfEEEESF_NSB_INSC_IfEEEEPS5_SI_SI_NS9_7greaterIfEEEE10hipError_tPvRmT0_T1_T2_T3_T4_T5_mmT6_P12ihipStream_tbEUlT_E0_NS1_11comp_targetILNS1_3genE4ELNS1_11target_archE910ELNS1_3gpuE8ELNS1_3repE0EEENS1_30default_config_static_selectorELNS0_4arch9wavefront6targetE1EEEvSP_
	.globl	_ZN7rocprim17ROCPRIM_400000_NS6detail17trampoline_kernelINS0_14default_configENS1_21merge_config_selectorIfNS0_10empty_typeEEEZNS1_10merge_implIS3_N6thrust23THRUST_200600_302600_NS6detail15normal_iteratorINS9_10device_ptrIKfEEEESF_NSB_INSC_IfEEEEPS5_SI_SI_NS9_7greaterIfEEEE10hipError_tPvRmT0_T1_T2_T3_T4_T5_mmT6_P12ihipStream_tbEUlT_E0_NS1_11comp_targetILNS1_3genE4ELNS1_11target_archE910ELNS1_3gpuE8ELNS1_3repE0EEENS1_30default_config_static_selectorELNS0_4arch9wavefront6targetE1EEEvSP_
	.p2align	8
	.type	_ZN7rocprim17ROCPRIM_400000_NS6detail17trampoline_kernelINS0_14default_configENS1_21merge_config_selectorIfNS0_10empty_typeEEEZNS1_10merge_implIS3_N6thrust23THRUST_200600_302600_NS6detail15normal_iteratorINS9_10device_ptrIKfEEEESF_NSB_INSC_IfEEEEPS5_SI_SI_NS9_7greaterIfEEEE10hipError_tPvRmT0_T1_T2_T3_T4_T5_mmT6_P12ihipStream_tbEUlT_E0_NS1_11comp_targetILNS1_3genE4ELNS1_11target_archE910ELNS1_3gpuE8ELNS1_3repE0EEENS1_30default_config_static_selectorELNS0_4arch9wavefront6targetE1EEEvSP_,@function
_ZN7rocprim17ROCPRIM_400000_NS6detail17trampoline_kernelINS0_14default_configENS1_21merge_config_selectorIfNS0_10empty_typeEEEZNS1_10merge_implIS3_N6thrust23THRUST_200600_302600_NS6detail15normal_iteratorINS9_10device_ptrIKfEEEESF_NSB_INSC_IfEEEEPS5_SI_SI_NS9_7greaterIfEEEE10hipError_tPvRmT0_T1_T2_T3_T4_T5_mmT6_P12ihipStream_tbEUlT_E0_NS1_11comp_targetILNS1_3genE4ELNS1_11target_archE910ELNS1_3gpuE8ELNS1_3repE0EEENS1_30default_config_static_selectorELNS0_4arch9wavefront6targetE1EEEvSP_: ; @_ZN7rocprim17ROCPRIM_400000_NS6detail17trampoline_kernelINS0_14default_configENS1_21merge_config_selectorIfNS0_10empty_typeEEEZNS1_10merge_implIS3_N6thrust23THRUST_200600_302600_NS6detail15normal_iteratorINS9_10device_ptrIKfEEEESF_NSB_INSC_IfEEEEPS5_SI_SI_NS9_7greaterIfEEEE10hipError_tPvRmT0_T1_T2_T3_T4_T5_mmT6_P12ihipStream_tbEUlT_E0_NS1_11comp_targetILNS1_3genE4ELNS1_11target_archE910ELNS1_3gpuE8ELNS1_3repE0EEENS1_30default_config_static_selectorELNS0_4arch9wavefront6targetE1EEEvSP_
; %bb.0:
	s_load_dwordx4 s[0:3], s[4:5], 0x40
	s_load_dwordx8 s[12:19], s[4:5], 0x8
	s_mul_i32 s20, s6, 0xa00
	s_mov_b32 s23, 0
	s_waitcnt lgkmcnt(0)
	s_mov_b32 s3, s23
	s_add_i32 s21, s2, s0
	s_add_i32 s0, s21, 0x9ff
	s_mul_hi_u32 s0, s0, 0xcccccccd
	s_lshr_b32 s0, s0, 11
	s_min_u32 s1, s6, s0
	s_lshl_b32 s1, s1, 2
	s_load_dword s22, s[12:13], s1 offset:0x0
	s_add_i32 s6, s6, 1
	s_min_u32 s0, s6, s0
	s_lshl_b32 s0, s0, 2
	s_load_dword s6, s[12:13], s0 offset:0x0
	s_add_i32 s0, s20, 0xa00
	s_min_u32 s7, s21, s0
	s_waitcnt lgkmcnt(0)
	s_sub_i32 s2, s20, s22
	s_lshl_b64 s[0:1], s[22:23], 2
	s_add_u32 s0, s14, s0
	s_addc_u32 s1, s15, s1
	s_lshl_b64 s[4:5], s[2:3], 2
	s_add_u32 s9, s16, s4
	s_addc_u32 s10, s17, s5
	s_add_i32 s2, s2, s6
	s_sub_i32 s22, s6, s22
	s_sub_i32 s8, s7, s2
	s_add_u32 s2, s8, s22
	s_addc_u32 s3, 0, 0
	v_mov_b32_e32 v1, 0
	v_cmp_le_u32_e32 vcc, s22, v0
	s_and_saveexec_b64 s[4:5], vcc
	s_xor_b64 s[4:5], exec, s[4:5]
	s_cbranch_execz .LBB490_4
; %bb.1:
	v_cmp_gt_u64_e32 vcc, s[2:3], v[0:1]
	s_and_saveexec_b64 s[6:7], vcc
	s_cbranch_execz .LBB490_3
; %bb.2:
	v_mov_b32_e32 v1, s23
	v_subrev_co_u32_e32 v2, vcc, s22, v0
	v_subb_co_u32_e32 v3, vcc, 0, v1, vcc
	v_lshlrev_b64 v[2:3], 2, v[2:3]
	v_mov_b32_e32 v1, s10
	v_add_co_u32_e32 v2, vcc, s9, v2
	v_addc_co_u32_e32 v3, vcc, v1, v3, vcc
	global_load_dword v1, v[2:3], off
	v_lshlrev_b32_e32 v2, 2, v0
	s_waitcnt vmcnt(0)
	ds_write_b32 v2, v1
.LBB490_3:
	s_or_b64 exec, exec, s[6:7]
.LBB490_4:
	s_or_saveexec_b64 s[4:5], s[4:5]
	v_lshlrev_b32_e32 v1, 2, v0
	s_xor_b64 exec, exec, s[4:5]
	s_cbranch_execz .LBB490_6
; %bb.5:
	global_load_dword v2, v1, s[0:1]
	s_waitcnt vmcnt(0)
	ds_write_b32 v1, v2
.LBB490_6:
	s_or_b64 exec, exec, s[4:5]
	v_or_b32_e32 v10, 0x100, v0
	v_mov_b32_e32 v11, 0
	v_cmp_le_u32_e32 vcc, s22, v10
	s_and_saveexec_b64 s[4:5], vcc
	s_xor_b64 s[4:5], exec, s[4:5]
	s_cbranch_execz .LBB490_10
; %bb.7:
	v_cmp_gt_u64_e32 vcc, s[2:3], v[10:11]
	s_and_saveexec_b64 s[6:7], vcc
	s_cbranch_execz .LBB490_9
; %bb.8:
	v_mov_b32_e32 v3, s23
	v_subrev_co_u32_e32 v2, vcc, s22, v0
	v_subb_co_u32_e32 v3, vcc, 0, v3, vcc
	v_lshlrev_b64 v[2:3], 2, v[2:3]
	v_mov_b32_e32 v4, s10
	v_add_co_u32_e32 v2, vcc, s9, v2
	v_addc_co_u32_e32 v3, vcc, v4, v3, vcc
	global_load_dword v2, v[2:3], off offset:1024
	s_waitcnt vmcnt(0)
	ds_write_b32 v1, v2 offset:1024
.LBB490_9:
	s_or_b64 exec, exec, s[6:7]
.LBB490_10:
	s_andn2_saveexec_b64 s[4:5], s[4:5]
	s_cbranch_execz .LBB490_12
; %bb.11:
	global_load_dword v2, v1, s[0:1] offset:1024
	s_waitcnt vmcnt(0)
	ds_write_b32 v1, v2 offset:1024
.LBB490_12:
	s_or_b64 exec, exec, s[4:5]
	v_or_b32_e32 v12, 0x200, v0
	v_mov_b32_e32 v13, 0
	v_cmp_le_u32_e32 vcc, s22, v12
	s_and_saveexec_b64 s[4:5], vcc
	s_xor_b64 s[4:5], exec, s[4:5]
	s_cbranch_execz .LBB490_16
; %bb.13:
	v_cmp_gt_u64_e32 vcc, s[2:3], v[12:13]
	s_and_saveexec_b64 s[6:7], vcc
	s_cbranch_execz .LBB490_15
; %bb.14:
	v_mov_b32_e32 v3, s23
	v_subrev_co_u32_e32 v2, vcc, s22, v0
	v_subb_co_u32_e32 v3, vcc, 0, v3, vcc
	v_lshlrev_b64 v[2:3], 2, v[2:3]
	v_mov_b32_e32 v4, s10
	v_add_co_u32_e32 v2, vcc, s9, v2
	v_addc_co_u32_e32 v3, vcc, v4, v3, vcc
	global_load_dword v2, v[2:3], off offset:2048
	s_waitcnt vmcnt(0)
	ds_write_b32 v1, v2 offset:2048
.LBB490_15:
	s_or_b64 exec, exec, s[6:7]
.LBB490_16:
	s_andn2_saveexec_b64 s[4:5], s[4:5]
	s_cbranch_execz .LBB490_18
; %bb.17:
	global_load_dword v2, v1, s[0:1] offset:2048
	s_waitcnt vmcnt(0)
	ds_write_b32 v1, v2 offset:2048
.LBB490_18:
	;; [unrolled: 32-line block ×3, first 2 shown]
	s_or_b64 exec, exec, s[4:5]
	v_or_b32_e32 v16, 0x400, v0
	v_mov_b32_e32 v17, 0
	v_cmp_le_u32_e32 vcc, s22, v16
	s_and_saveexec_b64 s[4:5], vcc
	s_xor_b64 s[4:5], exec, s[4:5]
	s_cbranch_execz .LBB490_28
; %bb.25:
	v_cmp_gt_u64_e32 vcc, s[2:3], v[16:17]
	s_and_saveexec_b64 s[6:7], vcc
	s_cbranch_execz .LBB490_27
; %bb.26:
	v_mov_b32_e32 v3, s23
	v_subrev_co_u32_e32 v2, vcc, s22, v16
	v_subb_co_u32_e32 v3, vcc, 0, v3, vcc
	v_lshlrev_b64 v[2:3], 2, v[2:3]
	v_mov_b32_e32 v4, s10
	v_add_co_u32_e32 v2, vcc, s9, v2
	v_addc_co_u32_e32 v3, vcc, v4, v3, vcc
	global_load_dword v2, v[2:3], off
	s_waitcnt vmcnt(0)
	ds_write_b32 v1, v2 offset:4096
.LBB490_27:
	s_or_b64 exec, exec, s[6:7]
.LBB490_28:
	s_andn2_saveexec_b64 s[4:5], s[4:5]
	s_cbranch_execz .LBB490_30
; %bb.29:
	v_lshlrev_b32_e32 v2, 2, v16
	global_load_dword v2, v2, s[0:1]
	s_waitcnt vmcnt(0)
	ds_write_b32 v1, v2 offset:4096
.LBB490_30:
	s_or_b64 exec, exec, s[4:5]
	v_or_b32_e32 v18, 0x500, v0
	v_mov_b32_e32 v19, 0
	v_cmp_le_u32_e32 vcc, s22, v18
	s_and_saveexec_b64 s[4:5], vcc
	s_xor_b64 s[4:5], exec, s[4:5]
	s_cbranch_execz .LBB490_34
; %bb.31:
	v_cmp_gt_u64_e32 vcc, s[2:3], v[18:19]
	s_and_saveexec_b64 s[6:7], vcc
	s_cbranch_execz .LBB490_33
; %bb.32:
	v_mov_b32_e32 v3, s23
	v_subrev_co_u32_e32 v2, vcc, s22, v18
	v_subb_co_u32_e32 v3, vcc, 0, v3, vcc
	v_lshlrev_b64 v[2:3], 2, v[2:3]
	v_mov_b32_e32 v4, s10
	v_add_co_u32_e32 v2, vcc, s9, v2
	v_addc_co_u32_e32 v3, vcc, v4, v3, vcc
	global_load_dword v2, v[2:3], off
	s_waitcnt vmcnt(0)
	ds_write_b32 v1, v2 offset:5120
.LBB490_33:
	s_or_b64 exec, exec, s[6:7]
.LBB490_34:
	s_andn2_saveexec_b64 s[4:5], s[4:5]
	s_cbranch_execz .LBB490_36
; %bb.35:
	v_lshlrev_b32_e32 v2, 2, v18
	global_load_dword v2, v2, s[0:1]
	s_waitcnt vmcnt(0)
	ds_write_b32 v1, v2 offset:5120
.LBB490_36:
	;; [unrolled: 33-line block ×6, first 2 shown]
	s_or_b64 exec, exec, s[2:3]
	v_mul_u32_u24_e32 v2, 10, v0
	v_sub_u32_e64 v13, v2, s8 clamp
	v_min_u32_e32 v3, s22, v2
	v_cmp_lt_u32_e32 vcc, v13, v3
	v_lshlrev_b32_e32 v11, 2, v2
	s_waitcnt lgkmcnt(0)
	s_barrier
	s_and_saveexec_b64 s[0:1], vcc
	s_cbranch_execz .LBB490_64
; %bb.61:
	v_lshl_add_u32 v4, s22, 2, v11
	s_mov_b64 s[2:3], 0
.LBB490_62:                             ; =>This Inner Loop Header: Depth=1
	v_add_u32_e32 v5, v3, v13
	v_lshrrev_b32_e32 v5, 1, v5
	v_not_b32_e32 v6, v5
	v_lshlrev_b32_e32 v7, 2, v5
	v_lshl_add_u32 v6, v6, 2, v4
	ds_read_b32 v7, v7
	ds_read_b32 v6, v6
	v_add_u32_e32 v8, 1, v5
	s_waitcnt lgkmcnt(0)
	v_cmp_gt_f32_e32 vcc, v6, v7
	v_cndmask_b32_e32 v3, v3, v5, vcc
	v_cndmask_b32_e32 v13, v8, v13, vcc
	v_cmp_ge_u32_e32 vcc, v13, v3
	s_or_b64 s[2:3], vcc, s[2:3]
	s_andn2_b64 exec, exec, s[2:3]
	s_cbranch_execnz .LBB490_62
; %bb.63:
	s_or_b64 exec, exec, s[2:3]
.LBB490_64:
	s_or_b64 exec, exec, s[0:1]
	v_add_u32_e32 v2, s22, v2
	s_add_i32 s23, s8, s22
	v_sub_u32_e32 v15, v2, v13
	v_cmp_ge_u32_e32 vcc, s22, v13
	v_cmp_ge_u32_e64 s[0:1], s23, v15
	s_or_b64 s[0:1], vcc, s[0:1]
                                        ; implicit-def: $vgpr31
                                        ; implicit-def: $vgpr33
                                        ; implicit-def: $vgpr29
	s_and_saveexec_b64 s[16:17], s[0:1]
                                        ; implicit-def: $vgpr6_vgpr7_vgpr8_vgpr9
                                        ; implicit-def: $vgpr2_vgpr3_vgpr4_vgpr5
	s_cbranch_execz .LBB490_70
; %bb.65:
	v_cmp_gt_u32_e32 vcc, s22, v13
                                        ; implicit-def: $vgpr2
	s_and_saveexec_b64 s[0:1], vcc
	s_cbranch_execz .LBB490_67
; %bb.66:
	v_lshlrev_b32_e32 v2, 2, v13
	ds_read_b32 v2, v2
.LBB490_67:
	s_or_b64 exec, exec, s[0:1]
	v_cmp_le_u32_e64 s[0:1], s23, v15
	v_cmp_gt_u32_e64 s[2:3], s23, v15
                                        ; implicit-def: $vgpr3
	s_and_saveexec_b64 s[4:5], s[2:3]
	s_cbranch_execz .LBB490_69
; %bb.68:
	v_lshlrev_b32_e32 v3, 2, v15
	ds_read_b32 v3, v3
.LBB490_69:
	s_or_b64 exec, exec, s[4:5]
	s_waitcnt lgkmcnt(0)
	v_cmp_ngt_f32_e64 s[2:3], v3, v2
	s_and_b64 s[2:3], vcc, s[2:3]
	s_or_b64 vcc, s[0:1], s[2:3]
	v_mov_b32_e32 v5, s23
	v_mov_b32_e32 v7, s22
	v_cndmask_b32_e32 v4, v15, v13, vcc
	v_cndmask_b32_e32 v6, v5, v7, vcc
	v_add_u32_e32 v4, 1, v4
	v_add_u32_e32 v6, -1, v6
	v_min_u32_e32 v6, v4, v6
	v_lshlrev_b32_e32 v6, 2, v6
	ds_read_b32 v6, v6
	v_cndmask_b32_e32 v9, v4, v15, vcc
	v_cndmask_b32_e32 v4, v13, v4, vcc
	v_cmp_gt_u32_e64 s[2:3], s22, v4
	v_cmp_le_u32_e64 s[0:1], s23, v9
	s_waitcnt lgkmcnt(0)
	v_cndmask_b32_e32 v8, v6, v3, vcc
	v_cndmask_b32_e32 v6, v2, v6, vcc
	v_cmp_ngt_f32_e64 s[4:5], v8, v6
	s_and_b64 s[2:3], s[2:3], s[4:5]
	s_or_b64 s[0:1], s[0:1], s[2:3]
	v_cndmask_b32_e64 v13, v9, v4, s[0:1]
	v_cndmask_b32_e64 v15, v5, v7, s[0:1]
	v_add_u32_e32 v13, 1, v13
	v_add_u32_e32 v15, -1, v15
	v_min_u32_e32 v15, v13, v15
	v_lshlrev_b32_e32 v15, 2, v15
	ds_read_b32 v15, v15
	v_cndmask_b32_e64 v4, v4, v13, s[0:1]
	v_cndmask_b32_e64 v9, v13, v9, s[0:1]
	v_cmp_gt_u32_e64 s[4:5], s22, v4
	v_cmp_le_u32_e64 s[2:3], s23, v9
	s_waitcnt lgkmcnt(0)
	v_cndmask_b32_e64 v17, v15, v8, s[0:1]
	v_cndmask_b32_e64 v15, v6, v15, s[0:1]
	v_cmp_ngt_f32_e64 s[6:7], v17, v15
	s_and_b64 s[4:5], s[4:5], s[6:7]
	s_or_b64 s[2:3], s[2:3], s[4:5]
	v_cndmask_b32_e64 v13, v9, v4, s[2:3]
	v_cndmask_b32_e64 v19, v5, v7, s[2:3]
	v_add_u32_e32 v13, 1, v13
	v_add_u32_e32 v19, -1, v19
	v_min_u32_e32 v19, v13, v19
	v_lshlrev_b32_e32 v19, 2, v19
	ds_read_b32 v19, v19
	v_cndmask_b32_e64 v4, v4, v13, s[2:3]
	v_cndmask_b32_e64 v9, v13, v9, s[2:3]
	v_cmp_gt_u32_e64 s[6:7], s22, v4
	v_cmp_le_u32_e64 s[4:5], s23, v9
	s_waitcnt lgkmcnt(0)
	v_cndmask_b32_e64 v21, v19, v17, s[2:3]
	v_cndmask_b32_e64 v19, v15, v19, s[2:3]
	v_cmp_ngt_f32_e64 s[8:9], v21, v19
	s_and_b64 s[6:7], s[6:7], s[8:9]
	s_or_b64 s[4:5], s[4:5], s[6:7]
	v_cndmask_b32_e64 v13, v9, v4, s[4:5]
	v_cndmask_b32_e64 v23, v5, v7, s[4:5]
	v_add_u32_e32 v13, 1, v13
	v_add_u32_e32 v23, -1, v23
	v_min_u32_e32 v23, v13, v23
	v_lshlrev_b32_e32 v23, 2, v23
	ds_read_b32 v23, v23
	v_cndmask_b32_e64 v4, v4, v13, s[4:5]
	v_cndmask_b32_e64 v9, v13, v9, s[4:5]
	v_cmp_gt_u32_e64 s[8:9], s22, v4
	v_cmp_le_u32_e64 s[6:7], s23, v9
	s_waitcnt lgkmcnt(0)
	v_cndmask_b32_e64 v25, v23, v21, s[4:5]
	v_cndmask_b32_e64 v23, v19, v23, s[4:5]
	v_cmp_ngt_f32_e64 s[10:11], v25, v23
	s_and_b64 s[8:9], s[8:9], s[10:11]
	s_or_b64 s[6:7], s[6:7], s[8:9]
	v_cndmask_b32_e64 v13, v9, v4, s[6:7]
	v_cndmask_b32_e64 v27, v5, v7, s[6:7]
	v_add_u32_e32 v13, 1, v13
	v_add_u32_e32 v27, -1, v27
	v_min_u32_e32 v27, v13, v27
	v_lshlrev_b32_e32 v27, 2, v27
	ds_read_b32 v27, v27
	v_cndmask_b32_e64 v4, v4, v13, s[6:7]
	v_cndmask_b32_e64 v9, v13, v9, s[6:7]
	v_cmp_gt_u32_e64 s[10:11], s22, v4
	v_cmp_le_u32_e64 s[8:9], s23, v9
	s_waitcnt lgkmcnt(0)
	v_cndmask_b32_e64 v30, v27, v25, s[6:7]
	v_cndmask_b32_e64 v27, v23, v27, s[6:7]
	v_cmp_ngt_f32_e64 s[12:13], v30, v27
	s_and_b64 s[10:11], s[10:11], s[12:13]
	s_or_b64 s[8:9], s[8:9], s[10:11]
	v_cndmask_b32_e64 v13, v9, v4, s[8:9]
	v_cndmask_b32_e64 v28, v5, v7, s[8:9]
	v_add_u32_e32 v13, 1, v13
	v_add_u32_e32 v28, -1, v28
	v_min_u32_e32 v28, v13, v28
	v_lshlrev_b32_e32 v28, 2, v28
	ds_read_b32 v28, v28
	v_cndmask_b32_e64 v4, v4, v13, s[8:9]
	v_cndmask_b32_e64 v9, v13, v9, s[8:9]
	v_cmp_gt_u32_e64 s[12:13], s22, v4
	v_cmp_le_u32_e64 s[10:11], s23, v9
	s_waitcnt lgkmcnt(0)
	v_cndmask_b32_e64 v31, v28, v30, s[8:9]
	v_cndmask_b32_e64 v32, v27, v28, s[8:9]
	v_cmp_ngt_f32_e64 s[14:15], v31, v32
	s_and_b64 s[12:13], s[12:13], s[14:15]
	s_or_b64 s[10:11], s[10:11], s[12:13]
	v_cndmask_b32_e64 v13, v9, v4, s[10:11]
	v_cndmask_b32_e64 v28, v5, v7, s[10:11]
	v_add_u32_e32 v13, 1, v13
	v_add_u32_e32 v28, -1, v28
	v_min_u32_e32 v28, v13, v28
	v_lshlrev_b32_e32 v28, 2, v28
	ds_read_b32 v28, v28
	v_cndmask_b32_e64 v4, v4, v13, s[10:11]
	v_cndmask_b32_e64 v9, v13, v9, s[10:11]
	v_cmp_gt_u32_e64 s[12:13], s22, v4
	v_cndmask_b32_e32 v2, v3, v2, vcc
	s_waitcnt lgkmcnt(0)
	v_cndmask_b32_e64 v33, v28, v31, s[10:11]
	v_cndmask_b32_e64 v34, v32, v28, s[10:11]
	v_cmp_ngt_f32_e64 s[14:15], v33, v34
	v_cmp_le_u32_e32 vcc, s23, v9
	s_and_b64 s[12:13], s[12:13], s[14:15]
	s_or_b64 vcc, vcc, s[12:13]
	v_cndmask_b32_e32 v3, v9, v4, vcc
	v_cndmask_b32_e32 v13, v5, v7, vcc
	v_add_u32_e32 v35, 1, v3
	v_add_u32_e32 v3, -1, v13
	v_min_u32_e32 v3, v35, v3
	v_lshlrev_b32_e32 v3, 2, v3
	ds_read_b32 v13, v3
	v_cndmask_b32_e64 v3, v8, v6, s[0:1]
	v_cndmask_b32_e32 v4, v4, v35, vcc
	v_cndmask_b32_e64 v28, v17, v15, s[2:3]
	v_cndmask_b32_e64 v29, v21, v19, s[4:5]
	s_waitcnt lgkmcnt(0)
	v_cndmask_b32_e32 v8, v13, v33, vcc
	v_cndmask_b32_e32 v13, v34, v13, vcc
	;; [unrolled: 1-line block ×3, first 2 shown]
	v_cmp_gt_u32_e64 s[2:3], s22, v4
	v_cmp_ngt_f32_e64 s[4:5], v8, v13
	v_cmp_le_u32_e64 s[0:1], s23, v9
	s_and_b64 s[2:3], s[2:3], s[4:5]
	s_or_b64 s[0:1], s[0:1], s[2:3]
	v_cndmask_b32_e64 v15, v9, v4, s[0:1]
	v_cndmask_b32_e64 v5, v5, v7, s[0:1]
	v_add_u32_e32 v15, 1, v15
	v_add_u32_e32 v5, -1, v5
	v_min_u32_e32 v5, v15, v5
	v_lshlrev_b32_e32 v5, 2, v5
	ds_read_b32 v5, v5
	v_cndmask_b32_e64 v7, v30, v27, s[8:9]
	v_cndmask_b32_e64 v30, v8, v13, s[0:1]
	;; [unrolled: 1-line block ×4, first 2 shown]
	s_waitcnt lgkmcnt(0)
	v_cndmask_b32_e64 v8, v5, v8, s[0:1]
	v_cndmask_b32_e64 v5, v13, v5, s[0:1]
	v_cmp_gt_u32_e64 s[0:1], s22, v4
	v_cmp_ngt_f32_e64 s[2:3], v8, v5
	v_cndmask_b32_e32 v33, v33, v34, vcc
	v_cmp_le_u32_e32 vcc, s23, v9
	s_and_b64 s[0:1], s[0:1], s[2:3]
	s_or_b64 vcc, vcc, s[0:1]
	v_cndmask_b32_e64 v6, v25, v23, s[6:7]
	v_cndmask_b32_e64 v32, v31, v32, s[10:11]
	v_cndmask_b32_e32 v31, v8, v5, vcc
.LBB490_70:
	s_or_b64 exec, exec, s[16:17]
	s_sub_i32 s6, s21, s20
	s_mov_b32 s21, 0
	s_lshl_b64 s[0:1], s[20:21], 2
	s_add_u32 s0, s18, s0
	s_addc_u32 s1, s19, s1
	s_cmpk_gt_u32 s6, 0x9ff
	s_barrier
	ds_write2_b64 v11, v[2:3], v[28:29] offset1:1
	ds_write2_b64 v11, v[6:7], v[32:33] offset0:2 offset1:3
	ds_write_b64 v11, v[30:31] offset:32
	s_waitcnt lgkmcnt(0)
	s_cbranch_scc0 .LBB490_72
; %bb.71:
	s_movk_i32 s2, 0xffdc
	v_mad_i32_i24 v2, v0, s2, v11
	s_barrier
	ds_read2st64_b32 v[4:5], v2 offset1:4
	ds_read2st64_b32 v[6:7], v2 offset0:8 offset1:12
	ds_read2st64_b32 v[8:9], v2 offset0:16 offset1:20
	;; [unrolled: 1-line block ×4, first 2 shown]
	v_mov_b32_e32 v13, s1
	v_add_co_u32_e32 v15, vcc, s0, v1
	v_addc_co_u32_e32 v13, vcc, 0, v13, vcc
	s_movk_i32 s2, 0x1000
	s_waitcnt lgkmcnt(4)
	global_store_dword v1, v4, s[0:1]
	global_store_dword v1, v5, s[0:1] offset:1024
	s_waitcnt lgkmcnt(3)
	global_store_dword v1, v6, s[0:1] offset:2048
	global_store_dword v1, v7, s[0:1] offset:3072
	v_add_co_u32_e32 v4, vcc, s2, v15
	v_addc_co_u32_e32 v5, vcc, 0, v13, vcc
	s_waitcnt lgkmcnt(2)
	global_store_dword v[4:5], v8, off
	global_store_dword v[4:5], v9, off offset:1024
	s_waitcnt lgkmcnt(1)
	global_store_dword v[4:5], v28, off offset:2048
	global_store_dword v[4:5], v29, off offset:3072
	v_add_co_u32_e32 v4, vcc, 0x2000, v15
	v_addc_co_u32_e32 v5, vcc, 0, v13, vcc
	s_waitcnt lgkmcnt(0)
	global_store_dword v[4:5], v2, off
	s_mov_b64 s[2:3], -1
	s_cbranch_execz .LBB490_73
	s_branch .LBB490_84
.LBB490_72:
	s_mov_b64 s[2:3], 0
                                        ; implicit-def: $vgpr3
.LBB490_73:
	s_movk_i32 s2, 0xffdc
	v_mad_i32_i24 v2, v0, s2, v11
	s_barrier
	ds_read2st64_b32 v[30:31], v2 offset0:4 offset1:8
	ds_read2st64_b32 v[28:29], v2 offset0:12 offset1:16
	;; [unrolled: 1-line block ×4, first 2 shown]
	ds_read_b32 v3, v2 offset:9216
	v_mov_b32_e32 v2, s1
	v_add_co_u32_e32 v6, vcc, s0, v1
	v_addc_co_u32_e32 v7, vcc, 0, v2, vcc
	v_cmp_gt_u32_e32 vcc, s6, v0
	s_and_saveexec_b64 s[2:3], vcc
	s_cbranch_execnz .LBB490_87
; %bb.74:
	s_or_b64 exec, exec, s[2:3]
	v_cmp_gt_u32_e32 vcc, s6, v10
	s_and_saveexec_b64 s[2:3], vcc
	s_cbranch_execnz .LBB490_88
.LBB490_75:
	s_or_b64 exec, exec, s[2:3]
	v_cmp_gt_u32_e32 vcc, s6, v12
	s_and_saveexec_b64 s[2:3], vcc
	s_cbranch_execnz .LBB490_89
.LBB490_76:
	s_or_b64 exec, exec, s[2:3]
	v_cmp_gt_u32_e32 vcc, s6, v14
	s_and_saveexec_b64 s[2:3], vcc
	s_cbranch_execnz .LBB490_90
.LBB490_77:
	s_or_b64 exec, exec, s[2:3]
	v_cmp_gt_u32_e32 vcc, s6, v16
	s_and_saveexec_b64 s[2:3], vcc
	s_cbranch_execnz .LBB490_91
.LBB490_78:
	s_or_b64 exec, exec, s[2:3]
	v_cmp_gt_u32_e32 vcc, s6, v18
	s_and_saveexec_b64 s[2:3], vcc
	s_cbranch_execnz .LBB490_92
.LBB490_79:
	s_or_b64 exec, exec, s[2:3]
	v_cmp_gt_u32_e32 vcc, s6, v20
	s_and_saveexec_b64 s[2:3], vcc
	s_cbranch_execnz .LBB490_93
.LBB490_80:
	s_or_b64 exec, exec, s[2:3]
	v_cmp_gt_u32_e32 vcc, s6, v22
	s_and_saveexec_b64 s[2:3], vcc
	s_cbranch_execnz .LBB490_94
.LBB490_81:
	s_or_b64 exec, exec, s[2:3]
	v_cmp_gt_u32_e32 vcc, s6, v24
	s_and_saveexec_b64 s[2:3], vcc
	s_cbranch_execz .LBB490_83
.LBB490_82:
	v_add_co_u32_e32 v6, vcc, 0x2000, v6
	v_addc_co_u32_e32 v7, vcc, 0, v7, vcc
	s_waitcnt lgkmcnt(1)
	global_store_dword v[6:7], v5, off
.LBB490_83:
	s_or_b64 exec, exec, s[2:3]
	v_cmp_gt_u32_e64 s[2:3], s6, v26
.LBB490_84:
	s_and_saveexec_b64 s[4:5], s[2:3]
	s_cbranch_execnz .LBB490_86
; %bb.85:
	s_endpgm
.LBB490_86:
	v_mov_b32_e32 v0, s1
	v_add_co_u32_e32 v1, vcc, s0, v1
	v_addc_co_u32_e32 v2, vcc, 0, v0, vcc
	v_add_co_u32_e32 v0, vcc, 0x2000, v1
	v_addc_co_u32_e32 v1, vcc, 0, v2, vcc
	s_waitcnt lgkmcnt(0)
	global_store_dword v[0:1], v3, off offset:1024
	s_endpgm
.LBB490_87:
	v_mul_i32_i24_e32 v0, 0xffffffdc, v0
	v_add_u32_e32 v0, v11, v0
	ds_read_b32 v0, v0
	s_waitcnt lgkmcnt(0)
	global_store_dword v[6:7], v0, off
	s_or_b64 exec, exec, s[2:3]
	v_cmp_gt_u32_e32 vcc, s6, v10
	s_and_saveexec_b64 s[2:3], vcc
	s_cbranch_execz .LBB490_75
.LBB490_88:
	s_waitcnt lgkmcnt(4)
	global_store_dword v[6:7], v30, off offset:1024
	s_or_b64 exec, exec, s[2:3]
	v_cmp_gt_u32_e32 vcc, s6, v12
	s_and_saveexec_b64 s[2:3], vcc
	s_cbranch_execz .LBB490_76
.LBB490_89:
	s_waitcnt lgkmcnt(4)
	global_store_dword v[6:7], v31, off offset:2048
	s_or_b64 exec, exec, s[2:3]
	v_cmp_gt_u32_e32 vcc, s6, v14
	s_and_saveexec_b64 s[2:3], vcc
	s_cbranch_execz .LBB490_77
.LBB490_90:
	s_waitcnt lgkmcnt(3)
	global_store_dword v[6:7], v28, off offset:3072
	s_or_b64 exec, exec, s[2:3]
	v_cmp_gt_u32_e32 vcc, s6, v16
	s_and_saveexec_b64 s[2:3], vcc
	s_cbranch_execz .LBB490_78
.LBB490_91:
	v_add_co_u32_e32 v10, vcc, 0x1000, v6
	v_addc_co_u32_e32 v11, vcc, 0, v7, vcc
	s_waitcnt lgkmcnt(3)
	global_store_dword v[10:11], v29, off
	s_or_b64 exec, exec, s[2:3]
	v_cmp_gt_u32_e32 vcc, s6, v18
	s_and_saveexec_b64 s[2:3], vcc
	s_cbranch_execz .LBB490_79
.LBB490_92:
	v_add_co_u32_e32 v10, vcc, 0x1000, v6
	v_addc_co_u32_e32 v11, vcc, 0, v7, vcc
	s_waitcnt lgkmcnt(2)
	global_store_dword v[10:11], v8, off offset:1024
	s_or_b64 exec, exec, s[2:3]
	v_cmp_gt_u32_e32 vcc, s6, v20
	s_and_saveexec_b64 s[2:3], vcc
	s_cbranch_execz .LBB490_80
.LBB490_93:
	v_add_co_u32_e32 v10, vcc, 0x1000, v6
	v_addc_co_u32_e32 v11, vcc, 0, v7, vcc
	s_waitcnt lgkmcnt(2)
	global_store_dword v[10:11], v9, off offset:2048
	s_or_b64 exec, exec, s[2:3]
	v_cmp_gt_u32_e32 vcc, s6, v22
	s_and_saveexec_b64 s[2:3], vcc
	s_cbranch_execz .LBB490_81
.LBB490_94:
	s_waitcnt lgkmcnt(2)
	v_add_co_u32_e32 v8, vcc, 0x1000, v6
	v_addc_co_u32_e32 v9, vcc, 0, v7, vcc
	s_waitcnt lgkmcnt(1)
	global_store_dword v[8:9], v4, off offset:3072
	s_or_b64 exec, exec, s[2:3]
	v_cmp_gt_u32_e32 vcc, s6, v24
	s_and_saveexec_b64 s[2:3], vcc
	s_cbranch_execnz .LBB490_82
	s_branch .LBB490_83
	.section	.rodata,"a",@progbits
	.p2align	6, 0x0
	.amdhsa_kernel _ZN7rocprim17ROCPRIM_400000_NS6detail17trampoline_kernelINS0_14default_configENS1_21merge_config_selectorIfNS0_10empty_typeEEEZNS1_10merge_implIS3_N6thrust23THRUST_200600_302600_NS6detail15normal_iteratorINS9_10device_ptrIKfEEEESF_NSB_INSC_IfEEEEPS5_SI_SI_NS9_7greaterIfEEEE10hipError_tPvRmT0_T1_T2_T3_T4_T5_mmT6_P12ihipStream_tbEUlT_E0_NS1_11comp_targetILNS1_3genE4ELNS1_11target_archE910ELNS1_3gpuE8ELNS1_3repE0EEENS1_30default_config_static_selectorELNS0_4arch9wavefront6targetE1EEEvSP_
		.amdhsa_group_segment_fixed_size 10256
		.amdhsa_private_segment_fixed_size 0
		.amdhsa_kernarg_size 88
		.amdhsa_user_sgpr_count 6
		.amdhsa_user_sgpr_private_segment_buffer 1
		.amdhsa_user_sgpr_dispatch_ptr 0
		.amdhsa_user_sgpr_queue_ptr 0
		.amdhsa_user_sgpr_kernarg_segment_ptr 1
		.amdhsa_user_sgpr_dispatch_id 0
		.amdhsa_user_sgpr_flat_scratch_init 0
		.amdhsa_user_sgpr_kernarg_preload_length 0
		.amdhsa_user_sgpr_kernarg_preload_offset 0
		.amdhsa_user_sgpr_private_segment_size 0
		.amdhsa_uses_dynamic_stack 0
		.amdhsa_system_sgpr_private_segment_wavefront_offset 0
		.amdhsa_system_sgpr_workgroup_id_x 1
		.amdhsa_system_sgpr_workgroup_id_y 0
		.amdhsa_system_sgpr_workgroup_id_z 0
		.amdhsa_system_sgpr_workgroup_info 0
		.amdhsa_system_vgpr_workitem_id 0
		.amdhsa_next_free_vgpr 36
		.amdhsa_next_free_sgpr 24
		.amdhsa_accum_offset 36
		.amdhsa_reserve_vcc 1
		.amdhsa_reserve_flat_scratch 0
		.amdhsa_float_round_mode_32 0
		.amdhsa_float_round_mode_16_64 0
		.amdhsa_float_denorm_mode_32 3
		.amdhsa_float_denorm_mode_16_64 3
		.amdhsa_dx10_clamp 1
		.amdhsa_ieee_mode 1
		.amdhsa_fp16_overflow 0
		.amdhsa_tg_split 0
		.amdhsa_exception_fp_ieee_invalid_op 0
		.amdhsa_exception_fp_denorm_src 0
		.amdhsa_exception_fp_ieee_div_zero 0
		.amdhsa_exception_fp_ieee_overflow 0
		.amdhsa_exception_fp_ieee_underflow 0
		.amdhsa_exception_fp_ieee_inexact 0
		.amdhsa_exception_int_div_zero 0
	.end_amdhsa_kernel
	.section	.text._ZN7rocprim17ROCPRIM_400000_NS6detail17trampoline_kernelINS0_14default_configENS1_21merge_config_selectorIfNS0_10empty_typeEEEZNS1_10merge_implIS3_N6thrust23THRUST_200600_302600_NS6detail15normal_iteratorINS9_10device_ptrIKfEEEESF_NSB_INSC_IfEEEEPS5_SI_SI_NS9_7greaterIfEEEE10hipError_tPvRmT0_T1_T2_T3_T4_T5_mmT6_P12ihipStream_tbEUlT_E0_NS1_11comp_targetILNS1_3genE4ELNS1_11target_archE910ELNS1_3gpuE8ELNS1_3repE0EEENS1_30default_config_static_selectorELNS0_4arch9wavefront6targetE1EEEvSP_,"axG",@progbits,_ZN7rocprim17ROCPRIM_400000_NS6detail17trampoline_kernelINS0_14default_configENS1_21merge_config_selectorIfNS0_10empty_typeEEEZNS1_10merge_implIS3_N6thrust23THRUST_200600_302600_NS6detail15normal_iteratorINS9_10device_ptrIKfEEEESF_NSB_INSC_IfEEEEPS5_SI_SI_NS9_7greaterIfEEEE10hipError_tPvRmT0_T1_T2_T3_T4_T5_mmT6_P12ihipStream_tbEUlT_E0_NS1_11comp_targetILNS1_3genE4ELNS1_11target_archE910ELNS1_3gpuE8ELNS1_3repE0EEENS1_30default_config_static_selectorELNS0_4arch9wavefront6targetE1EEEvSP_,comdat
.Lfunc_end490:
	.size	_ZN7rocprim17ROCPRIM_400000_NS6detail17trampoline_kernelINS0_14default_configENS1_21merge_config_selectorIfNS0_10empty_typeEEEZNS1_10merge_implIS3_N6thrust23THRUST_200600_302600_NS6detail15normal_iteratorINS9_10device_ptrIKfEEEESF_NSB_INSC_IfEEEEPS5_SI_SI_NS9_7greaterIfEEEE10hipError_tPvRmT0_T1_T2_T3_T4_T5_mmT6_P12ihipStream_tbEUlT_E0_NS1_11comp_targetILNS1_3genE4ELNS1_11target_archE910ELNS1_3gpuE8ELNS1_3repE0EEENS1_30default_config_static_selectorELNS0_4arch9wavefront6targetE1EEEvSP_, .Lfunc_end490-_ZN7rocprim17ROCPRIM_400000_NS6detail17trampoline_kernelINS0_14default_configENS1_21merge_config_selectorIfNS0_10empty_typeEEEZNS1_10merge_implIS3_N6thrust23THRUST_200600_302600_NS6detail15normal_iteratorINS9_10device_ptrIKfEEEESF_NSB_INSC_IfEEEEPS5_SI_SI_NS9_7greaterIfEEEE10hipError_tPvRmT0_T1_T2_T3_T4_T5_mmT6_P12ihipStream_tbEUlT_E0_NS1_11comp_targetILNS1_3genE4ELNS1_11target_archE910ELNS1_3gpuE8ELNS1_3repE0EEENS1_30default_config_static_selectorELNS0_4arch9wavefront6targetE1EEEvSP_
                                        ; -- End function
	.section	.AMDGPU.csdata,"",@progbits
; Kernel info:
; codeLenInByte = 3580
; NumSgprs: 28
; NumVgprs: 36
; NumAgprs: 0
; TotalNumVgprs: 36
; ScratchSize: 0
; MemoryBound: 0
; FloatMode: 240
; IeeeMode: 1
; LDSByteSize: 10256 bytes/workgroup (compile time only)
; SGPRBlocks: 3
; VGPRBlocks: 4
; NumSGPRsForWavesPerEU: 28
; NumVGPRsForWavesPerEU: 36
; AccumOffset: 36
; Occupancy: 6
; WaveLimiterHint : 1
; COMPUTE_PGM_RSRC2:SCRATCH_EN: 0
; COMPUTE_PGM_RSRC2:USER_SGPR: 6
; COMPUTE_PGM_RSRC2:TRAP_HANDLER: 0
; COMPUTE_PGM_RSRC2:TGID_X_EN: 1
; COMPUTE_PGM_RSRC2:TGID_Y_EN: 0
; COMPUTE_PGM_RSRC2:TGID_Z_EN: 0
; COMPUTE_PGM_RSRC2:TIDIG_COMP_CNT: 0
; COMPUTE_PGM_RSRC3_GFX90A:ACCUM_OFFSET: 8
; COMPUTE_PGM_RSRC3_GFX90A:TG_SPLIT: 0
	.section	.text._ZN7rocprim17ROCPRIM_400000_NS6detail17trampoline_kernelINS0_14default_configENS1_21merge_config_selectorIfNS0_10empty_typeEEEZNS1_10merge_implIS3_N6thrust23THRUST_200600_302600_NS6detail15normal_iteratorINS9_10device_ptrIKfEEEESF_NSB_INSC_IfEEEEPS5_SI_SI_NS9_7greaterIfEEEE10hipError_tPvRmT0_T1_T2_T3_T4_T5_mmT6_P12ihipStream_tbEUlT_E0_NS1_11comp_targetILNS1_3genE3ELNS1_11target_archE908ELNS1_3gpuE7ELNS1_3repE0EEENS1_30default_config_static_selectorELNS0_4arch9wavefront6targetE1EEEvSP_,"axG",@progbits,_ZN7rocprim17ROCPRIM_400000_NS6detail17trampoline_kernelINS0_14default_configENS1_21merge_config_selectorIfNS0_10empty_typeEEEZNS1_10merge_implIS3_N6thrust23THRUST_200600_302600_NS6detail15normal_iteratorINS9_10device_ptrIKfEEEESF_NSB_INSC_IfEEEEPS5_SI_SI_NS9_7greaterIfEEEE10hipError_tPvRmT0_T1_T2_T3_T4_T5_mmT6_P12ihipStream_tbEUlT_E0_NS1_11comp_targetILNS1_3genE3ELNS1_11target_archE908ELNS1_3gpuE7ELNS1_3repE0EEENS1_30default_config_static_selectorELNS0_4arch9wavefront6targetE1EEEvSP_,comdat
	.protected	_ZN7rocprim17ROCPRIM_400000_NS6detail17trampoline_kernelINS0_14default_configENS1_21merge_config_selectorIfNS0_10empty_typeEEEZNS1_10merge_implIS3_N6thrust23THRUST_200600_302600_NS6detail15normal_iteratorINS9_10device_ptrIKfEEEESF_NSB_INSC_IfEEEEPS5_SI_SI_NS9_7greaterIfEEEE10hipError_tPvRmT0_T1_T2_T3_T4_T5_mmT6_P12ihipStream_tbEUlT_E0_NS1_11comp_targetILNS1_3genE3ELNS1_11target_archE908ELNS1_3gpuE7ELNS1_3repE0EEENS1_30default_config_static_selectorELNS0_4arch9wavefront6targetE1EEEvSP_ ; -- Begin function _ZN7rocprim17ROCPRIM_400000_NS6detail17trampoline_kernelINS0_14default_configENS1_21merge_config_selectorIfNS0_10empty_typeEEEZNS1_10merge_implIS3_N6thrust23THRUST_200600_302600_NS6detail15normal_iteratorINS9_10device_ptrIKfEEEESF_NSB_INSC_IfEEEEPS5_SI_SI_NS9_7greaterIfEEEE10hipError_tPvRmT0_T1_T2_T3_T4_T5_mmT6_P12ihipStream_tbEUlT_E0_NS1_11comp_targetILNS1_3genE3ELNS1_11target_archE908ELNS1_3gpuE7ELNS1_3repE0EEENS1_30default_config_static_selectorELNS0_4arch9wavefront6targetE1EEEvSP_
	.globl	_ZN7rocprim17ROCPRIM_400000_NS6detail17trampoline_kernelINS0_14default_configENS1_21merge_config_selectorIfNS0_10empty_typeEEEZNS1_10merge_implIS3_N6thrust23THRUST_200600_302600_NS6detail15normal_iteratorINS9_10device_ptrIKfEEEESF_NSB_INSC_IfEEEEPS5_SI_SI_NS9_7greaterIfEEEE10hipError_tPvRmT0_T1_T2_T3_T4_T5_mmT6_P12ihipStream_tbEUlT_E0_NS1_11comp_targetILNS1_3genE3ELNS1_11target_archE908ELNS1_3gpuE7ELNS1_3repE0EEENS1_30default_config_static_selectorELNS0_4arch9wavefront6targetE1EEEvSP_
	.p2align	8
	.type	_ZN7rocprim17ROCPRIM_400000_NS6detail17trampoline_kernelINS0_14default_configENS1_21merge_config_selectorIfNS0_10empty_typeEEEZNS1_10merge_implIS3_N6thrust23THRUST_200600_302600_NS6detail15normal_iteratorINS9_10device_ptrIKfEEEESF_NSB_INSC_IfEEEEPS5_SI_SI_NS9_7greaterIfEEEE10hipError_tPvRmT0_T1_T2_T3_T4_T5_mmT6_P12ihipStream_tbEUlT_E0_NS1_11comp_targetILNS1_3genE3ELNS1_11target_archE908ELNS1_3gpuE7ELNS1_3repE0EEENS1_30default_config_static_selectorELNS0_4arch9wavefront6targetE1EEEvSP_,@function
_ZN7rocprim17ROCPRIM_400000_NS6detail17trampoline_kernelINS0_14default_configENS1_21merge_config_selectorIfNS0_10empty_typeEEEZNS1_10merge_implIS3_N6thrust23THRUST_200600_302600_NS6detail15normal_iteratorINS9_10device_ptrIKfEEEESF_NSB_INSC_IfEEEEPS5_SI_SI_NS9_7greaterIfEEEE10hipError_tPvRmT0_T1_T2_T3_T4_T5_mmT6_P12ihipStream_tbEUlT_E0_NS1_11comp_targetILNS1_3genE3ELNS1_11target_archE908ELNS1_3gpuE7ELNS1_3repE0EEENS1_30default_config_static_selectorELNS0_4arch9wavefront6targetE1EEEvSP_: ; @_ZN7rocprim17ROCPRIM_400000_NS6detail17trampoline_kernelINS0_14default_configENS1_21merge_config_selectorIfNS0_10empty_typeEEEZNS1_10merge_implIS3_N6thrust23THRUST_200600_302600_NS6detail15normal_iteratorINS9_10device_ptrIKfEEEESF_NSB_INSC_IfEEEEPS5_SI_SI_NS9_7greaterIfEEEE10hipError_tPvRmT0_T1_T2_T3_T4_T5_mmT6_P12ihipStream_tbEUlT_E0_NS1_11comp_targetILNS1_3genE3ELNS1_11target_archE908ELNS1_3gpuE7ELNS1_3repE0EEENS1_30default_config_static_selectorELNS0_4arch9wavefront6targetE1EEEvSP_
; %bb.0:
	.section	.rodata,"a",@progbits
	.p2align	6, 0x0
	.amdhsa_kernel _ZN7rocprim17ROCPRIM_400000_NS6detail17trampoline_kernelINS0_14default_configENS1_21merge_config_selectorIfNS0_10empty_typeEEEZNS1_10merge_implIS3_N6thrust23THRUST_200600_302600_NS6detail15normal_iteratorINS9_10device_ptrIKfEEEESF_NSB_INSC_IfEEEEPS5_SI_SI_NS9_7greaterIfEEEE10hipError_tPvRmT0_T1_T2_T3_T4_T5_mmT6_P12ihipStream_tbEUlT_E0_NS1_11comp_targetILNS1_3genE3ELNS1_11target_archE908ELNS1_3gpuE7ELNS1_3repE0EEENS1_30default_config_static_selectorELNS0_4arch9wavefront6targetE1EEEvSP_
		.amdhsa_group_segment_fixed_size 0
		.amdhsa_private_segment_fixed_size 0
		.amdhsa_kernarg_size 88
		.amdhsa_user_sgpr_count 6
		.amdhsa_user_sgpr_private_segment_buffer 1
		.amdhsa_user_sgpr_dispatch_ptr 0
		.amdhsa_user_sgpr_queue_ptr 0
		.amdhsa_user_sgpr_kernarg_segment_ptr 1
		.amdhsa_user_sgpr_dispatch_id 0
		.amdhsa_user_sgpr_flat_scratch_init 0
		.amdhsa_user_sgpr_kernarg_preload_length 0
		.amdhsa_user_sgpr_kernarg_preload_offset 0
		.amdhsa_user_sgpr_private_segment_size 0
		.amdhsa_uses_dynamic_stack 0
		.amdhsa_system_sgpr_private_segment_wavefront_offset 0
		.amdhsa_system_sgpr_workgroup_id_x 1
		.amdhsa_system_sgpr_workgroup_id_y 0
		.amdhsa_system_sgpr_workgroup_id_z 0
		.amdhsa_system_sgpr_workgroup_info 0
		.amdhsa_system_vgpr_workitem_id 0
		.amdhsa_next_free_vgpr 1
		.amdhsa_next_free_sgpr 0
		.amdhsa_accum_offset 4
		.amdhsa_reserve_vcc 0
		.amdhsa_reserve_flat_scratch 0
		.amdhsa_float_round_mode_32 0
		.amdhsa_float_round_mode_16_64 0
		.amdhsa_float_denorm_mode_32 3
		.amdhsa_float_denorm_mode_16_64 3
		.amdhsa_dx10_clamp 1
		.amdhsa_ieee_mode 1
		.amdhsa_fp16_overflow 0
		.amdhsa_tg_split 0
		.amdhsa_exception_fp_ieee_invalid_op 0
		.amdhsa_exception_fp_denorm_src 0
		.amdhsa_exception_fp_ieee_div_zero 0
		.amdhsa_exception_fp_ieee_overflow 0
		.amdhsa_exception_fp_ieee_underflow 0
		.amdhsa_exception_fp_ieee_inexact 0
		.amdhsa_exception_int_div_zero 0
	.end_amdhsa_kernel
	.section	.text._ZN7rocprim17ROCPRIM_400000_NS6detail17trampoline_kernelINS0_14default_configENS1_21merge_config_selectorIfNS0_10empty_typeEEEZNS1_10merge_implIS3_N6thrust23THRUST_200600_302600_NS6detail15normal_iteratorINS9_10device_ptrIKfEEEESF_NSB_INSC_IfEEEEPS5_SI_SI_NS9_7greaterIfEEEE10hipError_tPvRmT0_T1_T2_T3_T4_T5_mmT6_P12ihipStream_tbEUlT_E0_NS1_11comp_targetILNS1_3genE3ELNS1_11target_archE908ELNS1_3gpuE7ELNS1_3repE0EEENS1_30default_config_static_selectorELNS0_4arch9wavefront6targetE1EEEvSP_,"axG",@progbits,_ZN7rocprim17ROCPRIM_400000_NS6detail17trampoline_kernelINS0_14default_configENS1_21merge_config_selectorIfNS0_10empty_typeEEEZNS1_10merge_implIS3_N6thrust23THRUST_200600_302600_NS6detail15normal_iteratorINS9_10device_ptrIKfEEEESF_NSB_INSC_IfEEEEPS5_SI_SI_NS9_7greaterIfEEEE10hipError_tPvRmT0_T1_T2_T3_T4_T5_mmT6_P12ihipStream_tbEUlT_E0_NS1_11comp_targetILNS1_3genE3ELNS1_11target_archE908ELNS1_3gpuE7ELNS1_3repE0EEENS1_30default_config_static_selectorELNS0_4arch9wavefront6targetE1EEEvSP_,comdat
.Lfunc_end491:
	.size	_ZN7rocprim17ROCPRIM_400000_NS6detail17trampoline_kernelINS0_14default_configENS1_21merge_config_selectorIfNS0_10empty_typeEEEZNS1_10merge_implIS3_N6thrust23THRUST_200600_302600_NS6detail15normal_iteratorINS9_10device_ptrIKfEEEESF_NSB_INSC_IfEEEEPS5_SI_SI_NS9_7greaterIfEEEE10hipError_tPvRmT0_T1_T2_T3_T4_T5_mmT6_P12ihipStream_tbEUlT_E0_NS1_11comp_targetILNS1_3genE3ELNS1_11target_archE908ELNS1_3gpuE7ELNS1_3repE0EEENS1_30default_config_static_selectorELNS0_4arch9wavefront6targetE1EEEvSP_, .Lfunc_end491-_ZN7rocprim17ROCPRIM_400000_NS6detail17trampoline_kernelINS0_14default_configENS1_21merge_config_selectorIfNS0_10empty_typeEEEZNS1_10merge_implIS3_N6thrust23THRUST_200600_302600_NS6detail15normal_iteratorINS9_10device_ptrIKfEEEESF_NSB_INSC_IfEEEEPS5_SI_SI_NS9_7greaterIfEEEE10hipError_tPvRmT0_T1_T2_T3_T4_T5_mmT6_P12ihipStream_tbEUlT_E0_NS1_11comp_targetILNS1_3genE3ELNS1_11target_archE908ELNS1_3gpuE7ELNS1_3repE0EEENS1_30default_config_static_selectorELNS0_4arch9wavefront6targetE1EEEvSP_
                                        ; -- End function
	.section	.AMDGPU.csdata,"",@progbits
; Kernel info:
; codeLenInByte = 0
; NumSgprs: 4
; NumVgprs: 0
; NumAgprs: 0
; TotalNumVgprs: 0
; ScratchSize: 0
; MemoryBound: 0
; FloatMode: 240
; IeeeMode: 1
; LDSByteSize: 0 bytes/workgroup (compile time only)
; SGPRBlocks: 0
; VGPRBlocks: 0
; NumSGPRsForWavesPerEU: 4
; NumVGPRsForWavesPerEU: 1
; AccumOffset: 4
; Occupancy: 8
; WaveLimiterHint : 0
; COMPUTE_PGM_RSRC2:SCRATCH_EN: 0
; COMPUTE_PGM_RSRC2:USER_SGPR: 6
; COMPUTE_PGM_RSRC2:TRAP_HANDLER: 0
; COMPUTE_PGM_RSRC2:TGID_X_EN: 1
; COMPUTE_PGM_RSRC2:TGID_Y_EN: 0
; COMPUTE_PGM_RSRC2:TGID_Z_EN: 0
; COMPUTE_PGM_RSRC2:TIDIG_COMP_CNT: 0
; COMPUTE_PGM_RSRC3_GFX90A:ACCUM_OFFSET: 0
; COMPUTE_PGM_RSRC3_GFX90A:TG_SPLIT: 0
	.section	.text._ZN7rocprim17ROCPRIM_400000_NS6detail17trampoline_kernelINS0_14default_configENS1_21merge_config_selectorIfNS0_10empty_typeEEEZNS1_10merge_implIS3_N6thrust23THRUST_200600_302600_NS6detail15normal_iteratorINS9_10device_ptrIKfEEEESF_NSB_INSC_IfEEEEPS5_SI_SI_NS9_7greaterIfEEEE10hipError_tPvRmT0_T1_T2_T3_T4_T5_mmT6_P12ihipStream_tbEUlT_E0_NS1_11comp_targetILNS1_3genE2ELNS1_11target_archE906ELNS1_3gpuE6ELNS1_3repE0EEENS1_30default_config_static_selectorELNS0_4arch9wavefront6targetE1EEEvSP_,"axG",@progbits,_ZN7rocprim17ROCPRIM_400000_NS6detail17trampoline_kernelINS0_14default_configENS1_21merge_config_selectorIfNS0_10empty_typeEEEZNS1_10merge_implIS3_N6thrust23THRUST_200600_302600_NS6detail15normal_iteratorINS9_10device_ptrIKfEEEESF_NSB_INSC_IfEEEEPS5_SI_SI_NS9_7greaterIfEEEE10hipError_tPvRmT0_T1_T2_T3_T4_T5_mmT6_P12ihipStream_tbEUlT_E0_NS1_11comp_targetILNS1_3genE2ELNS1_11target_archE906ELNS1_3gpuE6ELNS1_3repE0EEENS1_30default_config_static_selectorELNS0_4arch9wavefront6targetE1EEEvSP_,comdat
	.protected	_ZN7rocprim17ROCPRIM_400000_NS6detail17trampoline_kernelINS0_14default_configENS1_21merge_config_selectorIfNS0_10empty_typeEEEZNS1_10merge_implIS3_N6thrust23THRUST_200600_302600_NS6detail15normal_iteratorINS9_10device_ptrIKfEEEESF_NSB_INSC_IfEEEEPS5_SI_SI_NS9_7greaterIfEEEE10hipError_tPvRmT0_T1_T2_T3_T4_T5_mmT6_P12ihipStream_tbEUlT_E0_NS1_11comp_targetILNS1_3genE2ELNS1_11target_archE906ELNS1_3gpuE6ELNS1_3repE0EEENS1_30default_config_static_selectorELNS0_4arch9wavefront6targetE1EEEvSP_ ; -- Begin function _ZN7rocprim17ROCPRIM_400000_NS6detail17trampoline_kernelINS0_14default_configENS1_21merge_config_selectorIfNS0_10empty_typeEEEZNS1_10merge_implIS3_N6thrust23THRUST_200600_302600_NS6detail15normal_iteratorINS9_10device_ptrIKfEEEESF_NSB_INSC_IfEEEEPS5_SI_SI_NS9_7greaterIfEEEE10hipError_tPvRmT0_T1_T2_T3_T4_T5_mmT6_P12ihipStream_tbEUlT_E0_NS1_11comp_targetILNS1_3genE2ELNS1_11target_archE906ELNS1_3gpuE6ELNS1_3repE0EEENS1_30default_config_static_selectorELNS0_4arch9wavefront6targetE1EEEvSP_
	.globl	_ZN7rocprim17ROCPRIM_400000_NS6detail17trampoline_kernelINS0_14default_configENS1_21merge_config_selectorIfNS0_10empty_typeEEEZNS1_10merge_implIS3_N6thrust23THRUST_200600_302600_NS6detail15normal_iteratorINS9_10device_ptrIKfEEEESF_NSB_INSC_IfEEEEPS5_SI_SI_NS9_7greaterIfEEEE10hipError_tPvRmT0_T1_T2_T3_T4_T5_mmT6_P12ihipStream_tbEUlT_E0_NS1_11comp_targetILNS1_3genE2ELNS1_11target_archE906ELNS1_3gpuE6ELNS1_3repE0EEENS1_30default_config_static_selectorELNS0_4arch9wavefront6targetE1EEEvSP_
	.p2align	8
	.type	_ZN7rocprim17ROCPRIM_400000_NS6detail17trampoline_kernelINS0_14default_configENS1_21merge_config_selectorIfNS0_10empty_typeEEEZNS1_10merge_implIS3_N6thrust23THRUST_200600_302600_NS6detail15normal_iteratorINS9_10device_ptrIKfEEEESF_NSB_INSC_IfEEEEPS5_SI_SI_NS9_7greaterIfEEEE10hipError_tPvRmT0_T1_T2_T3_T4_T5_mmT6_P12ihipStream_tbEUlT_E0_NS1_11comp_targetILNS1_3genE2ELNS1_11target_archE906ELNS1_3gpuE6ELNS1_3repE0EEENS1_30default_config_static_selectorELNS0_4arch9wavefront6targetE1EEEvSP_,@function
_ZN7rocprim17ROCPRIM_400000_NS6detail17trampoline_kernelINS0_14default_configENS1_21merge_config_selectorIfNS0_10empty_typeEEEZNS1_10merge_implIS3_N6thrust23THRUST_200600_302600_NS6detail15normal_iteratorINS9_10device_ptrIKfEEEESF_NSB_INSC_IfEEEEPS5_SI_SI_NS9_7greaterIfEEEE10hipError_tPvRmT0_T1_T2_T3_T4_T5_mmT6_P12ihipStream_tbEUlT_E0_NS1_11comp_targetILNS1_3genE2ELNS1_11target_archE906ELNS1_3gpuE6ELNS1_3repE0EEENS1_30default_config_static_selectorELNS0_4arch9wavefront6targetE1EEEvSP_: ; @_ZN7rocprim17ROCPRIM_400000_NS6detail17trampoline_kernelINS0_14default_configENS1_21merge_config_selectorIfNS0_10empty_typeEEEZNS1_10merge_implIS3_N6thrust23THRUST_200600_302600_NS6detail15normal_iteratorINS9_10device_ptrIKfEEEESF_NSB_INSC_IfEEEEPS5_SI_SI_NS9_7greaterIfEEEE10hipError_tPvRmT0_T1_T2_T3_T4_T5_mmT6_P12ihipStream_tbEUlT_E0_NS1_11comp_targetILNS1_3genE2ELNS1_11target_archE906ELNS1_3gpuE6ELNS1_3repE0EEENS1_30default_config_static_selectorELNS0_4arch9wavefront6targetE1EEEvSP_
; %bb.0:
	.section	.rodata,"a",@progbits
	.p2align	6, 0x0
	.amdhsa_kernel _ZN7rocprim17ROCPRIM_400000_NS6detail17trampoline_kernelINS0_14default_configENS1_21merge_config_selectorIfNS0_10empty_typeEEEZNS1_10merge_implIS3_N6thrust23THRUST_200600_302600_NS6detail15normal_iteratorINS9_10device_ptrIKfEEEESF_NSB_INSC_IfEEEEPS5_SI_SI_NS9_7greaterIfEEEE10hipError_tPvRmT0_T1_T2_T3_T4_T5_mmT6_P12ihipStream_tbEUlT_E0_NS1_11comp_targetILNS1_3genE2ELNS1_11target_archE906ELNS1_3gpuE6ELNS1_3repE0EEENS1_30default_config_static_selectorELNS0_4arch9wavefront6targetE1EEEvSP_
		.amdhsa_group_segment_fixed_size 0
		.amdhsa_private_segment_fixed_size 0
		.amdhsa_kernarg_size 88
		.amdhsa_user_sgpr_count 6
		.amdhsa_user_sgpr_private_segment_buffer 1
		.amdhsa_user_sgpr_dispatch_ptr 0
		.amdhsa_user_sgpr_queue_ptr 0
		.amdhsa_user_sgpr_kernarg_segment_ptr 1
		.amdhsa_user_sgpr_dispatch_id 0
		.amdhsa_user_sgpr_flat_scratch_init 0
		.amdhsa_user_sgpr_kernarg_preload_length 0
		.amdhsa_user_sgpr_kernarg_preload_offset 0
		.amdhsa_user_sgpr_private_segment_size 0
		.amdhsa_uses_dynamic_stack 0
		.amdhsa_system_sgpr_private_segment_wavefront_offset 0
		.amdhsa_system_sgpr_workgroup_id_x 1
		.amdhsa_system_sgpr_workgroup_id_y 0
		.amdhsa_system_sgpr_workgroup_id_z 0
		.amdhsa_system_sgpr_workgroup_info 0
		.amdhsa_system_vgpr_workitem_id 0
		.amdhsa_next_free_vgpr 1
		.amdhsa_next_free_sgpr 0
		.amdhsa_accum_offset 4
		.amdhsa_reserve_vcc 0
		.amdhsa_reserve_flat_scratch 0
		.amdhsa_float_round_mode_32 0
		.amdhsa_float_round_mode_16_64 0
		.amdhsa_float_denorm_mode_32 3
		.amdhsa_float_denorm_mode_16_64 3
		.amdhsa_dx10_clamp 1
		.amdhsa_ieee_mode 1
		.amdhsa_fp16_overflow 0
		.amdhsa_tg_split 0
		.amdhsa_exception_fp_ieee_invalid_op 0
		.amdhsa_exception_fp_denorm_src 0
		.amdhsa_exception_fp_ieee_div_zero 0
		.amdhsa_exception_fp_ieee_overflow 0
		.amdhsa_exception_fp_ieee_underflow 0
		.amdhsa_exception_fp_ieee_inexact 0
		.amdhsa_exception_int_div_zero 0
	.end_amdhsa_kernel
	.section	.text._ZN7rocprim17ROCPRIM_400000_NS6detail17trampoline_kernelINS0_14default_configENS1_21merge_config_selectorIfNS0_10empty_typeEEEZNS1_10merge_implIS3_N6thrust23THRUST_200600_302600_NS6detail15normal_iteratorINS9_10device_ptrIKfEEEESF_NSB_INSC_IfEEEEPS5_SI_SI_NS9_7greaterIfEEEE10hipError_tPvRmT0_T1_T2_T3_T4_T5_mmT6_P12ihipStream_tbEUlT_E0_NS1_11comp_targetILNS1_3genE2ELNS1_11target_archE906ELNS1_3gpuE6ELNS1_3repE0EEENS1_30default_config_static_selectorELNS0_4arch9wavefront6targetE1EEEvSP_,"axG",@progbits,_ZN7rocprim17ROCPRIM_400000_NS6detail17trampoline_kernelINS0_14default_configENS1_21merge_config_selectorIfNS0_10empty_typeEEEZNS1_10merge_implIS3_N6thrust23THRUST_200600_302600_NS6detail15normal_iteratorINS9_10device_ptrIKfEEEESF_NSB_INSC_IfEEEEPS5_SI_SI_NS9_7greaterIfEEEE10hipError_tPvRmT0_T1_T2_T3_T4_T5_mmT6_P12ihipStream_tbEUlT_E0_NS1_11comp_targetILNS1_3genE2ELNS1_11target_archE906ELNS1_3gpuE6ELNS1_3repE0EEENS1_30default_config_static_selectorELNS0_4arch9wavefront6targetE1EEEvSP_,comdat
.Lfunc_end492:
	.size	_ZN7rocprim17ROCPRIM_400000_NS6detail17trampoline_kernelINS0_14default_configENS1_21merge_config_selectorIfNS0_10empty_typeEEEZNS1_10merge_implIS3_N6thrust23THRUST_200600_302600_NS6detail15normal_iteratorINS9_10device_ptrIKfEEEESF_NSB_INSC_IfEEEEPS5_SI_SI_NS9_7greaterIfEEEE10hipError_tPvRmT0_T1_T2_T3_T4_T5_mmT6_P12ihipStream_tbEUlT_E0_NS1_11comp_targetILNS1_3genE2ELNS1_11target_archE906ELNS1_3gpuE6ELNS1_3repE0EEENS1_30default_config_static_selectorELNS0_4arch9wavefront6targetE1EEEvSP_, .Lfunc_end492-_ZN7rocprim17ROCPRIM_400000_NS6detail17trampoline_kernelINS0_14default_configENS1_21merge_config_selectorIfNS0_10empty_typeEEEZNS1_10merge_implIS3_N6thrust23THRUST_200600_302600_NS6detail15normal_iteratorINS9_10device_ptrIKfEEEESF_NSB_INSC_IfEEEEPS5_SI_SI_NS9_7greaterIfEEEE10hipError_tPvRmT0_T1_T2_T3_T4_T5_mmT6_P12ihipStream_tbEUlT_E0_NS1_11comp_targetILNS1_3genE2ELNS1_11target_archE906ELNS1_3gpuE6ELNS1_3repE0EEENS1_30default_config_static_selectorELNS0_4arch9wavefront6targetE1EEEvSP_
                                        ; -- End function
	.section	.AMDGPU.csdata,"",@progbits
; Kernel info:
; codeLenInByte = 0
; NumSgprs: 4
; NumVgprs: 0
; NumAgprs: 0
; TotalNumVgprs: 0
; ScratchSize: 0
; MemoryBound: 0
; FloatMode: 240
; IeeeMode: 1
; LDSByteSize: 0 bytes/workgroup (compile time only)
; SGPRBlocks: 0
; VGPRBlocks: 0
; NumSGPRsForWavesPerEU: 4
; NumVGPRsForWavesPerEU: 1
; AccumOffset: 4
; Occupancy: 8
; WaveLimiterHint : 0
; COMPUTE_PGM_RSRC2:SCRATCH_EN: 0
; COMPUTE_PGM_RSRC2:USER_SGPR: 6
; COMPUTE_PGM_RSRC2:TRAP_HANDLER: 0
; COMPUTE_PGM_RSRC2:TGID_X_EN: 1
; COMPUTE_PGM_RSRC2:TGID_Y_EN: 0
; COMPUTE_PGM_RSRC2:TGID_Z_EN: 0
; COMPUTE_PGM_RSRC2:TIDIG_COMP_CNT: 0
; COMPUTE_PGM_RSRC3_GFX90A:ACCUM_OFFSET: 0
; COMPUTE_PGM_RSRC3_GFX90A:TG_SPLIT: 0
	.section	.text._ZN7rocprim17ROCPRIM_400000_NS6detail17trampoline_kernelINS0_14default_configENS1_21merge_config_selectorIfNS0_10empty_typeEEEZNS1_10merge_implIS3_N6thrust23THRUST_200600_302600_NS6detail15normal_iteratorINS9_10device_ptrIKfEEEESF_NSB_INSC_IfEEEEPS5_SI_SI_NS9_7greaterIfEEEE10hipError_tPvRmT0_T1_T2_T3_T4_T5_mmT6_P12ihipStream_tbEUlT_E0_NS1_11comp_targetILNS1_3genE10ELNS1_11target_archE1201ELNS1_3gpuE5ELNS1_3repE0EEENS1_30default_config_static_selectorELNS0_4arch9wavefront6targetE1EEEvSP_,"axG",@progbits,_ZN7rocprim17ROCPRIM_400000_NS6detail17trampoline_kernelINS0_14default_configENS1_21merge_config_selectorIfNS0_10empty_typeEEEZNS1_10merge_implIS3_N6thrust23THRUST_200600_302600_NS6detail15normal_iteratorINS9_10device_ptrIKfEEEESF_NSB_INSC_IfEEEEPS5_SI_SI_NS9_7greaterIfEEEE10hipError_tPvRmT0_T1_T2_T3_T4_T5_mmT6_P12ihipStream_tbEUlT_E0_NS1_11comp_targetILNS1_3genE10ELNS1_11target_archE1201ELNS1_3gpuE5ELNS1_3repE0EEENS1_30default_config_static_selectorELNS0_4arch9wavefront6targetE1EEEvSP_,comdat
	.protected	_ZN7rocprim17ROCPRIM_400000_NS6detail17trampoline_kernelINS0_14default_configENS1_21merge_config_selectorIfNS0_10empty_typeEEEZNS1_10merge_implIS3_N6thrust23THRUST_200600_302600_NS6detail15normal_iteratorINS9_10device_ptrIKfEEEESF_NSB_INSC_IfEEEEPS5_SI_SI_NS9_7greaterIfEEEE10hipError_tPvRmT0_T1_T2_T3_T4_T5_mmT6_P12ihipStream_tbEUlT_E0_NS1_11comp_targetILNS1_3genE10ELNS1_11target_archE1201ELNS1_3gpuE5ELNS1_3repE0EEENS1_30default_config_static_selectorELNS0_4arch9wavefront6targetE1EEEvSP_ ; -- Begin function _ZN7rocprim17ROCPRIM_400000_NS6detail17trampoline_kernelINS0_14default_configENS1_21merge_config_selectorIfNS0_10empty_typeEEEZNS1_10merge_implIS3_N6thrust23THRUST_200600_302600_NS6detail15normal_iteratorINS9_10device_ptrIKfEEEESF_NSB_INSC_IfEEEEPS5_SI_SI_NS9_7greaterIfEEEE10hipError_tPvRmT0_T1_T2_T3_T4_T5_mmT6_P12ihipStream_tbEUlT_E0_NS1_11comp_targetILNS1_3genE10ELNS1_11target_archE1201ELNS1_3gpuE5ELNS1_3repE0EEENS1_30default_config_static_selectorELNS0_4arch9wavefront6targetE1EEEvSP_
	.globl	_ZN7rocprim17ROCPRIM_400000_NS6detail17trampoline_kernelINS0_14default_configENS1_21merge_config_selectorIfNS0_10empty_typeEEEZNS1_10merge_implIS3_N6thrust23THRUST_200600_302600_NS6detail15normal_iteratorINS9_10device_ptrIKfEEEESF_NSB_INSC_IfEEEEPS5_SI_SI_NS9_7greaterIfEEEE10hipError_tPvRmT0_T1_T2_T3_T4_T5_mmT6_P12ihipStream_tbEUlT_E0_NS1_11comp_targetILNS1_3genE10ELNS1_11target_archE1201ELNS1_3gpuE5ELNS1_3repE0EEENS1_30default_config_static_selectorELNS0_4arch9wavefront6targetE1EEEvSP_
	.p2align	8
	.type	_ZN7rocprim17ROCPRIM_400000_NS6detail17trampoline_kernelINS0_14default_configENS1_21merge_config_selectorIfNS0_10empty_typeEEEZNS1_10merge_implIS3_N6thrust23THRUST_200600_302600_NS6detail15normal_iteratorINS9_10device_ptrIKfEEEESF_NSB_INSC_IfEEEEPS5_SI_SI_NS9_7greaterIfEEEE10hipError_tPvRmT0_T1_T2_T3_T4_T5_mmT6_P12ihipStream_tbEUlT_E0_NS1_11comp_targetILNS1_3genE10ELNS1_11target_archE1201ELNS1_3gpuE5ELNS1_3repE0EEENS1_30default_config_static_selectorELNS0_4arch9wavefront6targetE1EEEvSP_,@function
_ZN7rocprim17ROCPRIM_400000_NS6detail17trampoline_kernelINS0_14default_configENS1_21merge_config_selectorIfNS0_10empty_typeEEEZNS1_10merge_implIS3_N6thrust23THRUST_200600_302600_NS6detail15normal_iteratorINS9_10device_ptrIKfEEEESF_NSB_INSC_IfEEEEPS5_SI_SI_NS9_7greaterIfEEEE10hipError_tPvRmT0_T1_T2_T3_T4_T5_mmT6_P12ihipStream_tbEUlT_E0_NS1_11comp_targetILNS1_3genE10ELNS1_11target_archE1201ELNS1_3gpuE5ELNS1_3repE0EEENS1_30default_config_static_selectorELNS0_4arch9wavefront6targetE1EEEvSP_: ; @_ZN7rocprim17ROCPRIM_400000_NS6detail17trampoline_kernelINS0_14default_configENS1_21merge_config_selectorIfNS0_10empty_typeEEEZNS1_10merge_implIS3_N6thrust23THRUST_200600_302600_NS6detail15normal_iteratorINS9_10device_ptrIKfEEEESF_NSB_INSC_IfEEEEPS5_SI_SI_NS9_7greaterIfEEEE10hipError_tPvRmT0_T1_T2_T3_T4_T5_mmT6_P12ihipStream_tbEUlT_E0_NS1_11comp_targetILNS1_3genE10ELNS1_11target_archE1201ELNS1_3gpuE5ELNS1_3repE0EEENS1_30default_config_static_selectorELNS0_4arch9wavefront6targetE1EEEvSP_
; %bb.0:
	.section	.rodata,"a",@progbits
	.p2align	6, 0x0
	.amdhsa_kernel _ZN7rocprim17ROCPRIM_400000_NS6detail17trampoline_kernelINS0_14default_configENS1_21merge_config_selectorIfNS0_10empty_typeEEEZNS1_10merge_implIS3_N6thrust23THRUST_200600_302600_NS6detail15normal_iteratorINS9_10device_ptrIKfEEEESF_NSB_INSC_IfEEEEPS5_SI_SI_NS9_7greaterIfEEEE10hipError_tPvRmT0_T1_T2_T3_T4_T5_mmT6_P12ihipStream_tbEUlT_E0_NS1_11comp_targetILNS1_3genE10ELNS1_11target_archE1201ELNS1_3gpuE5ELNS1_3repE0EEENS1_30default_config_static_selectorELNS0_4arch9wavefront6targetE1EEEvSP_
		.amdhsa_group_segment_fixed_size 0
		.amdhsa_private_segment_fixed_size 0
		.amdhsa_kernarg_size 88
		.amdhsa_user_sgpr_count 6
		.amdhsa_user_sgpr_private_segment_buffer 1
		.amdhsa_user_sgpr_dispatch_ptr 0
		.amdhsa_user_sgpr_queue_ptr 0
		.amdhsa_user_sgpr_kernarg_segment_ptr 1
		.amdhsa_user_sgpr_dispatch_id 0
		.amdhsa_user_sgpr_flat_scratch_init 0
		.amdhsa_user_sgpr_kernarg_preload_length 0
		.amdhsa_user_sgpr_kernarg_preload_offset 0
		.amdhsa_user_sgpr_private_segment_size 0
		.amdhsa_uses_dynamic_stack 0
		.amdhsa_system_sgpr_private_segment_wavefront_offset 0
		.amdhsa_system_sgpr_workgroup_id_x 1
		.amdhsa_system_sgpr_workgroup_id_y 0
		.amdhsa_system_sgpr_workgroup_id_z 0
		.amdhsa_system_sgpr_workgroup_info 0
		.amdhsa_system_vgpr_workitem_id 0
		.amdhsa_next_free_vgpr 1
		.amdhsa_next_free_sgpr 0
		.amdhsa_accum_offset 4
		.amdhsa_reserve_vcc 0
		.amdhsa_reserve_flat_scratch 0
		.amdhsa_float_round_mode_32 0
		.amdhsa_float_round_mode_16_64 0
		.amdhsa_float_denorm_mode_32 3
		.amdhsa_float_denorm_mode_16_64 3
		.amdhsa_dx10_clamp 1
		.amdhsa_ieee_mode 1
		.amdhsa_fp16_overflow 0
		.amdhsa_tg_split 0
		.amdhsa_exception_fp_ieee_invalid_op 0
		.amdhsa_exception_fp_denorm_src 0
		.amdhsa_exception_fp_ieee_div_zero 0
		.amdhsa_exception_fp_ieee_overflow 0
		.amdhsa_exception_fp_ieee_underflow 0
		.amdhsa_exception_fp_ieee_inexact 0
		.amdhsa_exception_int_div_zero 0
	.end_amdhsa_kernel
	.section	.text._ZN7rocprim17ROCPRIM_400000_NS6detail17trampoline_kernelINS0_14default_configENS1_21merge_config_selectorIfNS0_10empty_typeEEEZNS1_10merge_implIS3_N6thrust23THRUST_200600_302600_NS6detail15normal_iteratorINS9_10device_ptrIKfEEEESF_NSB_INSC_IfEEEEPS5_SI_SI_NS9_7greaterIfEEEE10hipError_tPvRmT0_T1_T2_T3_T4_T5_mmT6_P12ihipStream_tbEUlT_E0_NS1_11comp_targetILNS1_3genE10ELNS1_11target_archE1201ELNS1_3gpuE5ELNS1_3repE0EEENS1_30default_config_static_selectorELNS0_4arch9wavefront6targetE1EEEvSP_,"axG",@progbits,_ZN7rocprim17ROCPRIM_400000_NS6detail17trampoline_kernelINS0_14default_configENS1_21merge_config_selectorIfNS0_10empty_typeEEEZNS1_10merge_implIS3_N6thrust23THRUST_200600_302600_NS6detail15normal_iteratorINS9_10device_ptrIKfEEEESF_NSB_INSC_IfEEEEPS5_SI_SI_NS9_7greaterIfEEEE10hipError_tPvRmT0_T1_T2_T3_T4_T5_mmT6_P12ihipStream_tbEUlT_E0_NS1_11comp_targetILNS1_3genE10ELNS1_11target_archE1201ELNS1_3gpuE5ELNS1_3repE0EEENS1_30default_config_static_selectorELNS0_4arch9wavefront6targetE1EEEvSP_,comdat
.Lfunc_end493:
	.size	_ZN7rocprim17ROCPRIM_400000_NS6detail17trampoline_kernelINS0_14default_configENS1_21merge_config_selectorIfNS0_10empty_typeEEEZNS1_10merge_implIS3_N6thrust23THRUST_200600_302600_NS6detail15normal_iteratorINS9_10device_ptrIKfEEEESF_NSB_INSC_IfEEEEPS5_SI_SI_NS9_7greaterIfEEEE10hipError_tPvRmT0_T1_T2_T3_T4_T5_mmT6_P12ihipStream_tbEUlT_E0_NS1_11comp_targetILNS1_3genE10ELNS1_11target_archE1201ELNS1_3gpuE5ELNS1_3repE0EEENS1_30default_config_static_selectorELNS0_4arch9wavefront6targetE1EEEvSP_, .Lfunc_end493-_ZN7rocprim17ROCPRIM_400000_NS6detail17trampoline_kernelINS0_14default_configENS1_21merge_config_selectorIfNS0_10empty_typeEEEZNS1_10merge_implIS3_N6thrust23THRUST_200600_302600_NS6detail15normal_iteratorINS9_10device_ptrIKfEEEESF_NSB_INSC_IfEEEEPS5_SI_SI_NS9_7greaterIfEEEE10hipError_tPvRmT0_T1_T2_T3_T4_T5_mmT6_P12ihipStream_tbEUlT_E0_NS1_11comp_targetILNS1_3genE10ELNS1_11target_archE1201ELNS1_3gpuE5ELNS1_3repE0EEENS1_30default_config_static_selectorELNS0_4arch9wavefront6targetE1EEEvSP_
                                        ; -- End function
	.section	.AMDGPU.csdata,"",@progbits
; Kernel info:
; codeLenInByte = 0
; NumSgprs: 4
; NumVgprs: 0
; NumAgprs: 0
; TotalNumVgprs: 0
; ScratchSize: 0
; MemoryBound: 0
; FloatMode: 240
; IeeeMode: 1
; LDSByteSize: 0 bytes/workgroup (compile time only)
; SGPRBlocks: 0
; VGPRBlocks: 0
; NumSGPRsForWavesPerEU: 4
; NumVGPRsForWavesPerEU: 1
; AccumOffset: 4
; Occupancy: 8
; WaveLimiterHint : 0
; COMPUTE_PGM_RSRC2:SCRATCH_EN: 0
; COMPUTE_PGM_RSRC2:USER_SGPR: 6
; COMPUTE_PGM_RSRC2:TRAP_HANDLER: 0
; COMPUTE_PGM_RSRC2:TGID_X_EN: 1
; COMPUTE_PGM_RSRC2:TGID_Y_EN: 0
; COMPUTE_PGM_RSRC2:TGID_Z_EN: 0
; COMPUTE_PGM_RSRC2:TIDIG_COMP_CNT: 0
; COMPUTE_PGM_RSRC3_GFX90A:ACCUM_OFFSET: 0
; COMPUTE_PGM_RSRC3_GFX90A:TG_SPLIT: 0
	.section	.text._ZN7rocprim17ROCPRIM_400000_NS6detail17trampoline_kernelINS0_14default_configENS1_21merge_config_selectorIfNS0_10empty_typeEEEZNS1_10merge_implIS3_N6thrust23THRUST_200600_302600_NS6detail15normal_iteratorINS9_10device_ptrIKfEEEESF_NSB_INSC_IfEEEEPS5_SI_SI_NS9_7greaterIfEEEE10hipError_tPvRmT0_T1_T2_T3_T4_T5_mmT6_P12ihipStream_tbEUlT_E0_NS1_11comp_targetILNS1_3genE10ELNS1_11target_archE1200ELNS1_3gpuE4ELNS1_3repE0EEENS1_30default_config_static_selectorELNS0_4arch9wavefront6targetE1EEEvSP_,"axG",@progbits,_ZN7rocprim17ROCPRIM_400000_NS6detail17trampoline_kernelINS0_14default_configENS1_21merge_config_selectorIfNS0_10empty_typeEEEZNS1_10merge_implIS3_N6thrust23THRUST_200600_302600_NS6detail15normal_iteratorINS9_10device_ptrIKfEEEESF_NSB_INSC_IfEEEEPS5_SI_SI_NS9_7greaterIfEEEE10hipError_tPvRmT0_T1_T2_T3_T4_T5_mmT6_P12ihipStream_tbEUlT_E0_NS1_11comp_targetILNS1_3genE10ELNS1_11target_archE1200ELNS1_3gpuE4ELNS1_3repE0EEENS1_30default_config_static_selectorELNS0_4arch9wavefront6targetE1EEEvSP_,comdat
	.protected	_ZN7rocprim17ROCPRIM_400000_NS6detail17trampoline_kernelINS0_14default_configENS1_21merge_config_selectorIfNS0_10empty_typeEEEZNS1_10merge_implIS3_N6thrust23THRUST_200600_302600_NS6detail15normal_iteratorINS9_10device_ptrIKfEEEESF_NSB_INSC_IfEEEEPS5_SI_SI_NS9_7greaterIfEEEE10hipError_tPvRmT0_T1_T2_T3_T4_T5_mmT6_P12ihipStream_tbEUlT_E0_NS1_11comp_targetILNS1_3genE10ELNS1_11target_archE1200ELNS1_3gpuE4ELNS1_3repE0EEENS1_30default_config_static_selectorELNS0_4arch9wavefront6targetE1EEEvSP_ ; -- Begin function _ZN7rocprim17ROCPRIM_400000_NS6detail17trampoline_kernelINS0_14default_configENS1_21merge_config_selectorIfNS0_10empty_typeEEEZNS1_10merge_implIS3_N6thrust23THRUST_200600_302600_NS6detail15normal_iteratorINS9_10device_ptrIKfEEEESF_NSB_INSC_IfEEEEPS5_SI_SI_NS9_7greaterIfEEEE10hipError_tPvRmT0_T1_T2_T3_T4_T5_mmT6_P12ihipStream_tbEUlT_E0_NS1_11comp_targetILNS1_3genE10ELNS1_11target_archE1200ELNS1_3gpuE4ELNS1_3repE0EEENS1_30default_config_static_selectorELNS0_4arch9wavefront6targetE1EEEvSP_
	.globl	_ZN7rocprim17ROCPRIM_400000_NS6detail17trampoline_kernelINS0_14default_configENS1_21merge_config_selectorIfNS0_10empty_typeEEEZNS1_10merge_implIS3_N6thrust23THRUST_200600_302600_NS6detail15normal_iteratorINS9_10device_ptrIKfEEEESF_NSB_INSC_IfEEEEPS5_SI_SI_NS9_7greaterIfEEEE10hipError_tPvRmT0_T1_T2_T3_T4_T5_mmT6_P12ihipStream_tbEUlT_E0_NS1_11comp_targetILNS1_3genE10ELNS1_11target_archE1200ELNS1_3gpuE4ELNS1_3repE0EEENS1_30default_config_static_selectorELNS0_4arch9wavefront6targetE1EEEvSP_
	.p2align	8
	.type	_ZN7rocprim17ROCPRIM_400000_NS6detail17trampoline_kernelINS0_14default_configENS1_21merge_config_selectorIfNS0_10empty_typeEEEZNS1_10merge_implIS3_N6thrust23THRUST_200600_302600_NS6detail15normal_iteratorINS9_10device_ptrIKfEEEESF_NSB_INSC_IfEEEEPS5_SI_SI_NS9_7greaterIfEEEE10hipError_tPvRmT0_T1_T2_T3_T4_T5_mmT6_P12ihipStream_tbEUlT_E0_NS1_11comp_targetILNS1_3genE10ELNS1_11target_archE1200ELNS1_3gpuE4ELNS1_3repE0EEENS1_30default_config_static_selectorELNS0_4arch9wavefront6targetE1EEEvSP_,@function
_ZN7rocprim17ROCPRIM_400000_NS6detail17trampoline_kernelINS0_14default_configENS1_21merge_config_selectorIfNS0_10empty_typeEEEZNS1_10merge_implIS3_N6thrust23THRUST_200600_302600_NS6detail15normal_iteratorINS9_10device_ptrIKfEEEESF_NSB_INSC_IfEEEEPS5_SI_SI_NS9_7greaterIfEEEE10hipError_tPvRmT0_T1_T2_T3_T4_T5_mmT6_P12ihipStream_tbEUlT_E0_NS1_11comp_targetILNS1_3genE10ELNS1_11target_archE1200ELNS1_3gpuE4ELNS1_3repE0EEENS1_30default_config_static_selectorELNS0_4arch9wavefront6targetE1EEEvSP_: ; @_ZN7rocprim17ROCPRIM_400000_NS6detail17trampoline_kernelINS0_14default_configENS1_21merge_config_selectorIfNS0_10empty_typeEEEZNS1_10merge_implIS3_N6thrust23THRUST_200600_302600_NS6detail15normal_iteratorINS9_10device_ptrIKfEEEESF_NSB_INSC_IfEEEEPS5_SI_SI_NS9_7greaterIfEEEE10hipError_tPvRmT0_T1_T2_T3_T4_T5_mmT6_P12ihipStream_tbEUlT_E0_NS1_11comp_targetILNS1_3genE10ELNS1_11target_archE1200ELNS1_3gpuE4ELNS1_3repE0EEENS1_30default_config_static_selectorELNS0_4arch9wavefront6targetE1EEEvSP_
; %bb.0:
	.section	.rodata,"a",@progbits
	.p2align	6, 0x0
	.amdhsa_kernel _ZN7rocprim17ROCPRIM_400000_NS6detail17trampoline_kernelINS0_14default_configENS1_21merge_config_selectorIfNS0_10empty_typeEEEZNS1_10merge_implIS3_N6thrust23THRUST_200600_302600_NS6detail15normal_iteratorINS9_10device_ptrIKfEEEESF_NSB_INSC_IfEEEEPS5_SI_SI_NS9_7greaterIfEEEE10hipError_tPvRmT0_T1_T2_T3_T4_T5_mmT6_P12ihipStream_tbEUlT_E0_NS1_11comp_targetILNS1_3genE10ELNS1_11target_archE1200ELNS1_3gpuE4ELNS1_3repE0EEENS1_30default_config_static_selectorELNS0_4arch9wavefront6targetE1EEEvSP_
		.amdhsa_group_segment_fixed_size 0
		.amdhsa_private_segment_fixed_size 0
		.amdhsa_kernarg_size 88
		.amdhsa_user_sgpr_count 6
		.amdhsa_user_sgpr_private_segment_buffer 1
		.amdhsa_user_sgpr_dispatch_ptr 0
		.amdhsa_user_sgpr_queue_ptr 0
		.amdhsa_user_sgpr_kernarg_segment_ptr 1
		.amdhsa_user_sgpr_dispatch_id 0
		.amdhsa_user_sgpr_flat_scratch_init 0
		.amdhsa_user_sgpr_kernarg_preload_length 0
		.amdhsa_user_sgpr_kernarg_preload_offset 0
		.amdhsa_user_sgpr_private_segment_size 0
		.amdhsa_uses_dynamic_stack 0
		.amdhsa_system_sgpr_private_segment_wavefront_offset 0
		.amdhsa_system_sgpr_workgroup_id_x 1
		.amdhsa_system_sgpr_workgroup_id_y 0
		.amdhsa_system_sgpr_workgroup_id_z 0
		.amdhsa_system_sgpr_workgroup_info 0
		.amdhsa_system_vgpr_workitem_id 0
		.amdhsa_next_free_vgpr 1
		.amdhsa_next_free_sgpr 0
		.amdhsa_accum_offset 4
		.amdhsa_reserve_vcc 0
		.amdhsa_reserve_flat_scratch 0
		.amdhsa_float_round_mode_32 0
		.amdhsa_float_round_mode_16_64 0
		.amdhsa_float_denorm_mode_32 3
		.amdhsa_float_denorm_mode_16_64 3
		.amdhsa_dx10_clamp 1
		.amdhsa_ieee_mode 1
		.amdhsa_fp16_overflow 0
		.amdhsa_tg_split 0
		.amdhsa_exception_fp_ieee_invalid_op 0
		.amdhsa_exception_fp_denorm_src 0
		.amdhsa_exception_fp_ieee_div_zero 0
		.amdhsa_exception_fp_ieee_overflow 0
		.amdhsa_exception_fp_ieee_underflow 0
		.amdhsa_exception_fp_ieee_inexact 0
		.amdhsa_exception_int_div_zero 0
	.end_amdhsa_kernel
	.section	.text._ZN7rocprim17ROCPRIM_400000_NS6detail17trampoline_kernelINS0_14default_configENS1_21merge_config_selectorIfNS0_10empty_typeEEEZNS1_10merge_implIS3_N6thrust23THRUST_200600_302600_NS6detail15normal_iteratorINS9_10device_ptrIKfEEEESF_NSB_INSC_IfEEEEPS5_SI_SI_NS9_7greaterIfEEEE10hipError_tPvRmT0_T1_T2_T3_T4_T5_mmT6_P12ihipStream_tbEUlT_E0_NS1_11comp_targetILNS1_3genE10ELNS1_11target_archE1200ELNS1_3gpuE4ELNS1_3repE0EEENS1_30default_config_static_selectorELNS0_4arch9wavefront6targetE1EEEvSP_,"axG",@progbits,_ZN7rocprim17ROCPRIM_400000_NS6detail17trampoline_kernelINS0_14default_configENS1_21merge_config_selectorIfNS0_10empty_typeEEEZNS1_10merge_implIS3_N6thrust23THRUST_200600_302600_NS6detail15normal_iteratorINS9_10device_ptrIKfEEEESF_NSB_INSC_IfEEEEPS5_SI_SI_NS9_7greaterIfEEEE10hipError_tPvRmT0_T1_T2_T3_T4_T5_mmT6_P12ihipStream_tbEUlT_E0_NS1_11comp_targetILNS1_3genE10ELNS1_11target_archE1200ELNS1_3gpuE4ELNS1_3repE0EEENS1_30default_config_static_selectorELNS0_4arch9wavefront6targetE1EEEvSP_,comdat
.Lfunc_end494:
	.size	_ZN7rocprim17ROCPRIM_400000_NS6detail17trampoline_kernelINS0_14default_configENS1_21merge_config_selectorIfNS0_10empty_typeEEEZNS1_10merge_implIS3_N6thrust23THRUST_200600_302600_NS6detail15normal_iteratorINS9_10device_ptrIKfEEEESF_NSB_INSC_IfEEEEPS5_SI_SI_NS9_7greaterIfEEEE10hipError_tPvRmT0_T1_T2_T3_T4_T5_mmT6_P12ihipStream_tbEUlT_E0_NS1_11comp_targetILNS1_3genE10ELNS1_11target_archE1200ELNS1_3gpuE4ELNS1_3repE0EEENS1_30default_config_static_selectorELNS0_4arch9wavefront6targetE1EEEvSP_, .Lfunc_end494-_ZN7rocprim17ROCPRIM_400000_NS6detail17trampoline_kernelINS0_14default_configENS1_21merge_config_selectorIfNS0_10empty_typeEEEZNS1_10merge_implIS3_N6thrust23THRUST_200600_302600_NS6detail15normal_iteratorINS9_10device_ptrIKfEEEESF_NSB_INSC_IfEEEEPS5_SI_SI_NS9_7greaterIfEEEE10hipError_tPvRmT0_T1_T2_T3_T4_T5_mmT6_P12ihipStream_tbEUlT_E0_NS1_11comp_targetILNS1_3genE10ELNS1_11target_archE1200ELNS1_3gpuE4ELNS1_3repE0EEENS1_30default_config_static_selectorELNS0_4arch9wavefront6targetE1EEEvSP_
                                        ; -- End function
	.section	.AMDGPU.csdata,"",@progbits
; Kernel info:
; codeLenInByte = 0
; NumSgprs: 4
; NumVgprs: 0
; NumAgprs: 0
; TotalNumVgprs: 0
; ScratchSize: 0
; MemoryBound: 0
; FloatMode: 240
; IeeeMode: 1
; LDSByteSize: 0 bytes/workgroup (compile time only)
; SGPRBlocks: 0
; VGPRBlocks: 0
; NumSGPRsForWavesPerEU: 4
; NumVGPRsForWavesPerEU: 1
; AccumOffset: 4
; Occupancy: 8
; WaveLimiterHint : 0
; COMPUTE_PGM_RSRC2:SCRATCH_EN: 0
; COMPUTE_PGM_RSRC2:USER_SGPR: 6
; COMPUTE_PGM_RSRC2:TRAP_HANDLER: 0
; COMPUTE_PGM_RSRC2:TGID_X_EN: 1
; COMPUTE_PGM_RSRC2:TGID_Y_EN: 0
; COMPUTE_PGM_RSRC2:TGID_Z_EN: 0
; COMPUTE_PGM_RSRC2:TIDIG_COMP_CNT: 0
; COMPUTE_PGM_RSRC3_GFX90A:ACCUM_OFFSET: 0
; COMPUTE_PGM_RSRC3_GFX90A:TG_SPLIT: 0
	.section	.text._ZN7rocprim17ROCPRIM_400000_NS6detail17trampoline_kernelINS0_14default_configENS1_21merge_config_selectorIfNS0_10empty_typeEEEZNS1_10merge_implIS3_N6thrust23THRUST_200600_302600_NS6detail15normal_iteratorINS9_10device_ptrIKfEEEESF_NSB_INSC_IfEEEEPS5_SI_SI_NS9_7greaterIfEEEE10hipError_tPvRmT0_T1_T2_T3_T4_T5_mmT6_P12ihipStream_tbEUlT_E0_NS1_11comp_targetILNS1_3genE9ELNS1_11target_archE1100ELNS1_3gpuE3ELNS1_3repE0EEENS1_30default_config_static_selectorELNS0_4arch9wavefront6targetE1EEEvSP_,"axG",@progbits,_ZN7rocprim17ROCPRIM_400000_NS6detail17trampoline_kernelINS0_14default_configENS1_21merge_config_selectorIfNS0_10empty_typeEEEZNS1_10merge_implIS3_N6thrust23THRUST_200600_302600_NS6detail15normal_iteratorINS9_10device_ptrIKfEEEESF_NSB_INSC_IfEEEEPS5_SI_SI_NS9_7greaterIfEEEE10hipError_tPvRmT0_T1_T2_T3_T4_T5_mmT6_P12ihipStream_tbEUlT_E0_NS1_11comp_targetILNS1_3genE9ELNS1_11target_archE1100ELNS1_3gpuE3ELNS1_3repE0EEENS1_30default_config_static_selectorELNS0_4arch9wavefront6targetE1EEEvSP_,comdat
	.protected	_ZN7rocprim17ROCPRIM_400000_NS6detail17trampoline_kernelINS0_14default_configENS1_21merge_config_selectorIfNS0_10empty_typeEEEZNS1_10merge_implIS3_N6thrust23THRUST_200600_302600_NS6detail15normal_iteratorINS9_10device_ptrIKfEEEESF_NSB_INSC_IfEEEEPS5_SI_SI_NS9_7greaterIfEEEE10hipError_tPvRmT0_T1_T2_T3_T4_T5_mmT6_P12ihipStream_tbEUlT_E0_NS1_11comp_targetILNS1_3genE9ELNS1_11target_archE1100ELNS1_3gpuE3ELNS1_3repE0EEENS1_30default_config_static_selectorELNS0_4arch9wavefront6targetE1EEEvSP_ ; -- Begin function _ZN7rocprim17ROCPRIM_400000_NS6detail17trampoline_kernelINS0_14default_configENS1_21merge_config_selectorIfNS0_10empty_typeEEEZNS1_10merge_implIS3_N6thrust23THRUST_200600_302600_NS6detail15normal_iteratorINS9_10device_ptrIKfEEEESF_NSB_INSC_IfEEEEPS5_SI_SI_NS9_7greaterIfEEEE10hipError_tPvRmT0_T1_T2_T3_T4_T5_mmT6_P12ihipStream_tbEUlT_E0_NS1_11comp_targetILNS1_3genE9ELNS1_11target_archE1100ELNS1_3gpuE3ELNS1_3repE0EEENS1_30default_config_static_selectorELNS0_4arch9wavefront6targetE1EEEvSP_
	.globl	_ZN7rocprim17ROCPRIM_400000_NS6detail17trampoline_kernelINS0_14default_configENS1_21merge_config_selectorIfNS0_10empty_typeEEEZNS1_10merge_implIS3_N6thrust23THRUST_200600_302600_NS6detail15normal_iteratorINS9_10device_ptrIKfEEEESF_NSB_INSC_IfEEEEPS5_SI_SI_NS9_7greaterIfEEEE10hipError_tPvRmT0_T1_T2_T3_T4_T5_mmT6_P12ihipStream_tbEUlT_E0_NS1_11comp_targetILNS1_3genE9ELNS1_11target_archE1100ELNS1_3gpuE3ELNS1_3repE0EEENS1_30default_config_static_selectorELNS0_4arch9wavefront6targetE1EEEvSP_
	.p2align	8
	.type	_ZN7rocprim17ROCPRIM_400000_NS6detail17trampoline_kernelINS0_14default_configENS1_21merge_config_selectorIfNS0_10empty_typeEEEZNS1_10merge_implIS3_N6thrust23THRUST_200600_302600_NS6detail15normal_iteratorINS9_10device_ptrIKfEEEESF_NSB_INSC_IfEEEEPS5_SI_SI_NS9_7greaterIfEEEE10hipError_tPvRmT0_T1_T2_T3_T4_T5_mmT6_P12ihipStream_tbEUlT_E0_NS1_11comp_targetILNS1_3genE9ELNS1_11target_archE1100ELNS1_3gpuE3ELNS1_3repE0EEENS1_30default_config_static_selectorELNS0_4arch9wavefront6targetE1EEEvSP_,@function
_ZN7rocprim17ROCPRIM_400000_NS6detail17trampoline_kernelINS0_14default_configENS1_21merge_config_selectorIfNS0_10empty_typeEEEZNS1_10merge_implIS3_N6thrust23THRUST_200600_302600_NS6detail15normal_iteratorINS9_10device_ptrIKfEEEESF_NSB_INSC_IfEEEEPS5_SI_SI_NS9_7greaterIfEEEE10hipError_tPvRmT0_T1_T2_T3_T4_T5_mmT6_P12ihipStream_tbEUlT_E0_NS1_11comp_targetILNS1_3genE9ELNS1_11target_archE1100ELNS1_3gpuE3ELNS1_3repE0EEENS1_30default_config_static_selectorELNS0_4arch9wavefront6targetE1EEEvSP_: ; @_ZN7rocprim17ROCPRIM_400000_NS6detail17trampoline_kernelINS0_14default_configENS1_21merge_config_selectorIfNS0_10empty_typeEEEZNS1_10merge_implIS3_N6thrust23THRUST_200600_302600_NS6detail15normal_iteratorINS9_10device_ptrIKfEEEESF_NSB_INSC_IfEEEEPS5_SI_SI_NS9_7greaterIfEEEE10hipError_tPvRmT0_T1_T2_T3_T4_T5_mmT6_P12ihipStream_tbEUlT_E0_NS1_11comp_targetILNS1_3genE9ELNS1_11target_archE1100ELNS1_3gpuE3ELNS1_3repE0EEENS1_30default_config_static_selectorELNS0_4arch9wavefront6targetE1EEEvSP_
; %bb.0:
	.section	.rodata,"a",@progbits
	.p2align	6, 0x0
	.amdhsa_kernel _ZN7rocprim17ROCPRIM_400000_NS6detail17trampoline_kernelINS0_14default_configENS1_21merge_config_selectorIfNS0_10empty_typeEEEZNS1_10merge_implIS3_N6thrust23THRUST_200600_302600_NS6detail15normal_iteratorINS9_10device_ptrIKfEEEESF_NSB_INSC_IfEEEEPS5_SI_SI_NS9_7greaterIfEEEE10hipError_tPvRmT0_T1_T2_T3_T4_T5_mmT6_P12ihipStream_tbEUlT_E0_NS1_11comp_targetILNS1_3genE9ELNS1_11target_archE1100ELNS1_3gpuE3ELNS1_3repE0EEENS1_30default_config_static_selectorELNS0_4arch9wavefront6targetE1EEEvSP_
		.amdhsa_group_segment_fixed_size 0
		.amdhsa_private_segment_fixed_size 0
		.amdhsa_kernarg_size 88
		.amdhsa_user_sgpr_count 6
		.amdhsa_user_sgpr_private_segment_buffer 1
		.amdhsa_user_sgpr_dispatch_ptr 0
		.amdhsa_user_sgpr_queue_ptr 0
		.amdhsa_user_sgpr_kernarg_segment_ptr 1
		.amdhsa_user_sgpr_dispatch_id 0
		.amdhsa_user_sgpr_flat_scratch_init 0
		.amdhsa_user_sgpr_kernarg_preload_length 0
		.amdhsa_user_sgpr_kernarg_preload_offset 0
		.amdhsa_user_sgpr_private_segment_size 0
		.amdhsa_uses_dynamic_stack 0
		.amdhsa_system_sgpr_private_segment_wavefront_offset 0
		.amdhsa_system_sgpr_workgroup_id_x 1
		.amdhsa_system_sgpr_workgroup_id_y 0
		.amdhsa_system_sgpr_workgroup_id_z 0
		.amdhsa_system_sgpr_workgroup_info 0
		.amdhsa_system_vgpr_workitem_id 0
		.amdhsa_next_free_vgpr 1
		.amdhsa_next_free_sgpr 0
		.amdhsa_accum_offset 4
		.amdhsa_reserve_vcc 0
		.amdhsa_reserve_flat_scratch 0
		.amdhsa_float_round_mode_32 0
		.amdhsa_float_round_mode_16_64 0
		.amdhsa_float_denorm_mode_32 3
		.amdhsa_float_denorm_mode_16_64 3
		.amdhsa_dx10_clamp 1
		.amdhsa_ieee_mode 1
		.amdhsa_fp16_overflow 0
		.amdhsa_tg_split 0
		.amdhsa_exception_fp_ieee_invalid_op 0
		.amdhsa_exception_fp_denorm_src 0
		.amdhsa_exception_fp_ieee_div_zero 0
		.amdhsa_exception_fp_ieee_overflow 0
		.amdhsa_exception_fp_ieee_underflow 0
		.amdhsa_exception_fp_ieee_inexact 0
		.amdhsa_exception_int_div_zero 0
	.end_amdhsa_kernel
	.section	.text._ZN7rocprim17ROCPRIM_400000_NS6detail17trampoline_kernelINS0_14default_configENS1_21merge_config_selectorIfNS0_10empty_typeEEEZNS1_10merge_implIS3_N6thrust23THRUST_200600_302600_NS6detail15normal_iteratorINS9_10device_ptrIKfEEEESF_NSB_INSC_IfEEEEPS5_SI_SI_NS9_7greaterIfEEEE10hipError_tPvRmT0_T1_T2_T3_T4_T5_mmT6_P12ihipStream_tbEUlT_E0_NS1_11comp_targetILNS1_3genE9ELNS1_11target_archE1100ELNS1_3gpuE3ELNS1_3repE0EEENS1_30default_config_static_selectorELNS0_4arch9wavefront6targetE1EEEvSP_,"axG",@progbits,_ZN7rocprim17ROCPRIM_400000_NS6detail17trampoline_kernelINS0_14default_configENS1_21merge_config_selectorIfNS0_10empty_typeEEEZNS1_10merge_implIS3_N6thrust23THRUST_200600_302600_NS6detail15normal_iteratorINS9_10device_ptrIKfEEEESF_NSB_INSC_IfEEEEPS5_SI_SI_NS9_7greaterIfEEEE10hipError_tPvRmT0_T1_T2_T3_T4_T5_mmT6_P12ihipStream_tbEUlT_E0_NS1_11comp_targetILNS1_3genE9ELNS1_11target_archE1100ELNS1_3gpuE3ELNS1_3repE0EEENS1_30default_config_static_selectorELNS0_4arch9wavefront6targetE1EEEvSP_,comdat
.Lfunc_end495:
	.size	_ZN7rocprim17ROCPRIM_400000_NS6detail17trampoline_kernelINS0_14default_configENS1_21merge_config_selectorIfNS0_10empty_typeEEEZNS1_10merge_implIS3_N6thrust23THRUST_200600_302600_NS6detail15normal_iteratorINS9_10device_ptrIKfEEEESF_NSB_INSC_IfEEEEPS5_SI_SI_NS9_7greaterIfEEEE10hipError_tPvRmT0_T1_T2_T3_T4_T5_mmT6_P12ihipStream_tbEUlT_E0_NS1_11comp_targetILNS1_3genE9ELNS1_11target_archE1100ELNS1_3gpuE3ELNS1_3repE0EEENS1_30default_config_static_selectorELNS0_4arch9wavefront6targetE1EEEvSP_, .Lfunc_end495-_ZN7rocprim17ROCPRIM_400000_NS6detail17trampoline_kernelINS0_14default_configENS1_21merge_config_selectorIfNS0_10empty_typeEEEZNS1_10merge_implIS3_N6thrust23THRUST_200600_302600_NS6detail15normal_iteratorINS9_10device_ptrIKfEEEESF_NSB_INSC_IfEEEEPS5_SI_SI_NS9_7greaterIfEEEE10hipError_tPvRmT0_T1_T2_T3_T4_T5_mmT6_P12ihipStream_tbEUlT_E0_NS1_11comp_targetILNS1_3genE9ELNS1_11target_archE1100ELNS1_3gpuE3ELNS1_3repE0EEENS1_30default_config_static_selectorELNS0_4arch9wavefront6targetE1EEEvSP_
                                        ; -- End function
	.section	.AMDGPU.csdata,"",@progbits
; Kernel info:
; codeLenInByte = 0
; NumSgprs: 4
; NumVgprs: 0
; NumAgprs: 0
; TotalNumVgprs: 0
; ScratchSize: 0
; MemoryBound: 0
; FloatMode: 240
; IeeeMode: 1
; LDSByteSize: 0 bytes/workgroup (compile time only)
; SGPRBlocks: 0
; VGPRBlocks: 0
; NumSGPRsForWavesPerEU: 4
; NumVGPRsForWavesPerEU: 1
; AccumOffset: 4
; Occupancy: 8
; WaveLimiterHint : 0
; COMPUTE_PGM_RSRC2:SCRATCH_EN: 0
; COMPUTE_PGM_RSRC2:USER_SGPR: 6
; COMPUTE_PGM_RSRC2:TRAP_HANDLER: 0
; COMPUTE_PGM_RSRC2:TGID_X_EN: 1
; COMPUTE_PGM_RSRC2:TGID_Y_EN: 0
; COMPUTE_PGM_RSRC2:TGID_Z_EN: 0
; COMPUTE_PGM_RSRC2:TIDIG_COMP_CNT: 0
; COMPUTE_PGM_RSRC3_GFX90A:ACCUM_OFFSET: 0
; COMPUTE_PGM_RSRC3_GFX90A:TG_SPLIT: 0
	.section	.text._ZN7rocprim17ROCPRIM_400000_NS6detail17trampoline_kernelINS0_14default_configENS1_21merge_config_selectorIfNS0_10empty_typeEEEZNS1_10merge_implIS3_N6thrust23THRUST_200600_302600_NS6detail15normal_iteratorINS9_10device_ptrIKfEEEESF_NSB_INSC_IfEEEEPS5_SI_SI_NS9_7greaterIfEEEE10hipError_tPvRmT0_T1_T2_T3_T4_T5_mmT6_P12ihipStream_tbEUlT_E0_NS1_11comp_targetILNS1_3genE8ELNS1_11target_archE1030ELNS1_3gpuE2ELNS1_3repE0EEENS1_30default_config_static_selectorELNS0_4arch9wavefront6targetE1EEEvSP_,"axG",@progbits,_ZN7rocprim17ROCPRIM_400000_NS6detail17trampoline_kernelINS0_14default_configENS1_21merge_config_selectorIfNS0_10empty_typeEEEZNS1_10merge_implIS3_N6thrust23THRUST_200600_302600_NS6detail15normal_iteratorINS9_10device_ptrIKfEEEESF_NSB_INSC_IfEEEEPS5_SI_SI_NS9_7greaterIfEEEE10hipError_tPvRmT0_T1_T2_T3_T4_T5_mmT6_P12ihipStream_tbEUlT_E0_NS1_11comp_targetILNS1_3genE8ELNS1_11target_archE1030ELNS1_3gpuE2ELNS1_3repE0EEENS1_30default_config_static_selectorELNS0_4arch9wavefront6targetE1EEEvSP_,comdat
	.protected	_ZN7rocprim17ROCPRIM_400000_NS6detail17trampoline_kernelINS0_14default_configENS1_21merge_config_selectorIfNS0_10empty_typeEEEZNS1_10merge_implIS3_N6thrust23THRUST_200600_302600_NS6detail15normal_iteratorINS9_10device_ptrIKfEEEESF_NSB_INSC_IfEEEEPS5_SI_SI_NS9_7greaterIfEEEE10hipError_tPvRmT0_T1_T2_T3_T4_T5_mmT6_P12ihipStream_tbEUlT_E0_NS1_11comp_targetILNS1_3genE8ELNS1_11target_archE1030ELNS1_3gpuE2ELNS1_3repE0EEENS1_30default_config_static_selectorELNS0_4arch9wavefront6targetE1EEEvSP_ ; -- Begin function _ZN7rocprim17ROCPRIM_400000_NS6detail17trampoline_kernelINS0_14default_configENS1_21merge_config_selectorIfNS0_10empty_typeEEEZNS1_10merge_implIS3_N6thrust23THRUST_200600_302600_NS6detail15normal_iteratorINS9_10device_ptrIKfEEEESF_NSB_INSC_IfEEEEPS5_SI_SI_NS9_7greaterIfEEEE10hipError_tPvRmT0_T1_T2_T3_T4_T5_mmT6_P12ihipStream_tbEUlT_E0_NS1_11comp_targetILNS1_3genE8ELNS1_11target_archE1030ELNS1_3gpuE2ELNS1_3repE0EEENS1_30default_config_static_selectorELNS0_4arch9wavefront6targetE1EEEvSP_
	.globl	_ZN7rocprim17ROCPRIM_400000_NS6detail17trampoline_kernelINS0_14default_configENS1_21merge_config_selectorIfNS0_10empty_typeEEEZNS1_10merge_implIS3_N6thrust23THRUST_200600_302600_NS6detail15normal_iteratorINS9_10device_ptrIKfEEEESF_NSB_INSC_IfEEEEPS5_SI_SI_NS9_7greaterIfEEEE10hipError_tPvRmT0_T1_T2_T3_T4_T5_mmT6_P12ihipStream_tbEUlT_E0_NS1_11comp_targetILNS1_3genE8ELNS1_11target_archE1030ELNS1_3gpuE2ELNS1_3repE0EEENS1_30default_config_static_selectorELNS0_4arch9wavefront6targetE1EEEvSP_
	.p2align	8
	.type	_ZN7rocprim17ROCPRIM_400000_NS6detail17trampoline_kernelINS0_14default_configENS1_21merge_config_selectorIfNS0_10empty_typeEEEZNS1_10merge_implIS3_N6thrust23THRUST_200600_302600_NS6detail15normal_iteratorINS9_10device_ptrIKfEEEESF_NSB_INSC_IfEEEEPS5_SI_SI_NS9_7greaterIfEEEE10hipError_tPvRmT0_T1_T2_T3_T4_T5_mmT6_P12ihipStream_tbEUlT_E0_NS1_11comp_targetILNS1_3genE8ELNS1_11target_archE1030ELNS1_3gpuE2ELNS1_3repE0EEENS1_30default_config_static_selectorELNS0_4arch9wavefront6targetE1EEEvSP_,@function
_ZN7rocprim17ROCPRIM_400000_NS6detail17trampoline_kernelINS0_14default_configENS1_21merge_config_selectorIfNS0_10empty_typeEEEZNS1_10merge_implIS3_N6thrust23THRUST_200600_302600_NS6detail15normal_iteratorINS9_10device_ptrIKfEEEESF_NSB_INSC_IfEEEEPS5_SI_SI_NS9_7greaterIfEEEE10hipError_tPvRmT0_T1_T2_T3_T4_T5_mmT6_P12ihipStream_tbEUlT_E0_NS1_11comp_targetILNS1_3genE8ELNS1_11target_archE1030ELNS1_3gpuE2ELNS1_3repE0EEENS1_30default_config_static_selectorELNS0_4arch9wavefront6targetE1EEEvSP_: ; @_ZN7rocprim17ROCPRIM_400000_NS6detail17trampoline_kernelINS0_14default_configENS1_21merge_config_selectorIfNS0_10empty_typeEEEZNS1_10merge_implIS3_N6thrust23THRUST_200600_302600_NS6detail15normal_iteratorINS9_10device_ptrIKfEEEESF_NSB_INSC_IfEEEEPS5_SI_SI_NS9_7greaterIfEEEE10hipError_tPvRmT0_T1_T2_T3_T4_T5_mmT6_P12ihipStream_tbEUlT_E0_NS1_11comp_targetILNS1_3genE8ELNS1_11target_archE1030ELNS1_3gpuE2ELNS1_3repE0EEENS1_30default_config_static_selectorELNS0_4arch9wavefront6targetE1EEEvSP_
; %bb.0:
	.section	.rodata,"a",@progbits
	.p2align	6, 0x0
	.amdhsa_kernel _ZN7rocprim17ROCPRIM_400000_NS6detail17trampoline_kernelINS0_14default_configENS1_21merge_config_selectorIfNS0_10empty_typeEEEZNS1_10merge_implIS3_N6thrust23THRUST_200600_302600_NS6detail15normal_iteratorINS9_10device_ptrIKfEEEESF_NSB_INSC_IfEEEEPS5_SI_SI_NS9_7greaterIfEEEE10hipError_tPvRmT0_T1_T2_T3_T4_T5_mmT6_P12ihipStream_tbEUlT_E0_NS1_11comp_targetILNS1_3genE8ELNS1_11target_archE1030ELNS1_3gpuE2ELNS1_3repE0EEENS1_30default_config_static_selectorELNS0_4arch9wavefront6targetE1EEEvSP_
		.amdhsa_group_segment_fixed_size 0
		.amdhsa_private_segment_fixed_size 0
		.amdhsa_kernarg_size 88
		.amdhsa_user_sgpr_count 6
		.amdhsa_user_sgpr_private_segment_buffer 1
		.amdhsa_user_sgpr_dispatch_ptr 0
		.amdhsa_user_sgpr_queue_ptr 0
		.amdhsa_user_sgpr_kernarg_segment_ptr 1
		.amdhsa_user_sgpr_dispatch_id 0
		.amdhsa_user_sgpr_flat_scratch_init 0
		.amdhsa_user_sgpr_kernarg_preload_length 0
		.amdhsa_user_sgpr_kernarg_preload_offset 0
		.amdhsa_user_sgpr_private_segment_size 0
		.amdhsa_uses_dynamic_stack 0
		.amdhsa_system_sgpr_private_segment_wavefront_offset 0
		.amdhsa_system_sgpr_workgroup_id_x 1
		.amdhsa_system_sgpr_workgroup_id_y 0
		.amdhsa_system_sgpr_workgroup_id_z 0
		.amdhsa_system_sgpr_workgroup_info 0
		.amdhsa_system_vgpr_workitem_id 0
		.amdhsa_next_free_vgpr 1
		.amdhsa_next_free_sgpr 0
		.amdhsa_accum_offset 4
		.amdhsa_reserve_vcc 0
		.amdhsa_reserve_flat_scratch 0
		.amdhsa_float_round_mode_32 0
		.amdhsa_float_round_mode_16_64 0
		.amdhsa_float_denorm_mode_32 3
		.amdhsa_float_denorm_mode_16_64 3
		.amdhsa_dx10_clamp 1
		.amdhsa_ieee_mode 1
		.amdhsa_fp16_overflow 0
		.amdhsa_tg_split 0
		.amdhsa_exception_fp_ieee_invalid_op 0
		.amdhsa_exception_fp_denorm_src 0
		.amdhsa_exception_fp_ieee_div_zero 0
		.amdhsa_exception_fp_ieee_overflow 0
		.amdhsa_exception_fp_ieee_underflow 0
		.amdhsa_exception_fp_ieee_inexact 0
		.amdhsa_exception_int_div_zero 0
	.end_amdhsa_kernel
	.section	.text._ZN7rocprim17ROCPRIM_400000_NS6detail17trampoline_kernelINS0_14default_configENS1_21merge_config_selectorIfNS0_10empty_typeEEEZNS1_10merge_implIS3_N6thrust23THRUST_200600_302600_NS6detail15normal_iteratorINS9_10device_ptrIKfEEEESF_NSB_INSC_IfEEEEPS5_SI_SI_NS9_7greaterIfEEEE10hipError_tPvRmT0_T1_T2_T3_T4_T5_mmT6_P12ihipStream_tbEUlT_E0_NS1_11comp_targetILNS1_3genE8ELNS1_11target_archE1030ELNS1_3gpuE2ELNS1_3repE0EEENS1_30default_config_static_selectorELNS0_4arch9wavefront6targetE1EEEvSP_,"axG",@progbits,_ZN7rocprim17ROCPRIM_400000_NS6detail17trampoline_kernelINS0_14default_configENS1_21merge_config_selectorIfNS0_10empty_typeEEEZNS1_10merge_implIS3_N6thrust23THRUST_200600_302600_NS6detail15normal_iteratorINS9_10device_ptrIKfEEEESF_NSB_INSC_IfEEEEPS5_SI_SI_NS9_7greaterIfEEEE10hipError_tPvRmT0_T1_T2_T3_T4_T5_mmT6_P12ihipStream_tbEUlT_E0_NS1_11comp_targetILNS1_3genE8ELNS1_11target_archE1030ELNS1_3gpuE2ELNS1_3repE0EEENS1_30default_config_static_selectorELNS0_4arch9wavefront6targetE1EEEvSP_,comdat
.Lfunc_end496:
	.size	_ZN7rocprim17ROCPRIM_400000_NS6detail17trampoline_kernelINS0_14default_configENS1_21merge_config_selectorIfNS0_10empty_typeEEEZNS1_10merge_implIS3_N6thrust23THRUST_200600_302600_NS6detail15normal_iteratorINS9_10device_ptrIKfEEEESF_NSB_INSC_IfEEEEPS5_SI_SI_NS9_7greaterIfEEEE10hipError_tPvRmT0_T1_T2_T3_T4_T5_mmT6_P12ihipStream_tbEUlT_E0_NS1_11comp_targetILNS1_3genE8ELNS1_11target_archE1030ELNS1_3gpuE2ELNS1_3repE0EEENS1_30default_config_static_selectorELNS0_4arch9wavefront6targetE1EEEvSP_, .Lfunc_end496-_ZN7rocprim17ROCPRIM_400000_NS6detail17trampoline_kernelINS0_14default_configENS1_21merge_config_selectorIfNS0_10empty_typeEEEZNS1_10merge_implIS3_N6thrust23THRUST_200600_302600_NS6detail15normal_iteratorINS9_10device_ptrIKfEEEESF_NSB_INSC_IfEEEEPS5_SI_SI_NS9_7greaterIfEEEE10hipError_tPvRmT0_T1_T2_T3_T4_T5_mmT6_P12ihipStream_tbEUlT_E0_NS1_11comp_targetILNS1_3genE8ELNS1_11target_archE1030ELNS1_3gpuE2ELNS1_3repE0EEENS1_30default_config_static_selectorELNS0_4arch9wavefront6targetE1EEEvSP_
                                        ; -- End function
	.section	.AMDGPU.csdata,"",@progbits
; Kernel info:
; codeLenInByte = 0
; NumSgprs: 4
; NumVgprs: 0
; NumAgprs: 0
; TotalNumVgprs: 0
; ScratchSize: 0
; MemoryBound: 0
; FloatMode: 240
; IeeeMode: 1
; LDSByteSize: 0 bytes/workgroup (compile time only)
; SGPRBlocks: 0
; VGPRBlocks: 0
; NumSGPRsForWavesPerEU: 4
; NumVGPRsForWavesPerEU: 1
; AccumOffset: 4
; Occupancy: 8
; WaveLimiterHint : 0
; COMPUTE_PGM_RSRC2:SCRATCH_EN: 0
; COMPUTE_PGM_RSRC2:USER_SGPR: 6
; COMPUTE_PGM_RSRC2:TRAP_HANDLER: 0
; COMPUTE_PGM_RSRC2:TGID_X_EN: 1
; COMPUTE_PGM_RSRC2:TGID_Y_EN: 0
; COMPUTE_PGM_RSRC2:TGID_Z_EN: 0
; COMPUTE_PGM_RSRC2:TIDIG_COMP_CNT: 0
; COMPUTE_PGM_RSRC3_GFX90A:ACCUM_OFFSET: 0
; COMPUTE_PGM_RSRC3_GFX90A:TG_SPLIT: 0
	.section	.text._ZN7rocprim17ROCPRIM_400000_NS6detail17trampoline_kernelINS0_14default_configENS1_21merge_config_selectorIyNS0_10empty_typeEEEZNS1_10merge_implIS3_N6thrust23THRUST_200600_302600_NS6detail15normal_iteratorINS9_10device_ptrIKyEEEESF_NSB_INSC_IyEEEEPS5_SI_SI_NS9_7greaterIyEEEE10hipError_tPvRmT0_T1_T2_T3_T4_T5_mmT6_P12ihipStream_tbEUlT_E_NS1_11comp_targetILNS1_3genE0ELNS1_11target_archE4294967295ELNS1_3gpuE0ELNS1_3repE0EEENS1_30default_config_static_selectorELNS0_4arch9wavefront6targetE1EEEvSP_,"axG",@progbits,_ZN7rocprim17ROCPRIM_400000_NS6detail17trampoline_kernelINS0_14default_configENS1_21merge_config_selectorIyNS0_10empty_typeEEEZNS1_10merge_implIS3_N6thrust23THRUST_200600_302600_NS6detail15normal_iteratorINS9_10device_ptrIKyEEEESF_NSB_INSC_IyEEEEPS5_SI_SI_NS9_7greaterIyEEEE10hipError_tPvRmT0_T1_T2_T3_T4_T5_mmT6_P12ihipStream_tbEUlT_E_NS1_11comp_targetILNS1_3genE0ELNS1_11target_archE4294967295ELNS1_3gpuE0ELNS1_3repE0EEENS1_30default_config_static_selectorELNS0_4arch9wavefront6targetE1EEEvSP_,comdat
	.protected	_ZN7rocprim17ROCPRIM_400000_NS6detail17trampoline_kernelINS0_14default_configENS1_21merge_config_selectorIyNS0_10empty_typeEEEZNS1_10merge_implIS3_N6thrust23THRUST_200600_302600_NS6detail15normal_iteratorINS9_10device_ptrIKyEEEESF_NSB_INSC_IyEEEEPS5_SI_SI_NS9_7greaterIyEEEE10hipError_tPvRmT0_T1_T2_T3_T4_T5_mmT6_P12ihipStream_tbEUlT_E_NS1_11comp_targetILNS1_3genE0ELNS1_11target_archE4294967295ELNS1_3gpuE0ELNS1_3repE0EEENS1_30default_config_static_selectorELNS0_4arch9wavefront6targetE1EEEvSP_ ; -- Begin function _ZN7rocprim17ROCPRIM_400000_NS6detail17trampoline_kernelINS0_14default_configENS1_21merge_config_selectorIyNS0_10empty_typeEEEZNS1_10merge_implIS3_N6thrust23THRUST_200600_302600_NS6detail15normal_iteratorINS9_10device_ptrIKyEEEESF_NSB_INSC_IyEEEEPS5_SI_SI_NS9_7greaterIyEEEE10hipError_tPvRmT0_T1_T2_T3_T4_T5_mmT6_P12ihipStream_tbEUlT_E_NS1_11comp_targetILNS1_3genE0ELNS1_11target_archE4294967295ELNS1_3gpuE0ELNS1_3repE0EEENS1_30default_config_static_selectorELNS0_4arch9wavefront6targetE1EEEvSP_
	.globl	_ZN7rocprim17ROCPRIM_400000_NS6detail17trampoline_kernelINS0_14default_configENS1_21merge_config_selectorIyNS0_10empty_typeEEEZNS1_10merge_implIS3_N6thrust23THRUST_200600_302600_NS6detail15normal_iteratorINS9_10device_ptrIKyEEEESF_NSB_INSC_IyEEEEPS5_SI_SI_NS9_7greaterIyEEEE10hipError_tPvRmT0_T1_T2_T3_T4_T5_mmT6_P12ihipStream_tbEUlT_E_NS1_11comp_targetILNS1_3genE0ELNS1_11target_archE4294967295ELNS1_3gpuE0ELNS1_3repE0EEENS1_30default_config_static_selectorELNS0_4arch9wavefront6targetE1EEEvSP_
	.p2align	8
	.type	_ZN7rocprim17ROCPRIM_400000_NS6detail17trampoline_kernelINS0_14default_configENS1_21merge_config_selectorIyNS0_10empty_typeEEEZNS1_10merge_implIS3_N6thrust23THRUST_200600_302600_NS6detail15normal_iteratorINS9_10device_ptrIKyEEEESF_NSB_INSC_IyEEEEPS5_SI_SI_NS9_7greaterIyEEEE10hipError_tPvRmT0_T1_T2_T3_T4_T5_mmT6_P12ihipStream_tbEUlT_E_NS1_11comp_targetILNS1_3genE0ELNS1_11target_archE4294967295ELNS1_3gpuE0ELNS1_3repE0EEENS1_30default_config_static_selectorELNS0_4arch9wavefront6targetE1EEEvSP_,@function
_ZN7rocprim17ROCPRIM_400000_NS6detail17trampoline_kernelINS0_14default_configENS1_21merge_config_selectorIyNS0_10empty_typeEEEZNS1_10merge_implIS3_N6thrust23THRUST_200600_302600_NS6detail15normal_iteratorINS9_10device_ptrIKyEEEESF_NSB_INSC_IyEEEEPS5_SI_SI_NS9_7greaterIyEEEE10hipError_tPvRmT0_T1_T2_T3_T4_T5_mmT6_P12ihipStream_tbEUlT_E_NS1_11comp_targetILNS1_3genE0ELNS1_11target_archE4294967295ELNS1_3gpuE0ELNS1_3repE0EEENS1_30default_config_static_selectorELNS0_4arch9wavefront6targetE1EEEvSP_: ; @_ZN7rocprim17ROCPRIM_400000_NS6detail17trampoline_kernelINS0_14default_configENS1_21merge_config_selectorIyNS0_10empty_typeEEEZNS1_10merge_implIS3_N6thrust23THRUST_200600_302600_NS6detail15normal_iteratorINS9_10device_ptrIKyEEEESF_NSB_INSC_IyEEEEPS5_SI_SI_NS9_7greaterIyEEEE10hipError_tPvRmT0_T1_T2_T3_T4_T5_mmT6_P12ihipStream_tbEUlT_E_NS1_11comp_targetILNS1_3genE0ELNS1_11target_archE4294967295ELNS1_3gpuE0ELNS1_3repE0EEENS1_30default_config_static_selectorELNS0_4arch9wavefront6targetE1EEEvSP_
; %bb.0:
	.section	.rodata,"a",@progbits
	.p2align	6, 0x0
	.amdhsa_kernel _ZN7rocprim17ROCPRIM_400000_NS6detail17trampoline_kernelINS0_14default_configENS1_21merge_config_selectorIyNS0_10empty_typeEEEZNS1_10merge_implIS3_N6thrust23THRUST_200600_302600_NS6detail15normal_iteratorINS9_10device_ptrIKyEEEESF_NSB_INSC_IyEEEEPS5_SI_SI_NS9_7greaterIyEEEE10hipError_tPvRmT0_T1_T2_T3_T4_T5_mmT6_P12ihipStream_tbEUlT_E_NS1_11comp_targetILNS1_3genE0ELNS1_11target_archE4294967295ELNS1_3gpuE0ELNS1_3repE0EEENS1_30default_config_static_selectorELNS0_4arch9wavefront6targetE1EEEvSP_
		.amdhsa_group_segment_fixed_size 0
		.amdhsa_private_segment_fixed_size 0
		.amdhsa_kernarg_size 48
		.amdhsa_user_sgpr_count 6
		.amdhsa_user_sgpr_private_segment_buffer 1
		.amdhsa_user_sgpr_dispatch_ptr 0
		.amdhsa_user_sgpr_queue_ptr 0
		.amdhsa_user_sgpr_kernarg_segment_ptr 1
		.amdhsa_user_sgpr_dispatch_id 0
		.amdhsa_user_sgpr_flat_scratch_init 0
		.amdhsa_user_sgpr_kernarg_preload_length 0
		.amdhsa_user_sgpr_kernarg_preload_offset 0
		.amdhsa_user_sgpr_private_segment_size 0
		.amdhsa_uses_dynamic_stack 0
		.amdhsa_system_sgpr_private_segment_wavefront_offset 0
		.amdhsa_system_sgpr_workgroup_id_x 1
		.amdhsa_system_sgpr_workgroup_id_y 0
		.amdhsa_system_sgpr_workgroup_id_z 0
		.amdhsa_system_sgpr_workgroup_info 0
		.amdhsa_system_vgpr_workitem_id 0
		.amdhsa_next_free_vgpr 1
		.amdhsa_next_free_sgpr 0
		.amdhsa_accum_offset 4
		.amdhsa_reserve_vcc 0
		.amdhsa_reserve_flat_scratch 0
		.amdhsa_float_round_mode_32 0
		.amdhsa_float_round_mode_16_64 0
		.amdhsa_float_denorm_mode_32 3
		.amdhsa_float_denorm_mode_16_64 3
		.amdhsa_dx10_clamp 1
		.amdhsa_ieee_mode 1
		.amdhsa_fp16_overflow 0
		.amdhsa_tg_split 0
		.amdhsa_exception_fp_ieee_invalid_op 0
		.amdhsa_exception_fp_denorm_src 0
		.amdhsa_exception_fp_ieee_div_zero 0
		.amdhsa_exception_fp_ieee_overflow 0
		.amdhsa_exception_fp_ieee_underflow 0
		.amdhsa_exception_fp_ieee_inexact 0
		.amdhsa_exception_int_div_zero 0
	.end_amdhsa_kernel
	.section	.text._ZN7rocprim17ROCPRIM_400000_NS6detail17trampoline_kernelINS0_14default_configENS1_21merge_config_selectorIyNS0_10empty_typeEEEZNS1_10merge_implIS3_N6thrust23THRUST_200600_302600_NS6detail15normal_iteratorINS9_10device_ptrIKyEEEESF_NSB_INSC_IyEEEEPS5_SI_SI_NS9_7greaterIyEEEE10hipError_tPvRmT0_T1_T2_T3_T4_T5_mmT6_P12ihipStream_tbEUlT_E_NS1_11comp_targetILNS1_3genE0ELNS1_11target_archE4294967295ELNS1_3gpuE0ELNS1_3repE0EEENS1_30default_config_static_selectorELNS0_4arch9wavefront6targetE1EEEvSP_,"axG",@progbits,_ZN7rocprim17ROCPRIM_400000_NS6detail17trampoline_kernelINS0_14default_configENS1_21merge_config_selectorIyNS0_10empty_typeEEEZNS1_10merge_implIS3_N6thrust23THRUST_200600_302600_NS6detail15normal_iteratorINS9_10device_ptrIKyEEEESF_NSB_INSC_IyEEEEPS5_SI_SI_NS9_7greaterIyEEEE10hipError_tPvRmT0_T1_T2_T3_T4_T5_mmT6_P12ihipStream_tbEUlT_E_NS1_11comp_targetILNS1_3genE0ELNS1_11target_archE4294967295ELNS1_3gpuE0ELNS1_3repE0EEENS1_30default_config_static_selectorELNS0_4arch9wavefront6targetE1EEEvSP_,comdat
.Lfunc_end497:
	.size	_ZN7rocprim17ROCPRIM_400000_NS6detail17trampoline_kernelINS0_14default_configENS1_21merge_config_selectorIyNS0_10empty_typeEEEZNS1_10merge_implIS3_N6thrust23THRUST_200600_302600_NS6detail15normal_iteratorINS9_10device_ptrIKyEEEESF_NSB_INSC_IyEEEEPS5_SI_SI_NS9_7greaterIyEEEE10hipError_tPvRmT0_T1_T2_T3_T4_T5_mmT6_P12ihipStream_tbEUlT_E_NS1_11comp_targetILNS1_3genE0ELNS1_11target_archE4294967295ELNS1_3gpuE0ELNS1_3repE0EEENS1_30default_config_static_selectorELNS0_4arch9wavefront6targetE1EEEvSP_, .Lfunc_end497-_ZN7rocprim17ROCPRIM_400000_NS6detail17trampoline_kernelINS0_14default_configENS1_21merge_config_selectorIyNS0_10empty_typeEEEZNS1_10merge_implIS3_N6thrust23THRUST_200600_302600_NS6detail15normal_iteratorINS9_10device_ptrIKyEEEESF_NSB_INSC_IyEEEEPS5_SI_SI_NS9_7greaterIyEEEE10hipError_tPvRmT0_T1_T2_T3_T4_T5_mmT6_P12ihipStream_tbEUlT_E_NS1_11comp_targetILNS1_3genE0ELNS1_11target_archE4294967295ELNS1_3gpuE0ELNS1_3repE0EEENS1_30default_config_static_selectorELNS0_4arch9wavefront6targetE1EEEvSP_
                                        ; -- End function
	.section	.AMDGPU.csdata,"",@progbits
; Kernel info:
; codeLenInByte = 0
; NumSgprs: 4
; NumVgprs: 0
; NumAgprs: 0
; TotalNumVgprs: 0
; ScratchSize: 0
; MemoryBound: 0
; FloatMode: 240
; IeeeMode: 1
; LDSByteSize: 0 bytes/workgroup (compile time only)
; SGPRBlocks: 0
; VGPRBlocks: 0
; NumSGPRsForWavesPerEU: 4
; NumVGPRsForWavesPerEU: 1
; AccumOffset: 4
; Occupancy: 8
; WaveLimiterHint : 0
; COMPUTE_PGM_RSRC2:SCRATCH_EN: 0
; COMPUTE_PGM_RSRC2:USER_SGPR: 6
; COMPUTE_PGM_RSRC2:TRAP_HANDLER: 0
; COMPUTE_PGM_RSRC2:TGID_X_EN: 1
; COMPUTE_PGM_RSRC2:TGID_Y_EN: 0
; COMPUTE_PGM_RSRC2:TGID_Z_EN: 0
; COMPUTE_PGM_RSRC2:TIDIG_COMP_CNT: 0
; COMPUTE_PGM_RSRC3_GFX90A:ACCUM_OFFSET: 0
; COMPUTE_PGM_RSRC3_GFX90A:TG_SPLIT: 0
	.section	.text._ZN7rocprim17ROCPRIM_400000_NS6detail17trampoline_kernelINS0_14default_configENS1_21merge_config_selectorIyNS0_10empty_typeEEEZNS1_10merge_implIS3_N6thrust23THRUST_200600_302600_NS6detail15normal_iteratorINS9_10device_ptrIKyEEEESF_NSB_INSC_IyEEEEPS5_SI_SI_NS9_7greaterIyEEEE10hipError_tPvRmT0_T1_T2_T3_T4_T5_mmT6_P12ihipStream_tbEUlT_E_NS1_11comp_targetILNS1_3genE5ELNS1_11target_archE942ELNS1_3gpuE9ELNS1_3repE0EEENS1_30default_config_static_selectorELNS0_4arch9wavefront6targetE1EEEvSP_,"axG",@progbits,_ZN7rocprim17ROCPRIM_400000_NS6detail17trampoline_kernelINS0_14default_configENS1_21merge_config_selectorIyNS0_10empty_typeEEEZNS1_10merge_implIS3_N6thrust23THRUST_200600_302600_NS6detail15normal_iteratorINS9_10device_ptrIKyEEEESF_NSB_INSC_IyEEEEPS5_SI_SI_NS9_7greaterIyEEEE10hipError_tPvRmT0_T1_T2_T3_T4_T5_mmT6_P12ihipStream_tbEUlT_E_NS1_11comp_targetILNS1_3genE5ELNS1_11target_archE942ELNS1_3gpuE9ELNS1_3repE0EEENS1_30default_config_static_selectorELNS0_4arch9wavefront6targetE1EEEvSP_,comdat
	.protected	_ZN7rocprim17ROCPRIM_400000_NS6detail17trampoline_kernelINS0_14default_configENS1_21merge_config_selectorIyNS0_10empty_typeEEEZNS1_10merge_implIS3_N6thrust23THRUST_200600_302600_NS6detail15normal_iteratorINS9_10device_ptrIKyEEEESF_NSB_INSC_IyEEEEPS5_SI_SI_NS9_7greaterIyEEEE10hipError_tPvRmT0_T1_T2_T3_T4_T5_mmT6_P12ihipStream_tbEUlT_E_NS1_11comp_targetILNS1_3genE5ELNS1_11target_archE942ELNS1_3gpuE9ELNS1_3repE0EEENS1_30default_config_static_selectorELNS0_4arch9wavefront6targetE1EEEvSP_ ; -- Begin function _ZN7rocprim17ROCPRIM_400000_NS6detail17trampoline_kernelINS0_14default_configENS1_21merge_config_selectorIyNS0_10empty_typeEEEZNS1_10merge_implIS3_N6thrust23THRUST_200600_302600_NS6detail15normal_iteratorINS9_10device_ptrIKyEEEESF_NSB_INSC_IyEEEEPS5_SI_SI_NS9_7greaterIyEEEE10hipError_tPvRmT0_T1_T2_T3_T4_T5_mmT6_P12ihipStream_tbEUlT_E_NS1_11comp_targetILNS1_3genE5ELNS1_11target_archE942ELNS1_3gpuE9ELNS1_3repE0EEENS1_30default_config_static_selectorELNS0_4arch9wavefront6targetE1EEEvSP_
	.globl	_ZN7rocprim17ROCPRIM_400000_NS6detail17trampoline_kernelINS0_14default_configENS1_21merge_config_selectorIyNS0_10empty_typeEEEZNS1_10merge_implIS3_N6thrust23THRUST_200600_302600_NS6detail15normal_iteratorINS9_10device_ptrIKyEEEESF_NSB_INSC_IyEEEEPS5_SI_SI_NS9_7greaterIyEEEE10hipError_tPvRmT0_T1_T2_T3_T4_T5_mmT6_P12ihipStream_tbEUlT_E_NS1_11comp_targetILNS1_3genE5ELNS1_11target_archE942ELNS1_3gpuE9ELNS1_3repE0EEENS1_30default_config_static_selectorELNS0_4arch9wavefront6targetE1EEEvSP_
	.p2align	8
	.type	_ZN7rocprim17ROCPRIM_400000_NS6detail17trampoline_kernelINS0_14default_configENS1_21merge_config_selectorIyNS0_10empty_typeEEEZNS1_10merge_implIS3_N6thrust23THRUST_200600_302600_NS6detail15normal_iteratorINS9_10device_ptrIKyEEEESF_NSB_INSC_IyEEEEPS5_SI_SI_NS9_7greaterIyEEEE10hipError_tPvRmT0_T1_T2_T3_T4_T5_mmT6_P12ihipStream_tbEUlT_E_NS1_11comp_targetILNS1_3genE5ELNS1_11target_archE942ELNS1_3gpuE9ELNS1_3repE0EEENS1_30default_config_static_selectorELNS0_4arch9wavefront6targetE1EEEvSP_,@function
_ZN7rocprim17ROCPRIM_400000_NS6detail17trampoline_kernelINS0_14default_configENS1_21merge_config_selectorIyNS0_10empty_typeEEEZNS1_10merge_implIS3_N6thrust23THRUST_200600_302600_NS6detail15normal_iteratorINS9_10device_ptrIKyEEEESF_NSB_INSC_IyEEEEPS5_SI_SI_NS9_7greaterIyEEEE10hipError_tPvRmT0_T1_T2_T3_T4_T5_mmT6_P12ihipStream_tbEUlT_E_NS1_11comp_targetILNS1_3genE5ELNS1_11target_archE942ELNS1_3gpuE9ELNS1_3repE0EEENS1_30default_config_static_selectorELNS0_4arch9wavefront6targetE1EEEvSP_: ; @_ZN7rocprim17ROCPRIM_400000_NS6detail17trampoline_kernelINS0_14default_configENS1_21merge_config_selectorIyNS0_10empty_typeEEEZNS1_10merge_implIS3_N6thrust23THRUST_200600_302600_NS6detail15normal_iteratorINS9_10device_ptrIKyEEEESF_NSB_INSC_IyEEEEPS5_SI_SI_NS9_7greaterIyEEEE10hipError_tPvRmT0_T1_T2_T3_T4_T5_mmT6_P12ihipStream_tbEUlT_E_NS1_11comp_targetILNS1_3genE5ELNS1_11target_archE942ELNS1_3gpuE9ELNS1_3repE0EEENS1_30default_config_static_selectorELNS0_4arch9wavefront6targetE1EEEvSP_
; %bb.0:
	.section	.rodata,"a",@progbits
	.p2align	6, 0x0
	.amdhsa_kernel _ZN7rocprim17ROCPRIM_400000_NS6detail17trampoline_kernelINS0_14default_configENS1_21merge_config_selectorIyNS0_10empty_typeEEEZNS1_10merge_implIS3_N6thrust23THRUST_200600_302600_NS6detail15normal_iteratorINS9_10device_ptrIKyEEEESF_NSB_INSC_IyEEEEPS5_SI_SI_NS9_7greaterIyEEEE10hipError_tPvRmT0_T1_T2_T3_T4_T5_mmT6_P12ihipStream_tbEUlT_E_NS1_11comp_targetILNS1_3genE5ELNS1_11target_archE942ELNS1_3gpuE9ELNS1_3repE0EEENS1_30default_config_static_selectorELNS0_4arch9wavefront6targetE1EEEvSP_
		.amdhsa_group_segment_fixed_size 0
		.amdhsa_private_segment_fixed_size 0
		.amdhsa_kernarg_size 48
		.amdhsa_user_sgpr_count 6
		.amdhsa_user_sgpr_private_segment_buffer 1
		.amdhsa_user_sgpr_dispatch_ptr 0
		.amdhsa_user_sgpr_queue_ptr 0
		.amdhsa_user_sgpr_kernarg_segment_ptr 1
		.amdhsa_user_sgpr_dispatch_id 0
		.amdhsa_user_sgpr_flat_scratch_init 0
		.amdhsa_user_sgpr_kernarg_preload_length 0
		.amdhsa_user_sgpr_kernarg_preload_offset 0
		.amdhsa_user_sgpr_private_segment_size 0
		.amdhsa_uses_dynamic_stack 0
		.amdhsa_system_sgpr_private_segment_wavefront_offset 0
		.amdhsa_system_sgpr_workgroup_id_x 1
		.amdhsa_system_sgpr_workgroup_id_y 0
		.amdhsa_system_sgpr_workgroup_id_z 0
		.amdhsa_system_sgpr_workgroup_info 0
		.amdhsa_system_vgpr_workitem_id 0
		.amdhsa_next_free_vgpr 1
		.amdhsa_next_free_sgpr 0
		.amdhsa_accum_offset 4
		.amdhsa_reserve_vcc 0
		.amdhsa_reserve_flat_scratch 0
		.amdhsa_float_round_mode_32 0
		.amdhsa_float_round_mode_16_64 0
		.amdhsa_float_denorm_mode_32 3
		.amdhsa_float_denorm_mode_16_64 3
		.amdhsa_dx10_clamp 1
		.amdhsa_ieee_mode 1
		.amdhsa_fp16_overflow 0
		.amdhsa_tg_split 0
		.amdhsa_exception_fp_ieee_invalid_op 0
		.amdhsa_exception_fp_denorm_src 0
		.amdhsa_exception_fp_ieee_div_zero 0
		.amdhsa_exception_fp_ieee_overflow 0
		.amdhsa_exception_fp_ieee_underflow 0
		.amdhsa_exception_fp_ieee_inexact 0
		.amdhsa_exception_int_div_zero 0
	.end_amdhsa_kernel
	.section	.text._ZN7rocprim17ROCPRIM_400000_NS6detail17trampoline_kernelINS0_14default_configENS1_21merge_config_selectorIyNS0_10empty_typeEEEZNS1_10merge_implIS3_N6thrust23THRUST_200600_302600_NS6detail15normal_iteratorINS9_10device_ptrIKyEEEESF_NSB_INSC_IyEEEEPS5_SI_SI_NS9_7greaterIyEEEE10hipError_tPvRmT0_T1_T2_T3_T4_T5_mmT6_P12ihipStream_tbEUlT_E_NS1_11comp_targetILNS1_3genE5ELNS1_11target_archE942ELNS1_3gpuE9ELNS1_3repE0EEENS1_30default_config_static_selectorELNS0_4arch9wavefront6targetE1EEEvSP_,"axG",@progbits,_ZN7rocprim17ROCPRIM_400000_NS6detail17trampoline_kernelINS0_14default_configENS1_21merge_config_selectorIyNS0_10empty_typeEEEZNS1_10merge_implIS3_N6thrust23THRUST_200600_302600_NS6detail15normal_iteratorINS9_10device_ptrIKyEEEESF_NSB_INSC_IyEEEEPS5_SI_SI_NS9_7greaterIyEEEE10hipError_tPvRmT0_T1_T2_T3_T4_T5_mmT6_P12ihipStream_tbEUlT_E_NS1_11comp_targetILNS1_3genE5ELNS1_11target_archE942ELNS1_3gpuE9ELNS1_3repE0EEENS1_30default_config_static_selectorELNS0_4arch9wavefront6targetE1EEEvSP_,comdat
.Lfunc_end498:
	.size	_ZN7rocprim17ROCPRIM_400000_NS6detail17trampoline_kernelINS0_14default_configENS1_21merge_config_selectorIyNS0_10empty_typeEEEZNS1_10merge_implIS3_N6thrust23THRUST_200600_302600_NS6detail15normal_iteratorINS9_10device_ptrIKyEEEESF_NSB_INSC_IyEEEEPS5_SI_SI_NS9_7greaterIyEEEE10hipError_tPvRmT0_T1_T2_T3_T4_T5_mmT6_P12ihipStream_tbEUlT_E_NS1_11comp_targetILNS1_3genE5ELNS1_11target_archE942ELNS1_3gpuE9ELNS1_3repE0EEENS1_30default_config_static_selectorELNS0_4arch9wavefront6targetE1EEEvSP_, .Lfunc_end498-_ZN7rocprim17ROCPRIM_400000_NS6detail17trampoline_kernelINS0_14default_configENS1_21merge_config_selectorIyNS0_10empty_typeEEEZNS1_10merge_implIS3_N6thrust23THRUST_200600_302600_NS6detail15normal_iteratorINS9_10device_ptrIKyEEEESF_NSB_INSC_IyEEEEPS5_SI_SI_NS9_7greaterIyEEEE10hipError_tPvRmT0_T1_T2_T3_T4_T5_mmT6_P12ihipStream_tbEUlT_E_NS1_11comp_targetILNS1_3genE5ELNS1_11target_archE942ELNS1_3gpuE9ELNS1_3repE0EEENS1_30default_config_static_selectorELNS0_4arch9wavefront6targetE1EEEvSP_
                                        ; -- End function
	.section	.AMDGPU.csdata,"",@progbits
; Kernel info:
; codeLenInByte = 0
; NumSgprs: 4
; NumVgprs: 0
; NumAgprs: 0
; TotalNumVgprs: 0
; ScratchSize: 0
; MemoryBound: 0
; FloatMode: 240
; IeeeMode: 1
; LDSByteSize: 0 bytes/workgroup (compile time only)
; SGPRBlocks: 0
; VGPRBlocks: 0
; NumSGPRsForWavesPerEU: 4
; NumVGPRsForWavesPerEU: 1
; AccumOffset: 4
; Occupancy: 8
; WaveLimiterHint : 0
; COMPUTE_PGM_RSRC2:SCRATCH_EN: 0
; COMPUTE_PGM_RSRC2:USER_SGPR: 6
; COMPUTE_PGM_RSRC2:TRAP_HANDLER: 0
; COMPUTE_PGM_RSRC2:TGID_X_EN: 1
; COMPUTE_PGM_RSRC2:TGID_Y_EN: 0
; COMPUTE_PGM_RSRC2:TGID_Z_EN: 0
; COMPUTE_PGM_RSRC2:TIDIG_COMP_CNT: 0
; COMPUTE_PGM_RSRC3_GFX90A:ACCUM_OFFSET: 0
; COMPUTE_PGM_RSRC3_GFX90A:TG_SPLIT: 0
	.section	.text._ZN7rocprim17ROCPRIM_400000_NS6detail17trampoline_kernelINS0_14default_configENS1_21merge_config_selectorIyNS0_10empty_typeEEEZNS1_10merge_implIS3_N6thrust23THRUST_200600_302600_NS6detail15normal_iteratorINS9_10device_ptrIKyEEEESF_NSB_INSC_IyEEEEPS5_SI_SI_NS9_7greaterIyEEEE10hipError_tPvRmT0_T1_T2_T3_T4_T5_mmT6_P12ihipStream_tbEUlT_E_NS1_11comp_targetILNS1_3genE4ELNS1_11target_archE910ELNS1_3gpuE8ELNS1_3repE0EEENS1_30default_config_static_selectorELNS0_4arch9wavefront6targetE1EEEvSP_,"axG",@progbits,_ZN7rocprim17ROCPRIM_400000_NS6detail17trampoline_kernelINS0_14default_configENS1_21merge_config_selectorIyNS0_10empty_typeEEEZNS1_10merge_implIS3_N6thrust23THRUST_200600_302600_NS6detail15normal_iteratorINS9_10device_ptrIKyEEEESF_NSB_INSC_IyEEEEPS5_SI_SI_NS9_7greaterIyEEEE10hipError_tPvRmT0_T1_T2_T3_T4_T5_mmT6_P12ihipStream_tbEUlT_E_NS1_11comp_targetILNS1_3genE4ELNS1_11target_archE910ELNS1_3gpuE8ELNS1_3repE0EEENS1_30default_config_static_selectorELNS0_4arch9wavefront6targetE1EEEvSP_,comdat
	.protected	_ZN7rocprim17ROCPRIM_400000_NS6detail17trampoline_kernelINS0_14default_configENS1_21merge_config_selectorIyNS0_10empty_typeEEEZNS1_10merge_implIS3_N6thrust23THRUST_200600_302600_NS6detail15normal_iteratorINS9_10device_ptrIKyEEEESF_NSB_INSC_IyEEEEPS5_SI_SI_NS9_7greaterIyEEEE10hipError_tPvRmT0_T1_T2_T3_T4_T5_mmT6_P12ihipStream_tbEUlT_E_NS1_11comp_targetILNS1_3genE4ELNS1_11target_archE910ELNS1_3gpuE8ELNS1_3repE0EEENS1_30default_config_static_selectorELNS0_4arch9wavefront6targetE1EEEvSP_ ; -- Begin function _ZN7rocprim17ROCPRIM_400000_NS6detail17trampoline_kernelINS0_14default_configENS1_21merge_config_selectorIyNS0_10empty_typeEEEZNS1_10merge_implIS3_N6thrust23THRUST_200600_302600_NS6detail15normal_iteratorINS9_10device_ptrIKyEEEESF_NSB_INSC_IyEEEEPS5_SI_SI_NS9_7greaterIyEEEE10hipError_tPvRmT0_T1_T2_T3_T4_T5_mmT6_P12ihipStream_tbEUlT_E_NS1_11comp_targetILNS1_3genE4ELNS1_11target_archE910ELNS1_3gpuE8ELNS1_3repE0EEENS1_30default_config_static_selectorELNS0_4arch9wavefront6targetE1EEEvSP_
	.globl	_ZN7rocprim17ROCPRIM_400000_NS6detail17trampoline_kernelINS0_14default_configENS1_21merge_config_selectorIyNS0_10empty_typeEEEZNS1_10merge_implIS3_N6thrust23THRUST_200600_302600_NS6detail15normal_iteratorINS9_10device_ptrIKyEEEESF_NSB_INSC_IyEEEEPS5_SI_SI_NS9_7greaterIyEEEE10hipError_tPvRmT0_T1_T2_T3_T4_T5_mmT6_P12ihipStream_tbEUlT_E_NS1_11comp_targetILNS1_3genE4ELNS1_11target_archE910ELNS1_3gpuE8ELNS1_3repE0EEENS1_30default_config_static_selectorELNS0_4arch9wavefront6targetE1EEEvSP_
	.p2align	8
	.type	_ZN7rocprim17ROCPRIM_400000_NS6detail17trampoline_kernelINS0_14default_configENS1_21merge_config_selectorIyNS0_10empty_typeEEEZNS1_10merge_implIS3_N6thrust23THRUST_200600_302600_NS6detail15normal_iteratorINS9_10device_ptrIKyEEEESF_NSB_INSC_IyEEEEPS5_SI_SI_NS9_7greaterIyEEEE10hipError_tPvRmT0_T1_T2_T3_T4_T5_mmT6_P12ihipStream_tbEUlT_E_NS1_11comp_targetILNS1_3genE4ELNS1_11target_archE910ELNS1_3gpuE8ELNS1_3repE0EEENS1_30default_config_static_selectorELNS0_4arch9wavefront6targetE1EEEvSP_,@function
_ZN7rocprim17ROCPRIM_400000_NS6detail17trampoline_kernelINS0_14default_configENS1_21merge_config_selectorIyNS0_10empty_typeEEEZNS1_10merge_implIS3_N6thrust23THRUST_200600_302600_NS6detail15normal_iteratorINS9_10device_ptrIKyEEEESF_NSB_INSC_IyEEEEPS5_SI_SI_NS9_7greaterIyEEEE10hipError_tPvRmT0_T1_T2_T3_T4_T5_mmT6_P12ihipStream_tbEUlT_E_NS1_11comp_targetILNS1_3genE4ELNS1_11target_archE910ELNS1_3gpuE8ELNS1_3repE0EEENS1_30default_config_static_selectorELNS0_4arch9wavefront6targetE1EEEvSP_: ; @_ZN7rocprim17ROCPRIM_400000_NS6detail17trampoline_kernelINS0_14default_configENS1_21merge_config_selectorIyNS0_10empty_typeEEEZNS1_10merge_implIS3_N6thrust23THRUST_200600_302600_NS6detail15normal_iteratorINS9_10device_ptrIKyEEEESF_NSB_INSC_IyEEEEPS5_SI_SI_NS9_7greaterIyEEEE10hipError_tPvRmT0_T1_T2_T3_T4_T5_mmT6_P12ihipStream_tbEUlT_E_NS1_11comp_targetILNS1_3genE4ELNS1_11target_archE910ELNS1_3gpuE8ELNS1_3repE0EEENS1_30default_config_static_selectorELNS0_4arch9wavefront6targetE1EEEvSP_
; %bb.0:
	s_load_dword s7, s[4:5], 0x28
	s_load_dword s0, s[4:5], 0x3c
	s_load_dwordx4 s[8:11], s[4:5], 0x18
	s_waitcnt lgkmcnt(0)
	v_cvt_f32_u32_e32 v1, s7
	s_and_b32 s0, s0, 0xffff
	s_add_u32 s12, s10, s8
	s_addc_u32 s13, s11, s9
	v_rcp_iflag_f32_e32 v1, v1
	s_sub_i32 s1, 0, s7
	s_mul_i32 s6, s6, s0
	s_add_i32 s0, s7, s12
	v_mul_f32_e32 v1, 0x4f7ffffe, v1
	v_cvt_u32_f32_e32 v1, v1
	s_add_i32 s0, s0, -1
	v_add_u32_e32 v0, s6, v0
	v_readfirstlane_b32 s2, v1
	s_mul_i32 s1, s1, s2
	s_mul_hi_u32 s1, s2, s1
	s_add_i32 s2, s2, s1
	s_mul_hi_u32 s1, s0, s2
	s_mul_i32 s2, s1, s7
	s_sub_i32 s0, s0, s2
	s_add_i32 s3, s1, 1
	s_sub_i32 s2, s0, s7
	s_cmp_ge_u32 s0, s7
	s_cselect_b32 s1, s3, s1
	s_cselect_b32 s0, s2, s0
	s_add_i32 s2, s1, 1
	s_cmp_ge_u32 s0, s7
	s_cselect_b32 s0, s2, s1
	v_cmp_ge_u32_e32 vcc, s0, v0
	s_and_saveexec_b64 s[0:1], vcc
	s_cbranch_execz .LBB499_6
; %bb.1:
	v_mul_lo_u32 v2, v0, s7
	v_mov_b32_e32 v3, 0
	v_mov_b32_e32 v1, s13
	v_cmp_gt_u64_e32 vcc, s[12:13], v[2:3]
	v_cndmask_b32_e64 v7, v1, 0, vcc
	v_mov_b32_e32 v1, s12
	v_cndmask_b32_e32 v6, v1, v2, vcc
	v_mov_b32_e32 v1, s11
	v_subrev_co_u32_e32 v2, vcc, s10, v6
	v_subb_co_u32_e32 v3, vcc, v7, v1, vcc
	s_load_dwordx4 s[0:3], s[4:5], 0x0
	v_cmp_gt_u64_e32 vcc, v[2:3], v[6:7]
	v_cndmask_b32_e64 v3, v3, 0, vcc
	v_cndmask_b32_e64 v2, v2, 0, vcc
	v_mov_b32_e32 v1, s9
	v_cmp_gt_u64_e32 vcc, s[8:9], v[6:7]
	v_cndmask_b32_e32 v5, v1, v7, vcc
	v_mov_b32_e32 v1, s8
	v_cndmask_b32_e32 v4, v1, v6, vcc
	v_cmp_lt_u64_e32 vcc, v[2:3], v[4:5]
	s_and_saveexec_b64 s[6:7], vcc
	s_cbranch_execz .LBB499_5
; %bb.2:
	s_load_dwordx2 s[4:5], s[4:5], 0x10
	v_lshlrev_b64 v[6:7], 3, v[6:7]
	s_waitcnt lgkmcnt(0)
	v_mov_b32_e32 v8, s5
	v_add_co_u32_e32 v1, vcc, s4, v6
	v_addc_co_u32_e32 v6, vcc, v8, v7, vcc
	s_mov_b64 s[4:5], 0
	v_mov_b32_e32 v7, s3
.LBB499_3:                              ; =>This Inner Loop Header: Depth=1
	v_add_co_u32_e32 v8, vcc, v4, v2
	v_addc_co_u32_e32 v9, vcc, v5, v3, vcc
	v_lshrrev_b64 v[8:9], 1, v[8:9]
	v_lshlrev_b64 v[12:13], 3, v[8:9]
	v_not_b32_e32 v11, v9
	v_not_b32_e32 v10, v8
	v_add_co_u32_e32 v12, vcc, s2, v12
	v_addc_co_u32_e32 v13, vcc, v7, v13, vcc
	v_lshlrev_b64 v[10:11], 3, v[10:11]
	v_add_co_u32_e32 v10, vcc, v1, v10
	v_addc_co_u32_e32 v11, vcc, v6, v11, vcc
	global_load_dwordx2 v[12:13], v[12:13], off
	v_add_co_u32_e32 v14, vcc, 1, v8
	global_load_dwordx2 v[10:11], v[10:11], off
	v_addc_co_u32_e32 v15, vcc, 0, v9, vcc
	s_waitcnt vmcnt(0)
	v_cmp_gt_u64_e32 vcc, v[10:11], v[12:13]
	v_cndmask_b32_e32 v5, v5, v9, vcc
	v_cndmask_b32_e32 v4, v4, v8, vcc
	v_cndmask_b32_e32 v3, v15, v3, vcc
	v_cndmask_b32_e32 v2, v14, v2, vcc
	v_cmp_ge_u64_e32 vcc, v[2:3], v[4:5]
	s_or_b64 s[4:5], vcc, s[4:5]
	s_andn2_b64 exec, exec, s[4:5]
	s_cbranch_execnz .LBB499_3
; %bb.4:
	s_or_b64 exec, exec, s[4:5]
.LBB499_5:
	s_or_b64 exec, exec, s[6:7]
	v_mov_b32_e32 v1, 0
	v_lshlrev_b64 v[0:1], 2, v[0:1]
	s_waitcnt lgkmcnt(0)
	v_mov_b32_e32 v3, s1
	v_add_co_u32_e32 v0, vcc, s0, v0
	v_addc_co_u32_e32 v1, vcc, v3, v1, vcc
	global_store_dword v[0:1], v2, off
.LBB499_6:
	s_endpgm
	.section	.rodata,"a",@progbits
	.p2align	6, 0x0
	.amdhsa_kernel _ZN7rocprim17ROCPRIM_400000_NS6detail17trampoline_kernelINS0_14default_configENS1_21merge_config_selectorIyNS0_10empty_typeEEEZNS1_10merge_implIS3_N6thrust23THRUST_200600_302600_NS6detail15normal_iteratorINS9_10device_ptrIKyEEEESF_NSB_INSC_IyEEEEPS5_SI_SI_NS9_7greaterIyEEEE10hipError_tPvRmT0_T1_T2_T3_T4_T5_mmT6_P12ihipStream_tbEUlT_E_NS1_11comp_targetILNS1_3genE4ELNS1_11target_archE910ELNS1_3gpuE8ELNS1_3repE0EEENS1_30default_config_static_selectorELNS0_4arch9wavefront6targetE1EEEvSP_
		.amdhsa_group_segment_fixed_size 0
		.amdhsa_private_segment_fixed_size 0
		.amdhsa_kernarg_size 304
		.amdhsa_user_sgpr_count 6
		.amdhsa_user_sgpr_private_segment_buffer 1
		.amdhsa_user_sgpr_dispatch_ptr 0
		.amdhsa_user_sgpr_queue_ptr 0
		.amdhsa_user_sgpr_kernarg_segment_ptr 1
		.amdhsa_user_sgpr_dispatch_id 0
		.amdhsa_user_sgpr_flat_scratch_init 0
		.amdhsa_user_sgpr_kernarg_preload_length 0
		.amdhsa_user_sgpr_kernarg_preload_offset 0
		.amdhsa_user_sgpr_private_segment_size 0
		.amdhsa_uses_dynamic_stack 0
		.amdhsa_system_sgpr_private_segment_wavefront_offset 0
		.amdhsa_system_sgpr_workgroup_id_x 1
		.amdhsa_system_sgpr_workgroup_id_y 0
		.amdhsa_system_sgpr_workgroup_id_z 0
		.amdhsa_system_sgpr_workgroup_info 0
		.amdhsa_system_vgpr_workitem_id 0
		.amdhsa_next_free_vgpr 16
		.amdhsa_next_free_sgpr 14
		.amdhsa_accum_offset 16
		.amdhsa_reserve_vcc 1
		.amdhsa_reserve_flat_scratch 0
		.amdhsa_float_round_mode_32 0
		.amdhsa_float_round_mode_16_64 0
		.amdhsa_float_denorm_mode_32 3
		.amdhsa_float_denorm_mode_16_64 3
		.amdhsa_dx10_clamp 1
		.amdhsa_ieee_mode 1
		.amdhsa_fp16_overflow 0
		.amdhsa_tg_split 0
		.amdhsa_exception_fp_ieee_invalid_op 0
		.amdhsa_exception_fp_denorm_src 0
		.amdhsa_exception_fp_ieee_div_zero 0
		.amdhsa_exception_fp_ieee_overflow 0
		.amdhsa_exception_fp_ieee_underflow 0
		.amdhsa_exception_fp_ieee_inexact 0
		.amdhsa_exception_int_div_zero 0
	.end_amdhsa_kernel
	.section	.text._ZN7rocprim17ROCPRIM_400000_NS6detail17trampoline_kernelINS0_14default_configENS1_21merge_config_selectorIyNS0_10empty_typeEEEZNS1_10merge_implIS3_N6thrust23THRUST_200600_302600_NS6detail15normal_iteratorINS9_10device_ptrIKyEEEESF_NSB_INSC_IyEEEEPS5_SI_SI_NS9_7greaterIyEEEE10hipError_tPvRmT0_T1_T2_T3_T4_T5_mmT6_P12ihipStream_tbEUlT_E_NS1_11comp_targetILNS1_3genE4ELNS1_11target_archE910ELNS1_3gpuE8ELNS1_3repE0EEENS1_30default_config_static_selectorELNS0_4arch9wavefront6targetE1EEEvSP_,"axG",@progbits,_ZN7rocprim17ROCPRIM_400000_NS6detail17trampoline_kernelINS0_14default_configENS1_21merge_config_selectorIyNS0_10empty_typeEEEZNS1_10merge_implIS3_N6thrust23THRUST_200600_302600_NS6detail15normal_iteratorINS9_10device_ptrIKyEEEESF_NSB_INSC_IyEEEEPS5_SI_SI_NS9_7greaterIyEEEE10hipError_tPvRmT0_T1_T2_T3_T4_T5_mmT6_P12ihipStream_tbEUlT_E_NS1_11comp_targetILNS1_3genE4ELNS1_11target_archE910ELNS1_3gpuE8ELNS1_3repE0EEENS1_30default_config_static_selectorELNS0_4arch9wavefront6targetE1EEEvSP_,comdat
.Lfunc_end499:
	.size	_ZN7rocprim17ROCPRIM_400000_NS6detail17trampoline_kernelINS0_14default_configENS1_21merge_config_selectorIyNS0_10empty_typeEEEZNS1_10merge_implIS3_N6thrust23THRUST_200600_302600_NS6detail15normal_iteratorINS9_10device_ptrIKyEEEESF_NSB_INSC_IyEEEEPS5_SI_SI_NS9_7greaterIyEEEE10hipError_tPvRmT0_T1_T2_T3_T4_T5_mmT6_P12ihipStream_tbEUlT_E_NS1_11comp_targetILNS1_3genE4ELNS1_11target_archE910ELNS1_3gpuE8ELNS1_3repE0EEENS1_30default_config_static_selectorELNS0_4arch9wavefront6targetE1EEEvSP_, .Lfunc_end499-_ZN7rocprim17ROCPRIM_400000_NS6detail17trampoline_kernelINS0_14default_configENS1_21merge_config_selectorIyNS0_10empty_typeEEEZNS1_10merge_implIS3_N6thrust23THRUST_200600_302600_NS6detail15normal_iteratorINS9_10device_ptrIKyEEEESF_NSB_INSC_IyEEEEPS5_SI_SI_NS9_7greaterIyEEEE10hipError_tPvRmT0_T1_T2_T3_T4_T5_mmT6_P12ihipStream_tbEUlT_E_NS1_11comp_targetILNS1_3genE4ELNS1_11target_archE910ELNS1_3gpuE8ELNS1_3repE0EEENS1_30default_config_static_selectorELNS0_4arch9wavefront6targetE1EEEvSP_
                                        ; -- End function
	.section	.AMDGPU.csdata,"",@progbits
; Kernel info:
; codeLenInByte = 472
; NumSgprs: 18
; NumVgprs: 16
; NumAgprs: 0
; TotalNumVgprs: 16
; ScratchSize: 0
; MemoryBound: 0
; FloatMode: 240
; IeeeMode: 1
; LDSByteSize: 0 bytes/workgroup (compile time only)
; SGPRBlocks: 2
; VGPRBlocks: 1
; NumSGPRsForWavesPerEU: 18
; NumVGPRsForWavesPerEU: 16
; AccumOffset: 16
; Occupancy: 8
; WaveLimiterHint : 0
; COMPUTE_PGM_RSRC2:SCRATCH_EN: 0
; COMPUTE_PGM_RSRC2:USER_SGPR: 6
; COMPUTE_PGM_RSRC2:TRAP_HANDLER: 0
; COMPUTE_PGM_RSRC2:TGID_X_EN: 1
; COMPUTE_PGM_RSRC2:TGID_Y_EN: 0
; COMPUTE_PGM_RSRC2:TGID_Z_EN: 0
; COMPUTE_PGM_RSRC2:TIDIG_COMP_CNT: 0
; COMPUTE_PGM_RSRC3_GFX90A:ACCUM_OFFSET: 3
; COMPUTE_PGM_RSRC3_GFX90A:TG_SPLIT: 0
	.section	.text._ZN7rocprim17ROCPRIM_400000_NS6detail17trampoline_kernelINS0_14default_configENS1_21merge_config_selectorIyNS0_10empty_typeEEEZNS1_10merge_implIS3_N6thrust23THRUST_200600_302600_NS6detail15normal_iteratorINS9_10device_ptrIKyEEEESF_NSB_INSC_IyEEEEPS5_SI_SI_NS9_7greaterIyEEEE10hipError_tPvRmT0_T1_T2_T3_T4_T5_mmT6_P12ihipStream_tbEUlT_E_NS1_11comp_targetILNS1_3genE3ELNS1_11target_archE908ELNS1_3gpuE7ELNS1_3repE0EEENS1_30default_config_static_selectorELNS0_4arch9wavefront6targetE1EEEvSP_,"axG",@progbits,_ZN7rocprim17ROCPRIM_400000_NS6detail17trampoline_kernelINS0_14default_configENS1_21merge_config_selectorIyNS0_10empty_typeEEEZNS1_10merge_implIS3_N6thrust23THRUST_200600_302600_NS6detail15normal_iteratorINS9_10device_ptrIKyEEEESF_NSB_INSC_IyEEEEPS5_SI_SI_NS9_7greaterIyEEEE10hipError_tPvRmT0_T1_T2_T3_T4_T5_mmT6_P12ihipStream_tbEUlT_E_NS1_11comp_targetILNS1_3genE3ELNS1_11target_archE908ELNS1_3gpuE7ELNS1_3repE0EEENS1_30default_config_static_selectorELNS0_4arch9wavefront6targetE1EEEvSP_,comdat
	.protected	_ZN7rocprim17ROCPRIM_400000_NS6detail17trampoline_kernelINS0_14default_configENS1_21merge_config_selectorIyNS0_10empty_typeEEEZNS1_10merge_implIS3_N6thrust23THRUST_200600_302600_NS6detail15normal_iteratorINS9_10device_ptrIKyEEEESF_NSB_INSC_IyEEEEPS5_SI_SI_NS9_7greaterIyEEEE10hipError_tPvRmT0_T1_T2_T3_T4_T5_mmT6_P12ihipStream_tbEUlT_E_NS1_11comp_targetILNS1_3genE3ELNS1_11target_archE908ELNS1_3gpuE7ELNS1_3repE0EEENS1_30default_config_static_selectorELNS0_4arch9wavefront6targetE1EEEvSP_ ; -- Begin function _ZN7rocprim17ROCPRIM_400000_NS6detail17trampoline_kernelINS0_14default_configENS1_21merge_config_selectorIyNS0_10empty_typeEEEZNS1_10merge_implIS3_N6thrust23THRUST_200600_302600_NS6detail15normal_iteratorINS9_10device_ptrIKyEEEESF_NSB_INSC_IyEEEEPS5_SI_SI_NS9_7greaterIyEEEE10hipError_tPvRmT0_T1_T2_T3_T4_T5_mmT6_P12ihipStream_tbEUlT_E_NS1_11comp_targetILNS1_3genE3ELNS1_11target_archE908ELNS1_3gpuE7ELNS1_3repE0EEENS1_30default_config_static_selectorELNS0_4arch9wavefront6targetE1EEEvSP_
	.globl	_ZN7rocprim17ROCPRIM_400000_NS6detail17trampoline_kernelINS0_14default_configENS1_21merge_config_selectorIyNS0_10empty_typeEEEZNS1_10merge_implIS3_N6thrust23THRUST_200600_302600_NS6detail15normal_iteratorINS9_10device_ptrIKyEEEESF_NSB_INSC_IyEEEEPS5_SI_SI_NS9_7greaterIyEEEE10hipError_tPvRmT0_T1_T2_T3_T4_T5_mmT6_P12ihipStream_tbEUlT_E_NS1_11comp_targetILNS1_3genE3ELNS1_11target_archE908ELNS1_3gpuE7ELNS1_3repE0EEENS1_30default_config_static_selectorELNS0_4arch9wavefront6targetE1EEEvSP_
	.p2align	8
	.type	_ZN7rocprim17ROCPRIM_400000_NS6detail17trampoline_kernelINS0_14default_configENS1_21merge_config_selectorIyNS0_10empty_typeEEEZNS1_10merge_implIS3_N6thrust23THRUST_200600_302600_NS6detail15normal_iteratorINS9_10device_ptrIKyEEEESF_NSB_INSC_IyEEEEPS5_SI_SI_NS9_7greaterIyEEEE10hipError_tPvRmT0_T1_T2_T3_T4_T5_mmT6_P12ihipStream_tbEUlT_E_NS1_11comp_targetILNS1_3genE3ELNS1_11target_archE908ELNS1_3gpuE7ELNS1_3repE0EEENS1_30default_config_static_selectorELNS0_4arch9wavefront6targetE1EEEvSP_,@function
_ZN7rocprim17ROCPRIM_400000_NS6detail17trampoline_kernelINS0_14default_configENS1_21merge_config_selectorIyNS0_10empty_typeEEEZNS1_10merge_implIS3_N6thrust23THRUST_200600_302600_NS6detail15normal_iteratorINS9_10device_ptrIKyEEEESF_NSB_INSC_IyEEEEPS5_SI_SI_NS9_7greaterIyEEEE10hipError_tPvRmT0_T1_T2_T3_T4_T5_mmT6_P12ihipStream_tbEUlT_E_NS1_11comp_targetILNS1_3genE3ELNS1_11target_archE908ELNS1_3gpuE7ELNS1_3repE0EEENS1_30default_config_static_selectorELNS0_4arch9wavefront6targetE1EEEvSP_: ; @_ZN7rocprim17ROCPRIM_400000_NS6detail17trampoline_kernelINS0_14default_configENS1_21merge_config_selectorIyNS0_10empty_typeEEEZNS1_10merge_implIS3_N6thrust23THRUST_200600_302600_NS6detail15normal_iteratorINS9_10device_ptrIKyEEEESF_NSB_INSC_IyEEEEPS5_SI_SI_NS9_7greaterIyEEEE10hipError_tPvRmT0_T1_T2_T3_T4_T5_mmT6_P12ihipStream_tbEUlT_E_NS1_11comp_targetILNS1_3genE3ELNS1_11target_archE908ELNS1_3gpuE7ELNS1_3repE0EEENS1_30default_config_static_selectorELNS0_4arch9wavefront6targetE1EEEvSP_
; %bb.0:
	.section	.rodata,"a",@progbits
	.p2align	6, 0x0
	.amdhsa_kernel _ZN7rocprim17ROCPRIM_400000_NS6detail17trampoline_kernelINS0_14default_configENS1_21merge_config_selectorIyNS0_10empty_typeEEEZNS1_10merge_implIS3_N6thrust23THRUST_200600_302600_NS6detail15normal_iteratorINS9_10device_ptrIKyEEEESF_NSB_INSC_IyEEEEPS5_SI_SI_NS9_7greaterIyEEEE10hipError_tPvRmT0_T1_T2_T3_T4_T5_mmT6_P12ihipStream_tbEUlT_E_NS1_11comp_targetILNS1_3genE3ELNS1_11target_archE908ELNS1_3gpuE7ELNS1_3repE0EEENS1_30default_config_static_selectorELNS0_4arch9wavefront6targetE1EEEvSP_
		.amdhsa_group_segment_fixed_size 0
		.amdhsa_private_segment_fixed_size 0
		.amdhsa_kernarg_size 48
		.amdhsa_user_sgpr_count 6
		.amdhsa_user_sgpr_private_segment_buffer 1
		.amdhsa_user_sgpr_dispatch_ptr 0
		.amdhsa_user_sgpr_queue_ptr 0
		.amdhsa_user_sgpr_kernarg_segment_ptr 1
		.amdhsa_user_sgpr_dispatch_id 0
		.amdhsa_user_sgpr_flat_scratch_init 0
		.amdhsa_user_sgpr_kernarg_preload_length 0
		.amdhsa_user_sgpr_kernarg_preload_offset 0
		.amdhsa_user_sgpr_private_segment_size 0
		.amdhsa_uses_dynamic_stack 0
		.amdhsa_system_sgpr_private_segment_wavefront_offset 0
		.amdhsa_system_sgpr_workgroup_id_x 1
		.amdhsa_system_sgpr_workgroup_id_y 0
		.amdhsa_system_sgpr_workgroup_id_z 0
		.amdhsa_system_sgpr_workgroup_info 0
		.amdhsa_system_vgpr_workitem_id 0
		.amdhsa_next_free_vgpr 1
		.amdhsa_next_free_sgpr 0
		.amdhsa_accum_offset 4
		.amdhsa_reserve_vcc 0
		.amdhsa_reserve_flat_scratch 0
		.amdhsa_float_round_mode_32 0
		.amdhsa_float_round_mode_16_64 0
		.amdhsa_float_denorm_mode_32 3
		.amdhsa_float_denorm_mode_16_64 3
		.amdhsa_dx10_clamp 1
		.amdhsa_ieee_mode 1
		.amdhsa_fp16_overflow 0
		.amdhsa_tg_split 0
		.amdhsa_exception_fp_ieee_invalid_op 0
		.amdhsa_exception_fp_denorm_src 0
		.amdhsa_exception_fp_ieee_div_zero 0
		.amdhsa_exception_fp_ieee_overflow 0
		.amdhsa_exception_fp_ieee_underflow 0
		.amdhsa_exception_fp_ieee_inexact 0
		.amdhsa_exception_int_div_zero 0
	.end_amdhsa_kernel
	.section	.text._ZN7rocprim17ROCPRIM_400000_NS6detail17trampoline_kernelINS0_14default_configENS1_21merge_config_selectorIyNS0_10empty_typeEEEZNS1_10merge_implIS3_N6thrust23THRUST_200600_302600_NS6detail15normal_iteratorINS9_10device_ptrIKyEEEESF_NSB_INSC_IyEEEEPS5_SI_SI_NS9_7greaterIyEEEE10hipError_tPvRmT0_T1_T2_T3_T4_T5_mmT6_P12ihipStream_tbEUlT_E_NS1_11comp_targetILNS1_3genE3ELNS1_11target_archE908ELNS1_3gpuE7ELNS1_3repE0EEENS1_30default_config_static_selectorELNS0_4arch9wavefront6targetE1EEEvSP_,"axG",@progbits,_ZN7rocprim17ROCPRIM_400000_NS6detail17trampoline_kernelINS0_14default_configENS1_21merge_config_selectorIyNS0_10empty_typeEEEZNS1_10merge_implIS3_N6thrust23THRUST_200600_302600_NS6detail15normal_iteratorINS9_10device_ptrIKyEEEESF_NSB_INSC_IyEEEEPS5_SI_SI_NS9_7greaterIyEEEE10hipError_tPvRmT0_T1_T2_T3_T4_T5_mmT6_P12ihipStream_tbEUlT_E_NS1_11comp_targetILNS1_3genE3ELNS1_11target_archE908ELNS1_3gpuE7ELNS1_3repE0EEENS1_30default_config_static_selectorELNS0_4arch9wavefront6targetE1EEEvSP_,comdat
.Lfunc_end500:
	.size	_ZN7rocprim17ROCPRIM_400000_NS6detail17trampoline_kernelINS0_14default_configENS1_21merge_config_selectorIyNS0_10empty_typeEEEZNS1_10merge_implIS3_N6thrust23THRUST_200600_302600_NS6detail15normal_iteratorINS9_10device_ptrIKyEEEESF_NSB_INSC_IyEEEEPS5_SI_SI_NS9_7greaterIyEEEE10hipError_tPvRmT0_T1_T2_T3_T4_T5_mmT6_P12ihipStream_tbEUlT_E_NS1_11comp_targetILNS1_3genE3ELNS1_11target_archE908ELNS1_3gpuE7ELNS1_3repE0EEENS1_30default_config_static_selectorELNS0_4arch9wavefront6targetE1EEEvSP_, .Lfunc_end500-_ZN7rocprim17ROCPRIM_400000_NS6detail17trampoline_kernelINS0_14default_configENS1_21merge_config_selectorIyNS0_10empty_typeEEEZNS1_10merge_implIS3_N6thrust23THRUST_200600_302600_NS6detail15normal_iteratorINS9_10device_ptrIKyEEEESF_NSB_INSC_IyEEEEPS5_SI_SI_NS9_7greaterIyEEEE10hipError_tPvRmT0_T1_T2_T3_T4_T5_mmT6_P12ihipStream_tbEUlT_E_NS1_11comp_targetILNS1_3genE3ELNS1_11target_archE908ELNS1_3gpuE7ELNS1_3repE0EEENS1_30default_config_static_selectorELNS0_4arch9wavefront6targetE1EEEvSP_
                                        ; -- End function
	.section	.AMDGPU.csdata,"",@progbits
; Kernel info:
; codeLenInByte = 0
; NumSgprs: 4
; NumVgprs: 0
; NumAgprs: 0
; TotalNumVgprs: 0
; ScratchSize: 0
; MemoryBound: 0
; FloatMode: 240
; IeeeMode: 1
; LDSByteSize: 0 bytes/workgroup (compile time only)
; SGPRBlocks: 0
; VGPRBlocks: 0
; NumSGPRsForWavesPerEU: 4
; NumVGPRsForWavesPerEU: 1
; AccumOffset: 4
; Occupancy: 8
; WaveLimiterHint : 0
; COMPUTE_PGM_RSRC2:SCRATCH_EN: 0
; COMPUTE_PGM_RSRC2:USER_SGPR: 6
; COMPUTE_PGM_RSRC2:TRAP_HANDLER: 0
; COMPUTE_PGM_RSRC2:TGID_X_EN: 1
; COMPUTE_PGM_RSRC2:TGID_Y_EN: 0
; COMPUTE_PGM_RSRC2:TGID_Z_EN: 0
; COMPUTE_PGM_RSRC2:TIDIG_COMP_CNT: 0
; COMPUTE_PGM_RSRC3_GFX90A:ACCUM_OFFSET: 0
; COMPUTE_PGM_RSRC3_GFX90A:TG_SPLIT: 0
	.section	.text._ZN7rocprim17ROCPRIM_400000_NS6detail17trampoline_kernelINS0_14default_configENS1_21merge_config_selectorIyNS0_10empty_typeEEEZNS1_10merge_implIS3_N6thrust23THRUST_200600_302600_NS6detail15normal_iteratorINS9_10device_ptrIKyEEEESF_NSB_INSC_IyEEEEPS5_SI_SI_NS9_7greaterIyEEEE10hipError_tPvRmT0_T1_T2_T3_T4_T5_mmT6_P12ihipStream_tbEUlT_E_NS1_11comp_targetILNS1_3genE2ELNS1_11target_archE906ELNS1_3gpuE6ELNS1_3repE0EEENS1_30default_config_static_selectorELNS0_4arch9wavefront6targetE1EEEvSP_,"axG",@progbits,_ZN7rocprim17ROCPRIM_400000_NS6detail17trampoline_kernelINS0_14default_configENS1_21merge_config_selectorIyNS0_10empty_typeEEEZNS1_10merge_implIS3_N6thrust23THRUST_200600_302600_NS6detail15normal_iteratorINS9_10device_ptrIKyEEEESF_NSB_INSC_IyEEEEPS5_SI_SI_NS9_7greaterIyEEEE10hipError_tPvRmT0_T1_T2_T3_T4_T5_mmT6_P12ihipStream_tbEUlT_E_NS1_11comp_targetILNS1_3genE2ELNS1_11target_archE906ELNS1_3gpuE6ELNS1_3repE0EEENS1_30default_config_static_selectorELNS0_4arch9wavefront6targetE1EEEvSP_,comdat
	.protected	_ZN7rocprim17ROCPRIM_400000_NS6detail17trampoline_kernelINS0_14default_configENS1_21merge_config_selectorIyNS0_10empty_typeEEEZNS1_10merge_implIS3_N6thrust23THRUST_200600_302600_NS6detail15normal_iteratorINS9_10device_ptrIKyEEEESF_NSB_INSC_IyEEEEPS5_SI_SI_NS9_7greaterIyEEEE10hipError_tPvRmT0_T1_T2_T3_T4_T5_mmT6_P12ihipStream_tbEUlT_E_NS1_11comp_targetILNS1_3genE2ELNS1_11target_archE906ELNS1_3gpuE6ELNS1_3repE0EEENS1_30default_config_static_selectorELNS0_4arch9wavefront6targetE1EEEvSP_ ; -- Begin function _ZN7rocprim17ROCPRIM_400000_NS6detail17trampoline_kernelINS0_14default_configENS1_21merge_config_selectorIyNS0_10empty_typeEEEZNS1_10merge_implIS3_N6thrust23THRUST_200600_302600_NS6detail15normal_iteratorINS9_10device_ptrIKyEEEESF_NSB_INSC_IyEEEEPS5_SI_SI_NS9_7greaterIyEEEE10hipError_tPvRmT0_T1_T2_T3_T4_T5_mmT6_P12ihipStream_tbEUlT_E_NS1_11comp_targetILNS1_3genE2ELNS1_11target_archE906ELNS1_3gpuE6ELNS1_3repE0EEENS1_30default_config_static_selectorELNS0_4arch9wavefront6targetE1EEEvSP_
	.globl	_ZN7rocprim17ROCPRIM_400000_NS6detail17trampoline_kernelINS0_14default_configENS1_21merge_config_selectorIyNS0_10empty_typeEEEZNS1_10merge_implIS3_N6thrust23THRUST_200600_302600_NS6detail15normal_iteratorINS9_10device_ptrIKyEEEESF_NSB_INSC_IyEEEEPS5_SI_SI_NS9_7greaterIyEEEE10hipError_tPvRmT0_T1_T2_T3_T4_T5_mmT6_P12ihipStream_tbEUlT_E_NS1_11comp_targetILNS1_3genE2ELNS1_11target_archE906ELNS1_3gpuE6ELNS1_3repE0EEENS1_30default_config_static_selectorELNS0_4arch9wavefront6targetE1EEEvSP_
	.p2align	8
	.type	_ZN7rocprim17ROCPRIM_400000_NS6detail17trampoline_kernelINS0_14default_configENS1_21merge_config_selectorIyNS0_10empty_typeEEEZNS1_10merge_implIS3_N6thrust23THRUST_200600_302600_NS6detail15normal_iteratorINS9_10device_ptrIKyEEEESF_NSB_INSC_IyEEEEPS5_SI_SI_NS9_7greaterIyEEEE10hipError_tPvRmT0_T1_T2_T3_T4_T5_mmT6_P12ihipStream_tbEUlT_E_NS1_11comp_targetILNS1_3genE2ELNS1_11target_archE906ELNS1_3gpuE6ELNS1_3repE0EEENS1_30default_config_static_selectorELNS0_4arch9wavefront6targetE1EEEvSP_,@function
_ZN7rocprim17ROCPRIM_400000_NS6detail17trampoline_kernelINS0_14default_configENS1_21merge_config_selectorIyNS0_10empty_typeEEEZNS1_10merge_implIS3_N6thrust23THRUST_200600_302600_NS6detail15normal_iteratorINS9_10device_ptrIKyEEEESF_NSB_INSC_IyEEEEPS5_SI_SI_NS9_7greaterIyEEEE10hipError_tPvRmT0_T1_T2_T3_T4_T5_mmT6_P12ihipStream_tbEUlT_E_NS1_11comp_targetILNS1_3genE2ELNS1_11target_archE906ELNS1_3gpuE6ELNS1_3repE0EEENS1_30default_config_static_selectorELNS0_4arch9wavefront6targetE1EEEvSP_: ; @_ZN7rocprim17ROCPRIM_400000_NS6detail17trampoline_kernelINS0_14default_configENS1_21merge_config_selectorIyNS0_10empty_typeEEEZNS1_10merge_implIS3_N6thrust23THRUST_200600_302600_NS6detail15normal_iteratorINS9_10device_ptrIKyEEEESF_NSB_INSC_IyEEEEPS5_SI_SI_NS9_7greaterIyEEEE10hipError_tPvRmT0_T1_T2_T3_T4_T5_mmT6_P12ihipStream_tbEUlT_E_NS1_11comp_targetILNS1_3genE2ELNS1_11target_archE906ELNS1_3gpuE6ELNS1_3repE0EEENS1_30default_config_static_selectorELNS0_4arch9wavefront6targetE1EEEvSP_
; %bb.0:
	.section	.rodata,"a",@progbits
	.p2align	6, 0x0
	.amdhsa_kernel _ZN7rocprim17ROCPRIM_400000_NS6detail17trampoline_kernelINS0_14default_configENS1_21merge_config_selectorIyNS0_10empty_typeEEEZNS1_10merge_implIS3_N6thrust23THRUST_200600_302600_NS6detail15normal_iteratorINS9_10device_ptrIKyEEEESF_NSB_INSC_IyEEEEPS5_SI_SI_NS9_7greaterIyEEEE10hipError_tPvRmT0_T1_T2_T3_T4_T5_mmT6_P12ihipStream_tbEUlT_E_NS1_11comp_targetILNS1_3genE2ELNS1_11target_archE906ELNS1_3gpuE6ELNS1_3repE0EEENS1_30default_config_static_selectorELNS0_4arch9wavefront6targetE1EEEvSP_
		.amdhsa_group_segment_fixed_size 0
		.amdhsa_private_segment_fixed_size 0
		.amdhsa_kernarg_size 48
		.amdhsa_user_sgpr_count 6
		.amdhsa_user_sgpr_private_segment_buffer 1
		.amdhsa_user_sgpr_dispatch_ptr 0
		.amdhsa_user_sgpr_queue_ptr 0
		.amdhsa_user_sgpr_kernarg_segment_ptr 1
		.amdhsa_user_sgpr_dispatch_id 0
		.amdhsa_user_sgpr_flat_scratch_init 0
		.amdhsa_user_sgpr_kernarg_preload_length 0
		.amdhsa_user_sgpr_kernarg_preload_offset 0
		.amdhsa_user_sgpr_private_segment_size 0
		.amdhsa_uses_dynamic_stack 0
		.amdhsa_system_sgpr_private_segment_wavefront_offset 0
		.amdhsa_system_sgpr_workgroup_id_x 1
		.amdhsa_system_sgpr_workgroup_id_y 0
		.amdhsa_system_sgpr_workgroup_id_z 0
		.amdhsa_system_sgpr_workgroup_info 0
		.amdhsa_system_vgpr_workitem_id 0
		.amdhsa_next_free_vgpr 1
		.amdhsa_next_free_sgpr 0
		.amdhsa_accum_offset 4
		.amdhsa_reserve_vcc 0
		.amdhsa_reserve_flat_scratch 0
		.amdhsa_float_round_mode_32 0
		.amdhsa_float_round_mode_16_64 0
		.amdhsa_float_denorm_mode_32 3
		.amdhsa_float_denorm_mode_16_64 3
		.amdhsa_dx10_clamp 1
		.amdhsa_ieee_mode 1
		.amdhsa_fp16_overflow 0
		.amdhsa_tg_split 0
		.amdhsa_exception_fp_ieee_invalid_op 0
		.amdhsa_exception_fp_denorm_src 0
		.amdhsa_exception_fp_ieee_div_zero 0
		.amdhsa_exception_fp_ieee_overflow 0
		.amdhsa_exception_fp_ieee_underflow 0
		.amdhsa_exception_fp_ieee_inexact 0
		.amdhsa_exception_int_div_zero 0
	.end_amdhsa_kernel
	.section	.text._ZN7rocprim17ROCPRIM_400000_NS6detail17trampoline_kernelINS0_14default_configENS1_21merge_config_selectorIyNS0_10empty_typeEEEZNS1_10merge_implIS3_N6thrust23THRUST_200600_302600_NS6detail15normal_iteratorINS9_10device_ptrIKyEEEESF_NSB_INSC_IyEEEEPS5_SI_SI_NS9_7greaterIyEEEE10hipError_tPvRmT0_T1_T2_T3_T4_T5_mmT6_P12ihipStream_tbEUlT_E_NS1_11comp_targetILNS1_3genE2ELNS1_11target_archE906ELNS1_3gpuE6ELNS1_3repE0EEENS1_30default_config_static_selectorELNS0_4arch9wavefront6targetE1EEEvSP_,"axG",@progbits,_ZN7rocprim17ROCPRIM_400000_NS6detail17trampoline_kernelINS0_14default_configENS1_21merge_config_selectorIyNS0_10empty_typeEEEZNS1_10merge_implIS3_N6thrust23THRUST_200600_302600_NS6detail15normal_iteratorINS9_10device_ptrIKyEEEESF_NSB_INSC_IyEEEEPS5_SI_SI_NS9_7greaterIyEEEE10hipError_tPvRmT0_T1_T2_T3_T4_T5_mmT6_P12ihipStream_tbEUlT_E_NS1_11comp_targetILNS1_3genE2ELNS1_11target_archE906ELNS1_3gpuE6ELNS1_3repE0EEENS1_30default_config_static_selectorELNS0_4arch9wavefront6targetE1EEEvSP_,comdat
.Lfunc_end501:
	.size	_ZN7rocprim17ROCPRIM_400000_NS6detail17trampoline_kernelINS0_14default_configENS1_21merge_config_selectorIyNS0_10empty_typeEEEZNS1_10merge_implIS3_N6thrust23THRUST_200600_302600_NS6detail15normal_iteratorINS9_10device_ptrIKyEEEESF_NSB_INSC_IyEEEEPS5_SI_SI_NS9_7greaterIyEEEE10hipError_tPvRmT0_T1_T2_T3_T4_T5_mmT6_P12ihipStream_tbEUlT_E_NS1_11comp_targetILNS1_3genE2ELNS1_11target_archE906ELNS1_3gpuE6ELNS1_3repE0EEENS1_30default_config_static_selectorELNS0_4arch9wavefront6targetE1EEEvSP_, .Lfunc_end501-_ZN7rocprim17ROCPRIM_400000_NS6detail17trampoline_kernelINS0_14default_configENS1_21merge_config_selectorIyNS0_10empty_typeEEEZNS1_10merge_implIS3_N6thrust23THRUST_200600_302600_NS6detail15normal_iteratorINS9_10device_ptrIKyEEEESF_NSB_INSC_IyEEEEPS5_SI_SI_NS9_7greaterIyEEEE10hipError_tPvRmT0_T1_T2_T3_T4_T5_mmT6_P12ihipStream_tbEUlT_E_NS1_11comp_targetILNS1_3genE2ELNS1_11target_archE906ELNS1_3gpuE6ELNS1_3repE0EEENS1_30default_config_static_selectorELNS0_4arch9wavefront6targetE1EEEvSP_
                                        ; -- End function
	.section	.AMDGPU.csdata,"",@progbits
; Kernel info:
; codeLenInByte = 0
; NumSgprs: 4
; NumVgprs: 0
; NumAgprs: 0
; TotalNumVgprs: 0
; ScratchSize: 0
; MemoryBound: 0
; FloatMode: 240
; IeeeMode: 1
; LDSByteSize: 0 bytes/workgroup (compile time only)
; SGPRBlocks: 0
; VGPRBlocks: 0
; NumSGPRsForWavesPerEU: 4
; NumVGPRsForWavesPerEU: 1
; AccumOffset: 4
; Occupancy: 8
; WaveLimiterHint : 0
; COMPUTE_PGM_RSRC2:SCRATCH_EN: 0
; COMPUTE_PGM_RSRC2:USER_SGPR: 6
; COMPUTE_PGM_RSRC2:TRAP_HANDLER: 0
; COMPUTE_PGM_RSRC2:TGID_X_EN: 1
; COMPUTE_PGM_RSRC2:TGID_Y_EN: 0
; COMPUTE_PGM_RSRC2:TGID_Z_EN: 0
; COMPUTE_PGM_RSRC2:TIDIG_COMP_CNT: 0
; COMPUTE_PGM_RSRC3_GFX90A:ACCUM_OFFSET: 0
; COMPUTE_PGM_RSRC3_GFX90A:TG_SPLIT: 0
	.section	.text._ZN7rocprim17ROCPRIM_400000_NS6detail17trampoline_kernelINS0_14default_configENS1_21merge_config_selectorIyNS0_10empty_typeEEEZNS1_10merge_implIS3_N6thrust23THRUST_200600_302600_NS6detail15normal_iteratorINS9_10device_ptrIKyEEEESF_NSB_INSC_IyEEEEPS5_SI_SI_NS9_7greaterIyEEEE10hipError_tPvRmT0_T1_T2_T3_T4_T5_mmT6_P12ihipStream_tbEUlT_E_NS1_11comp_targetILNS1_3genE10ELNS1_11target_archE1201ELNS1_3gpuE5ELNS1_3repE0EEENS1_30default_config_static_selectorELNS0_4arch9wavefront6targetE1EEEvSP_,"axG",@progbits,_ZN7rocprim17ROCPRIM_400000_NS6detail17trampoline_kernelINS0_14default_configENS1_21merge_config_selectorIyNS0_10empty_typeEEEZNS1_10merge_implIS3_N6thrust23THRUST_200600_302600_NS6detail15normal_iteratorINS9_10device_ptrIKyEEEESF_NSB_INSC_IyEEEEPS5_SI_SI_NS9_7greaterIyEEEE10hipError_tPvRmT0_T1_T2_T3_T4_T5_mmT6_P12ihipStream_tbEUlT_E_NS1_11comp_targetILNS1_3genE10ELNS1_11target_archE1201ELNS1_3gpuE5ELNS1_3repE0EEENS1_30default_config_static_selectorELNS0_4arch9wavefront6targetE1EEEvSP_,comdat
	.protected	_ZN7rocprim17ROCPRIM_400000_NS6detail17trampoline_kernelINS0_14default_configENS1_21merge_config_selectorIyNS0_10empty_typeEEEZNS1_10merge_implIS3_N6thrust23THRUST_200600_302600_NS6detail15normal_iteratorINS9_10device_ptrIKyEEEESF_NSB_INSC_IyEEEEPS5_SI_SI_NS9_7greaterIyEEEE10hipError_tPvRmT0_T1_T2_T3_T4_T5_mmT6_P12ihipStream_tbEUlT_E_NS1_11comp_targetILNS1_3genE10ELNS1_11target_archE1201ELNS1_3gpuE5ELNS1_3repE0EEENS1_30default_config_static_selectorELNS0_4arch9wavefront6targetE1EEEvSP_ ; -- Begin function _ZN7rocprim17ROCPRIM_400000_NS6detail17trampoline_kernelINS0_14default_configENS1_21merge_config_selectorIyNS0_10empty_typeEEEZNS1_10merge_implIS3_N6thrust23THRUST_200600_302600_NS6detail15normal_iteratorINS9_10device_ptrIKyEEEESF_NSB_INSC_IyEEEEPS5_SI_SI_NS9_7greaterIyEEEE10hipError_tPvRmT0_T1_T2_T3_T4_T5_mmT6_P12ihipStream_tbEUlT_E_NS1_11comp_targetILNS1_3genE10ELNS1_11target_archE1201ELNS1_3gpuE5ELNS1_3repE0EEENS1_30default_config_static_selectorELNS0_4arch9wavefront6targetE1EEEvSP_
	.globl	_ZN7rocprim17ROCPRIM_400000_NS6detail17trampoline_kernelINS0_14default_configENS1_21merge_config_selectorIyNS0_10empty_typeEEEZNS1_10merge_implIS3_N6thrust23THRUST_200600_302600_NS6detail15normal_iteratorINS9_10device_ptrIKyEEEESF_NSB_INSC_IyEEEEPS5_SI_SI_NS9_7greaterIyEEEE10hipError_tPvRmT0_T1_T2_T3_T4_T5_mmT6_P12ihipStream_tbEUlT_E_NS1_11comp_targetILNS1_3genE10ELNS1_11target_archE1201ELNS1_3gpuE5ELNS1_3repE0EEENS1_30default_config_static_selectorELNS0_4arch9wavefront6targetE1EEEvSP_
	.p2align	8
	.type	_ZN7rocprim17ROCPRIM_400000_NS6detail17trampoline_kernelINS0_14default_configENS1_21merge_config_selectorIyNS0_10empty_typeEEEZNS1_10merge_implIS3_N6thrust23THRUST_200600_302600_NS6detail15normal_iteratorINS9_10device_ptrIKyEEEESF_NSB_INSC_IyEEEEPS5_SI_SI_NS9_7greaterIyEEEE10hipError_tPvRmT0_T1_T2_T3_T4_T5_mmT6_P12ihipStream_tbEUlT_E_NS1_11comp_targetILNS1_3genE10ELNS1_11target_archE1201ELNS1_3gpuE5ELNS1_3repE0EEENS1_30default_config_static_selectorELNS0_4arch9wavefront6targetE1EEEvSP_,@function
_ZN7rocprim17ROCPRIM_400000_NS6detail17trampoline_kernelINS0_14default_configENS1_21merge_config_selectorIyNS0_10empty_typeEEEZNS1_10merge_implIS3_N6thrust23THRUST_200600_302600_NS6detail15normal_iteratorINS9_10device_ptrIKyEEEESF_NSB_INSC_IyEEEEPS5_SI_SI_NS9_7greaterIyEEEE10hipError_tPvRmT0_T1_T2_T3_T4_T5_mmT6_P12ihipStream_tbEUlT_E_NS1_11comp_targetILNS1_3genE10ELNS1_11target_archE1201ELNS1_3gpuE5ELNS1_3repE0EEENS1_30default_config_static_selectorELNS0_4arch9wavefront6targetE1EEEvSP_: ; @_ZN7rocprim17ROCPRIM_400000_NS6detail17trampoline_kernelINS0_14default_configENS1_21merge_config_selectorIyNS0_10empty_typeEEEZNS1_10merge_implIS3_N6thrust23THRUST_200600_302600_NS6detail15normal_iteratorINS9_10device_ptrIKyEEEESF_NSB_INSC_IyEEEEPS5_SI_SI_NS9_7greaterIyEEEE10hipError_tPvRmT0_T1_T2_T3_T4_T5_mmT6_P12ihipStream_tbEUlT_E_NS1_11comp_targetILNS1_3genE10ELNS1_11target_archE1201ELNS1_3gpuE5ELNS1_3repE0EEENS1_30default_config_static_selectorELNS0_4arch9wavefront6targetE1EEEvSP_
; %bb.0:
	.section	.rodata,"a",@progbits
	.p2align	6, 0x0
	.amdhsa_kernel _ZN7rocprim17ROCPRIM_400000_NS6detail17trampoline_kernelINS0_14default_configENS1_21merge_config_selectorIyNS0_10empty_typeEEEZNS1_10merge_implIS3_N6thrust23THRUST_200600_302600_NS6detail15normal_iteratorINS9_10device_ptrIKyEEEESF_NSB_INSC_IyEEEEPS5_SI_SI_NS9_7greaterIyEEEE10hipError_tPvRmT0_T1_T2_T3_T4_T5_mmT6_P12ihipStream_tbEUlT_E_NS1_11comp_targetILNS1_3genE10ELNS1_11target_archE1201ELNS1_3gpuE5ELNS1_3repE0EEENS1_30default_config_static_selectorELNS0_4arch9wavefront6targetE1EEEvSP_
		.amdhsa_group_segment_fixed_size 0
		.amdhsa_private_segment_fixed_size 0
		.amdhsa_kernarg_size 48
		.amdhsa_user_sgpr_count 6
		.amdhsa_user_sgpr_private_segment_buffer 1
		.amdhsa_user_sgpr_dispatch_ptr 0
		.amdhsa_user_sgpr_queue_ptr 0
		.amdhsa_user_sgpr_kernarg_segment_ptr 1
		.amdhsa_user_sgpr_dispatch_id 0
		.amdhsa_user_sgpr_flat_scratch_init 0
		.amdhsa_user_sgpr_kernarg_preload_length 0
		.amdhsa_user_sgpr_kernarg_preload_offset 0
		.amdhsa_user_sgpr_private_segment_size 0
		.amdhsa_uses_dynamic_stack 0
		.amdhsa_system_sgpr_private_segment_wavefront_offset 0
		.amdhsa_system_sgpr_workgroup_id_x 1
		.amdhsa_system_sgpr_workgroup_id_y 0
		.amdhsa_system_sgpr_workgroup_id_z 0
		.amdhsa_system_sgpr_workgroup_info 0
		.amdhsa_system_vgpr_workitem_id 0
		.amdhsa_next_free_vgpr 1
		.amdhsa_next_free_sgpr 0
		.amdhsa_accum_offset 4
		.amdhsa_reserve_vcc 0
		.amdhsa_reserve_flat_scratch 0
		.amdhsa_float_round_mode_32 0
		.amdhsa_float_round_mode_16_64 0
		.amdhsa_float_denorm_mode_32 3
		.amdhsa_float_denorm_mode_16_64 3
		.amdhsa_dx10_clamp 1
		.amdhsa_ieee_mode 1
		.amdhsa_fp16_overflow 0
		.amdhsa_tg_split 0
		.amdhsa_exception_fp_ieee_invalid_op 0
		.amdhsa_exception_fp_denorm_src 0
		.amdhsa_exception_fp_ieee_div_zero 0
		.amdhsa_exception_fp_ieee_overflow 0
		.amdhsa_exception_fp_ieee_underflow 0
		.amdhsa_exception_fp_ieee_inexact 0
		.amdhsa_exception_int_div_zero 0
	.end_amdhsa_kernel
	.section	.text._ZN7rocprim17ROCPRIM_400000_NS6detail17trampoline_kernelINS0_14default_configENS1_21merge_config_selectorIyNS0_10empty_typeEEEZNS1_10merge_implIS3_N6thrust23THRUST_200600_302600_NS6detail15normal_iteratorINS9_10device_ptrIKyEEEESF_NSB_INSC_IyEEEEPS5_SI_SI_NS9_7greaterIyEEEE10hipError_tPvRmT0_T1_T2_T3_T4_T5_mmT6_P12ihipStream_tbEUlT_E_NS1_11comp_targetILNS1_3genE10ELNS1_11target_archE1201ELNS1_3gpuE5ELNS1_3repE0EEENS1_30default_config_static_selectorELNS0_4arch9wavefront6targetE1EEEvSP_,"axG",@progbits,_ZN7rocprim17ROCPRIM_400000_NS6detail17trampoline_kernelINS0_14default_configENS1_21merge_config_selectorIyNS0_10empty_typeEEEZNS1_10merge_implIS3_N6thrust23THRUST_200600_302600_NS6detail15normal_iteratorINS9_10device_ptrIKyEEEESF_NSB_INSC_IyEEEEPS5_SI_SI_NS9_7greaterIyEEEE10hipError_tPvRmT0_T1_T2_T3_T4_T5_mmT6_P12ihipStream_tbEUlT_E_NS1_11comp_targetILNS1_3genE10ELNS1_11target_archE1201ELNS1_3gpuE5ELNS1_3repE0EEENS1_30default_config_static_selectorELNS0_4arch9wavefront6targetE1EEEvSP_,comdat
.Lfunc_end502:
	.size	_ZN7rocprim17ROCPRIM_400000_NS6detail17trampoline_kernelINS0_14default_configENS1_21merge_config_selectorIyNS0_10empty_typeEEEZNS1_10merge_implIS3_N6thrust23THRUST_200600_302600_NS6detail15normal_iteratorINS9_10device_ptrIKyEEEESF_NSB_INSC_IyEEEEPS5_SI_SI_NS9_7greaterIyEEEE10hipError_tPvRmT0_T1_T2_T3_T4_T5_mmT6_P12ihipStream_tbEUlT_E_NS1_11comp_targetILNS1_3genE10ELNS1_11target_archE1201ELNS1_3gpuE5ELNS1_3repE0EEENS1_30default_config_static_selectorELNS0_4arch9wavefront6targetE1EEEvSP_, .Lfunc_end502-_ZN7rocprim17ROCPRIM_400000_NS6detail17trampoline_kernelINS0_14default_configENS1_21merge_config_selectorIyNS0_10empty_typeEEEZNS1_10merge_implIS3_N6thrust23THRUST_200600_302600_NS6detail15normal_iteratorINS9_10device_ptrIKyEEEESF_NSB_INSC_IyEEEEPS5_SI_SI_NS9_7greaterIyEEEE10hipError_tPvRmT0_T1_T2_T3_T4_T5_mmT6_P12ihipStream_tbEUlT_E_NS1_11comp_targetILNS1_3genE10ELNS1_11target_archE1201ELNS1_3gpuE5ELNS1_3repE0EEENS1_30default_config_static_selectorELNS0_4arch9wavefront6targetE1EEEvSP_
                                        ; -- End function
	.section	.AMDGPU.csdata,"",@progbits
; Kernel info:
; codeLenInByte = 0
; NumSgprs: 4
; NumVgprs: 0
; NumAgprs: 0
; TotalNumVgprs: 0
; ScratchSize: 0
; MemoryBound: 0
; FloatMode: 240
; IeeeMode: 1
; LDSByteSize: 0 bytes/workgroup (compile time only)
; SGPRBlocks: 0
; VGPRBlocks: 0
; NumSGPRsForWavesPerEU: 4
; NumVGPRsForWavesPerEU: 1
; AccumOffset: 4
; Occupancy: 8
; WaveLimiterHint : 0
; COMPUTE_PGM_RSRC2:SCRATCH_EN: 0
; COMPUTE_PGM_RSRC2:USER_SGPR: 6
; COMPUTE_PGM_RSRC2:TRAP_HANDLER: 0
; COMPUTE_PGM_RSRC2:TGID_X_EN: 1
; COMPUTE_PGM_RSRC2:TGID_Y_EN: 0
; COMPUTE_PGM_RSRC2:TGID_Z_EN: 0
; COMPUTE_PGM_RSRC2:TIDIG_COMP_CNT: 0
; COMPUTE_PGM_RSRC3_GFX90A:ACCUM_OFFSET: 0
; COMPUTE_PGM_RSRC3_GFX90A:TG_SPLIT: 0
	.section	.text._ZN7rocprim17ROCPRIM_400000_NS6detail17trampoline_kernelINS0_14default_configENS1_21merge_config_selectorIyNS0_10empty_typeEEEZNS1_10merge_implIS3_N6thrust23THRUST_200600_302600_NS6detail15normal_iteratorINS9_10device_ptrIKyEEEESF_NSB_INSC_IyEEEEPS5_SI_SI_NS9_7greaterIyEEEE10hipError_tPvRmT0_T1_T2_T3_T4_T5_mmT6_P12ihipStream_tbEUlT_E_NS1_11comp_targetILNS1_3genE10ELNS1_11target_archE1200ELNS1_3gpuE4ELNS1_3repE0EEENS1_30default_config_static_selectorELNS0_4arch9wavefront6targetE1EEEvSP_,"axG",@progbits,_ZN7rocprim17ROCPRIM_400000_NS6detail17trampoline_kernelINS0_14default_configENS1_21merge_config_selectorIyNS0_10empty_typeEEEZNS1_10merge_implIS3_N6thrust23THRUST_200600_302600_NS6detail15normal_iteratorINS9_10device_ptrIKyEEEESF_NSB_INSC_IyEEEEPS5_SI_SI_NS9_7greaterIyEEEE10hipError_tPvRmT0_T1_T2_T3_T4_T5_mmT6_P12ihipStream_tbEUlT_E_NS1_11comp_targetILNS1_3genE10ELNS1_11target_archE1200ELNS1_3gpuE4ELNS1_3repE0EEENS1_30default_config_static_selectorELNS0_4arch9wavefront6targetE1EEEvSP_,comdat
	.protected	_ZN7rocprim17ROCPRIM_400000_NS6detail17trampoline_kernelINS0_14default_configENS1_21merge_config_selectorIyNS0_10empty_typeEEEZNS1_10merge_implIS3_N6thrust23THRUST_200600_302600_NS6detail15normal_iteratorINS9_10device_ptrIKyEEEESF_NSB_INSC_IyEEEEPS5_SI_SI_NS9_7greaterIyEEEE10hipError_tPvRmT0_T1_T2_T3_T4_T5_mmT6_P12ihipStream_tbEUlT_E_NS1_11comp_targetILNS1_3genE10ELNS1_11target_archE1200ELNS1_3gpuE4ELNS1_3repE0EEENS1_30default_config_static_selectorELNS0_4arch9wavefront6targetE1EEEvSP_ ; -- Begin function _ZN7rocprim17ROCPRIM_400000_NS6detail17trampoline_kernelINS0_14default_configENS1_21merge_config_selectorIyNS0_10empty_typeEEEZNS1_10merge_implIS3_N6thrust23THRUST_200600_302600_NS6detail15normal_iteratorINS9_10device_ptrIKyEEEESF_NSB_INSC_IyEEEEPS5_SI_SI_NS9_7greaterIyEEEE10hipError_tPvRmT0_T1_T2_T3_T4_T5_mmT6_P12ihipStream_tbEUlT_E_NS1_11comp_targetILNS1_3genE10ELNS1_11target_archE1200ELNS1_3gpuE4ELNS1_3repE0EEENS1_30default_config_static_selectorELNS0_4arch9wavefront6targetE1EEEvSP_
	.globl	_ZN7rocprim17ROCPRIM_400000_NS6detail17trampoline_kernelINS0_14default_configENS1_21merge_config_selectorIyNS0_10empty_typeEEEZNS1_10merge_implIS3_N6thrust23THRUST_200600_302600_NS6detail15normal_iteratorINS9_10device_ptrIKyEEEESF_NSB_INSC_IyEEEEPS5_SI_SI_NS9_7greaterIyEEEE10hipError_tPvRmT0_T1_T2_T3_T4_T5_mmT6_P12ihipStream_tbEUlT_E_NS1_11comp_targetILNS1_3genE10ELNS1_11target_archE1200ELNS1_3gpuE4ELNS1_3repE0EEENS1_30default_config_static_selectorELNS0_4arch9wavefront6targetE1EEEvSP_
	.p2align	8
	.type	_ZN7rocprim17ROCPRIM_400000_NS6detail17trampoline_kernelINS0_14default_configENS1_21merge_config_selectorIyNS0_10empty_typeEEEZNS1_10merge_implIS3_N6thrust23THRUST_200600_302600_NS6detail15normal_iteratorINS9_10device_ptrIKyEEEESF_NSB_INSC_IyEEEEPS5_SI_SI_NS9_7greaterIyEEEE10hipError_tPvRmT0_T1_T2_T3_T4_T5_mmT6_P12ihipStream_tbEUlT_E_NS1_11comp_targetILNS1_3genE10ELNS1_11target_archE1200ELNS1_3gpuE4ELNS1_3repE0EEENS1_30default_config_static_selectorELNS0_4arch9wavefront6targetE1EEEvSP_,@function
_ZN7rocprim17ROCPRIM_400000_NS6detail17trampoline_kernelINS0_14default_configENS1_21merge_config_selectorIyNS0_10empty_typeEEEZNS1_10merge_implIS3_N6thrust23THRUST_200600_302600_NS6detail15normal_iteratorINS9_10device_ptrIKyEEEESF_NSB_INSC_IyEEEEPS5_SI_SI_NS9_7greaterIyEEEE10hipError_tPvRmT0_T1_T2_T3_T4_T5_mmT6_P12ihipStream_tbEUlT_E_NS1_11comp_targetILNS1_3genE10ELNS1_11target_archE1200ELNS1_3gpuE4ELNS1_3repE0EEENS1_30default_config_static_selectorELNS0_4arch9wavefront6targetE1EEEvSP_: ; @_ZN7rocprim17ROCPRIM_400000_NS6detail17trampoline_kernelINS0_14default_configENS1_21merge_config_selectorIyNS0_10empty_typeEEEZNS1_10merge_implIS3_N6thrust23THRUST_200600_302600_NS6detail15normal_iteratorINS9_10device_ptrIKyEEEESF_NSB_INSC_IyEEEEPS5_SI_SI_NS9_7greaterIyEEEE10hipError_tPvRmT0_T1_T2_T3_T4_T5_mmT6_P12ihipStream_tbEUlT_E_NS1_11comp_targetILNS1_3genE10ELNS1_11target_archE1200ELNS1_3gpuE4ELNS1_3repE0EEENS1_30default_config_static_selectorELNS0_4arch9wavefront6targetE1EEEvSP_
; %bb.0:
	.section	.rodata,"a",@progbits
	.p2align	6, 0x0
	.amdhsa_kernel _ZN7rocprim17ROCPRIM_400000_NS6detail17trampoline_kernelINS0_14default_configENS1_21merge_config_selectorIyNS0_10empty_typeEEEZNS1_10merge_implIS3_N6thrust23THRUST_200600_302600_NS6detail15normal_iteratorINS9_10device_ptrIKyEEEESF_NSB_INSC_IyEEEEPS5_SI_SI_NS9_7greaterIyEEEE10hipError_tPvRmT0_T1_T2_T3_T4_T5_mmT6_P12ihipStream_tbEUlT_E_NS1_11comp_targetILNS1_3genE10ELNS1_11target_archE1200ELNS1_3gpuE4ELNS1_3repE0EEENS1_30default_config_static_selectorELNS0_4arch9wavefront6targetE1EEEvSP_
		.amdhsa_group_segment_fixed_size 0
		.amdhsa_private_segment_fixed_size 0
		.amdhsa_kernarg_size 48
		.amdhsa_user_sgpr_count 6
		.amdhsa_user_sgpr_private_segment_buffer 1
		.amdhsa_user_sgpr_dispatch_ptr 0
		.amdhsa_user_sgpr_queue_ptr 0
		.amdhsa_user_sgpr_kernarg_segment_ptr 1
		.amdhsa_user_sgpr_dispatch_id 0
		.amdhsa_user_sgpr_flat_scratch_init 0
		.amdhsa_user_sgpr_kernarg_preload_length 0
		.amdhsa_user_sgpr_kernarg_preload_offset 0
		.amdhsa_user_sgpr_private_segment_size 0
		.amdhsa_uses_dynamic_stack 0
		.amdhsa_system_sgpr_private_segment_wavefront_offset 0
		.amdhsa_system_sgpr_workgroup_id_x 1
		.amdhsa_system_sgpr_workgroup_id_y 0
		.amdhsa_system_sgpr_workgroup_id_z 0
		.amdhsa_system_sgpr_workgroup_info 0
		.amdhsa_system_vgpr_workitem_id 0
		.amdhsa_next_free_vgpr 1
		.amdhsa_next_free_sgpr 0
		.amdhsa_accum_offset 4
		.amdhsa_reserve_vcc 0
		.amdhsa_reserve_flat_scratch 0
		.amdhsa_float_round_mode_32 0
		.amdhsa_float_round_mode_16_64 0
		.amdhsa_float_denorm_mode_32 3
		.amdhsa_float_denorm_mode_16_64 3
		.amdhsa_dx10_clamp 1
		.amdhsa_ieee_mode 1
		.amdhsa_fp16_overflow 0
		.amdhsa_tg_split 0
		.amdhsa_exception_fp_ieee_invalid_op 0
		.amdhsa_exception_fp_denorm_src 0
		.amdhsa_exception_fp_ieee_div_zero 0
		.amdhsa_exception_fp_ieee_overflow 0
		.amdhsa_exception_fp_ieee_underflow 0
		.amdhsa_exception_fp_ieee_inexact 0
		.amdhsa_exception_int_div_zero 0
	.end_amdhsa_kernel
	.section	.text._ZN7rocprim17ROCPRIM_400000_NS6detail17trampoline_kernelINS0_14default_configENS1_21merge_config_selectorIyNS0_10empty_typeEEEZNS1_10merge_implIS3_N6thrust23THRUST_200600_302600_NS6detail15normal_iteratorINS9_10device_ptrIKyEEEESF_NSB_INSC_IyEEEEPS5_SI_SI_NS9_7greaterIyEEEE10hipError_tPvRmT0_T1_T2_T3_T4_T5_mmT6_P12ihipStream_tbEUlT_E_NS1_11comp_targetILNS1_3genE10ELNS1_11target_archE1200ELNS1_3gpuE4ELNS1_3repE0EEENS1_30default_config_static_selectorELNS0_4arch9wavefront6targetE1EEEvSP_,"axG",@progbits,_ZN7rocprim17ROCPRIM_400000_NS6detail17trampoline_kernelINS0_14default_configENS1_21merge_config_selectorIyNS0_10empty_typeEEEZNS1_10merge_implIS3_N6thrust23THRUST_200600_302600_NS6detail15normal_iteratorINS9_10device_ptrIKyEEEESF_NSB_INSC_IyEEEEPS5_SI_SI_NS9_7greaterIyEEEE10hipError_tPvRmT0_T1_T2_T3_T4_T5_mmT6_P12ihipStream_tbEUlT_E_NS1_11comp_targetILNS1_3genE10ELNS1_11target_archE1200ELNS1_3gpuE4ELNS1_3repE0EEENS1_30default_config_static_selectorELNS0_4arch9wavefront6targetE1EEEvSP_,comdat
.Lfunc_end503:
	.size	_ZN7rocprim17ROCPRIM_400000_NS6detail17trampoline_kernelINS0_14default_configENS1_21merge_config_selectorIyNS0_10empty_typeEEEZNS1_10merge_implIS3_N6thrust23THRUST_200600_302600_NS6detail15normal_iteratorINS9_10device_ptrIKyEEEESF_NSB_INSC_IyEEEEPS5_SI_SI_NS9_7greaterIyEEEE10hipError_tPvRmT0_T1_T2_T3_T4_T5_mmT6_P12ihipStream_tbEUlT_E_NS1_11comp_targetILNS1_3genE10ELNS1_11target_archE1200ELNS1_3gpuE4ELNS1_3repE0EEENS1_30default_config_static_selectorELNS0_4arch9wavefront6targetE1EEEvSP_, .Lfunc_end503-_ZN7rocprim17ROCPRIM_400000_NS6detail17trampoline_kernelINS0_14default_configENS1_21merge_config_selectorIyNS0_10empty_typeEEEZNS1_10merge_implIS3_N6thrust23THRUST_200600_302600_NS6detail15normal_iteratorINS9_10device_ptrIKyEEEESF_NSB_INSC_IyEEEEPS5_SI_SI_NS9_7greaterIyEEEE10hipError_tPvRmT0_T1_T2_T3_T4_T5_mmT6_P12ihipStream_tbEUlT_E_NS1_11comp_targetILNS1_3genE10ELNS1_11target_archE1200ELNS1_3gpuE4ELNS1_3repE0EEENS1_30default_config_static_selectorELNS0_4arch9wavefront6targetE1EEEvSP_
                                        ; -- End function
	.section	.AMDGPU.csdata,"",@progbits
; Kernel info:
; codeLenInByte = 0
; NumSgprs: 4
; NumVgprs: 0
; NumAgprs: 0
; TotalNumVgprs: 0
; ScratchSize: 0
; MemoryBound: 0
; FloatMode: 240
; IeeeMode: 1
; LDSByteSize: 0 bytes/workgroup (compile time only)
; SGPRBlocks: 0
; VGPRBlocks: 0
; NumSGPRsForWavesPerEU: 4
; NumVGPRsForWavesPerEU: 1
; AccumOffset: 4
; Occupancy: 8
; WaveLimiterHint : 0
; COMPUTE_PGM_RSRC2:SCRATCH_EN: 0
; COMPUTE_PGM_RSRC2:USER_SGPR: 6
; COMPUTE_PGM_RSRC2:TRAP_HANDLER: 0
; COMPUTE_PGM_RSRC2:TGID_X_EN: 1
; COMPUTE_PGM_RSRC2:TGID_Y_EN: 0
; COMPUTE_PGM_RSRC2:TGID_Z_EN: 0
; COMPUTE_PGM_RSRC2:TIDIG_COMP_CNT: 0
; COMPUTE_PGM_RSRC3_GFX90A:ACCUM_OFFSET: 0
; COMPUTE_PGM_RSRC3_GFX90A:TG_SPLIT: 0
	.section	.text._ZN7rocprim17ROCPRIM_400000_NS6detail17trampoline_kernelINS0_14default_configENS1_21merge_config_selectorIyNS0_10empty_typeEEEZNS1_10merge_implIS3_N6thrust23THRUST_200600_302600_NS6detail15normal_iteratorINS9_10device_ptrIKyEEEESF_NSB_INSC_IyEEEEPS5_SI_SI_NS9_7greaterIyEEEE10hipError_tPvRmT0_T1_T2_T3_T4_T5_mmT6_P12ihipStream_tbEUlT_E_NS1_11comp_targetILNS1_3genE9ELNS1_11target_archE1100ELNS1_3gpuE3ELNS1_3repE0EEENS1_30default_config_static_selectorELNS0_4arch9wavefront6targetE1EEEvSP_,"axG",@progbits,_ZN7rocprim17ROCPRIM_400000_NS6detail17trampoline_kernelINS0_14default_configENS1_21merge_config_selectorIyNS0_10empty_typeEEEZNS1_10merge_implIS3_N6thrust23THRUST_200600_302600_NS6detail15normal_iteratorINS9_10device_ptrIKyEEEESF_NSB_INSC_IyEEEEPS5_SI_SI_NS9_7greaterIyEEEE10hipError_tPvRmT0_T1_T2_T3_T4_T5_mmT6_P12ihipStream_tbEUlT_E_NS1_11comp_targetILNS1_3genE9ELNS1_11target_archE1100ELNS1_3gpuE3ELNS1_3repE0EEENS1_30default_config_static_selectorELNS0_4arch9wavefront6targetE1EEEvSP_,comdat
	.protected	_ZN7rocprim17ROCPRIM_400000_NS6detail17trampoline_kernelINS0_14default_configENS1_21merge_config_selectorIyNS0_10empty_typeEEEZNS1_10merge_implIS3_N6thrust23THRUST_200600_302600_NS6detail15normal_iteratorINS9_10device_ptrIKyEEEESF_NSB_INSC_IyEEEEPS5_SI_SI_NS9_7greaterIyEEEE10hipError_tPvRmT0_T1_T2_T3_T4_T5_mmT6_P12ihipStream_tbEUlT_E_NS1_11comp_targetILNS1_3genE9ELNS1_11target_archE1100ELNS1_3gpuE3ELNS1_3repE0EEENS1_30default_config_static_selectorELNS0_4arch9wavefront6targetE1EEEvSP_ ; -- Begin function _ZN7rocprim17ROCPRIM_400000_NS6detail17trampoline_kernelINS0_14default_configENS1_21merge_config_selectorIyNS0_10empty_typeEEEZNS1_10merge_implIS3_N6thrust23THRUST_200600_302600_NS6detail15normal_iteratorINS9_10device_ptrIKyEEEESF_NSB_INSC_IyEEEEPS5_SI_SI_NS9_7greaterIyEEEE10hipError_tPvRmT0_T1_T2_T3_T4_T5_mmT6_P12ihipStream_tbEUlT_E_NS1_11comp_targetILNS1_3genE9ELNS1_11target_archE1100ELNS1_3gpuE3ELNS1_3repE0EEENS1_30default_config_static_selectorELNS0_4arch9wavefront6targetE1EEEvSP_
	.globl	_ZN7rocprim17ROCPRIM_400000_NS6detail17trampoline_kernelINS0_14default_configENS1_21merge_config_selectorIyNS0_10empty_typeEEEZNS1_10merge_implIS3_N6thrust23THRUST_200600_302600_NS6detail15normal_iteratorINS9_10device_ptrIKyEEEESF_NSB_INSC_IyEEEEPS5_SI_SI_NS9_7greaterIyEEEE10hipError_tPvRmT0_T1_T2_T3_T4_T5_mmT6_P12ihipStream_tbEUlT_E_NS1_11comp_targetILNS1_3genE9ELNS1_11target_archE1100ELNS1_3gpuE3ELNS1_3repE0EEENS1_30default_config_static_selectorELNS0_4arch9wavefront6targetE1EEEvSP_
	.p2align	8
	.type	_ZN7rocprim17ROCPRIM_400000_NS6detail17trampoline_kernelINS0_14default_configENS1_21merge_config_selectorIyNS0_10empty_typeEEEZNS1_10merge_implIS3_N6thrust23THRUST_200600_302600_NS6detail15normal_iteratorINS9_10device_ptrIKyEEEESF_NSB_INSC_IyEEEEPS5_SI_SI_NS9_7greaterIyEEEE10hipError_tPvRmT0_T1_T2_T3_T4_T5_mmT6_P12ihipStream_tbEUlT_E_NS1_11comp_targetILNS1_3genE9ELNS1_11target_archE1100ELNS1_3gpuE3ELNS1_3repE0EEENS1_30default_config_static_selectorELNS0_4arch9wavefront6targetE1EEEvSP_,@function
_ZN7rocprim17ROCPRIM_400000_NS6detail17trampoline_kernelINS0_14default_configENS1_21merge_config_selectorIyNS0_10empty_typeEEEZNS1_10merge_implIS3_N6thrust23THRUST_200600_302600_NS6detail15normal_iteratorINS9_10device_ptrIKyEEEESF_NSB_INSC_IyEEEEPS5_SI_SI_NS9_7greaterIyEEEE10hipError_tPvRmT0_T1_T2_T3_T4_T5_mmT6_P12ihipStream_tbEUlT_E_NS1_11comp_targetILNS1_3genE9ELNS1_11target_archE1100ELNS1_3gpuE3ELNS1_3repE0EEENS1_30default_config_static_selectorELNS0_4arch9wavefront6targetE1EEEvSP_: ; @_ZN7rocprim17ROCPRIM_400000_NS6detail17trampoline_kernelINS0_14default_configENS1_21merge_config_selectorIyNS0_10empty_typeEEEZNS1_10merge_implIS3_N6thrust23THRUST_200600_302600_NS6detail15normal_iteratorINS9_10device_ptrIKyEEEESF_NSB_INSC_IyEEEEPS5_SI_SI_NS9_7greaterIyEEEE10hipError_tPvRmT0_T1_T2_T3_T4_T5_mmT6_P12ihipStream_tbEUlT_E_NS1_11comp_targetILNS1_3genE9ELNS1_11target_archE1100ELNS1_3gpuE3ELNS1_3repE0EEENS1_30default_config_static_selectorELNS0_4arch9wavefront6targetE1EEEvSP_
; %bb.0:
	.section	.rodata,"a",@progbits
	.p2align	6, 0x0
	.amdhsa_kernel _ZN7rocprim17ROCPRIM_400000_NS6detail17trampoline_kernelINS0_14default_configENS1_21merge_config_selectorIyNS0_10empty_typeEEEZNS1_10merge_implIS3_N6thrust23THRUST_200600_302600_NS6detail15normal_iteratorINS9_10device_ptrIKyEEEESF_NSB_INSC_IyEEEEPS5_SI_SI_NS9_7greaterIyEEEE10hipError_tPvRmT0_T1_T2_T3_T4_T5_mmT6_P12ihipStream_tbEUlT_E_NS1_11comp_targetILNS1_3genE9ELNS1_11target_archE1100ELNS1_3gpuE3ELNS1_3repE0EEENS1_30default_config_static_selectorELNS0_4arch9wavefront6targetE1EEEvSP_
		.amdhsa_group_segment_fixed_size 0
		.amdhsa_private_segment_fixed_size 0
		.amdhsa_kernarg_size 48
		.amdhsa_user_sgpr_count 6
		.amdhsa_user_sgpr_private_segment_buffer 1
		.amdhsa_user_sgpr_dispatch_ptr 0
		.amdhsa_user_sgpr_queue_ptr 0
		.amdhsa_user_sgpr_kernarg_segment_ptr 1
		.amdhsa_user_sgpr_dispatch_id 0
		.amdhsa_user_sgpr_flat_scratch_init 0
		.amdhsa_user_sgpr_kernarg_preload_length 0
		.amdhsa_user_sgpr_kernarg_preload_offset 0
		.amdhsa_user_sgpr_private_segment_size 0
		.amdhsa_uses_dynamic_stack 0
		.amdhsa_system_sgpr_private_segment_wavefront_offset 0
		.amdhsa_system_sgpr_workgroup_id_x 1
		.amdhsa_system_sgpr_workgroup_id_y 0
		.amdhsa_system_sgpr_workgroup_id_z 0
		.amdhsa_system_sgpr_workgroup_info 0
		.amdhsa_system_vgpr_workitem_id 0
		.amdhsa_next_free_vgpr 1
		.amdhsa_next_free_sgpr 0
		.amdhsa_accum_offset 4
		.amdhsa_reserve_vcc 0
		.amdhsa_reserve_flat_scratch 0
		.amdhsa_float_round_mode_32 0
		.amdhsa_float_round_mode_16_64 0
		.amdhsa_float_denorm_mode_32 3
		.amdhsa_float_denorm_mode_16_64 3
		.amdhsa_dx10_clamp 1
		.amdhsa_ieee_mode 1
		.amdhsa_fp16_overflow 0
		.amdhsa_tg_split 0
		.amdhsa_exception_fp_ieee_invalid_op 0
		.amdhsa_exception_fp_denorm_src 0
		.amdhsa_exception_fp_ieee_div_zero 0
		.amdhsa_exception_fp_ieee_overflow 0
		.amdhsa_exception_fp_ieee_underflow 0
		.amdhsa_exception_fp_ieee_inexact 0
		.amdhsa_exception_int_div_zero 0
	.end_amdhsa_kernel
	.section	.text._ZN7rocprim17ROCPRIM_400000_NS6detail17trampoline_kernelINS0_14default_configENS1_21merge_config_selectorIyNS0_10empty_typeEEEZNS1_10merge_implIS3_N6thrust23THRUST_200600_302600_NS6detail15normal_iteratorINS9_10device_ptrIKyEEEESF_NSB_INSC_IyEEEEPS5_SI_SI_NS9_7greaterIyEEEE10hipError_tPvRmT0_T1_T2_T3_T4_T5_mmT6_P12ihipStream_tbEUlT_E_NS1_11comp_targetILNS1_3genE9ELNS1_11target_archE1100ELNS1_3gpuE3ELNS1_3repE0EEENS1_30default_config_static_selectorELNS0_4arch9wavefront6targetE1EEEvSP_,"axG",@progbits,_ZN7rocprim17ROCPRIM_400000_NS6detail17trampoline_kernelINS0_14default_configENS1_21merge_config_selectorIyNS0_10empty_typeEEEZNS1_10merge_implIS3_N6thrust23THRUST_200600_302600_NS6detail15normal_iteratorINS9_10device_ptrIKyEEEESF_NSB_INSC_IyEEEEPS5_SI_SI_NS9_7greaterIyEEEE10hipError_tPvRmT0_T1_T2_T3_T4_T5_mmT6_P12ihipStream_tbEUlT_E_NS1_11comp_targetILNS1_3genE9ELNS1_11target_archE1100ELNS1_3gpuE3ELNS1_3repE0EEENS1_30default_config_static_selectorELNS0_4arch9wavefront6targetE1EEEvSP_,comdat
.Lfunc_end504:
	.size	_ZN7rocprim17ROCPRIM_400000_NS6detail17trampoline_kernelINS0_14default_configENS1_21merge_config_selectorIyNS0_10empty_typeEEEZNS1_10merge_implIS3_N6thrust23THRUST_200600_302600_NS6detail15normal_iteratorINS9_10device_ptrIKyEEEESF_NSB_INSC_IyEEEEPS5_SI_SI_NS9_7greaterIyEEEE10hipError_tPvRmT0_T1_T2_T3_T4_T5_mmT6_P12ihipStream_tbEUlT_E_NS1_11comp_targetILNS1_3genE9ELNS1_11target_archE1100ELNS1_3gpuE3ELNS1_3repE0EEENS1_30default_config_static_selectorELNS0_4arch9wavefront6targetE1EEEvSP_, .Lfunc_end504-_ZN7rocprim17ROCPRIM_400000_NS6detail17trampoline_kernelINS0_14default_configENS1_21merge_config_selectorIyNS0_10empty_typeEEEZNS1_10merge_implIS3_N6thrust23THRUST_200600_302600_NS6detail15normal_iteratorINS9_10device_ptrIKyEEEESF_NSB_INSC_IyEEEEPS5_SI_SI_NS9_7greaterIyEEEE10hipError_tPvRmT0_T1_T2_T3_T4_T5_mmT6_P12ihipStream_tbEUlT_E_NS1_11comp_targetILNS1_3genE9ELNS1_11target_archE1100ELNS1_3gpuE3ELNS1_3repE0EEENS1_30default_config_static_selectorELNS0_4arch9wavefront6targetE1EEEvSP_
                                        ; -- End function
	.section	.AMDGPU.csdata,"",@progbits
; Kernel info:
; codeLenInByte = 0
; NumSgprs: 4
; NumVgprs: 0
; NumAgprs: 0
; TotalNumVgprs: 0
; ScratchSize: 0
; MemoryBound: 0
; FloatMode: 240
; IeeeMode: 1
; LDSByteSize: 0 bytes/workgroup (compile time only)
; SGPRBlocks: 0
; VGPRBlocks: 0
; NumSGPRsForWavesPerEU: 4
; NumVGPRsForWavesPerEU: 1
; AccumOffset: 4
; Occupancy: 8
; WaveLimiterHint : 0
; COMPUTE_PGM_RSRC2:SCRATCH_EN: 0
; COMPUTE_PGM_RSRC2:USER_SGPR: 6
; COMPUTE_PGM_RSRC2:TRAP_HANDLER: 0
; COMPUTE_PGM_RSRC2:TGID_X_EN: 1
; COMPUTE_PGM_RSRC2:TGID_Y_EN: 0
; COMPUTE_PGM_RSRC2:TGID_Z_EN: 0
; COMPUTE_PGM_RSRC2:TIDIG_COMP_CNT: 0
; COMPUTE_PGM_RSRC3_GFX90A:ACCUM_OFFSET: 0
; COMPUTE_PGM_RSRC3_GFX90A:TG_SPLIT: 0
	.section	.text._ZN7rocprim17ROCPRIM_400000_NS6detail17trampoline_kernelINS0_14default_configENS1_21merge_config_selectorIyNS0_10empty_typeEEEZNS1_10merge_implIS3_N6thrust23THRUST_200600_302600_NS6detail15normal_iteratorINS9_10device_ptrIKyEEEESF_NSB_INSC_IyEEEEPS5_SI_SI_NS9_7greaterIyEEEE10hipError_tPvRmT0_T1_T2_T3_T4_T5_mmT6_P12ihipStream_tbEUlT_E_NS1_11comp_targetILNS1_3genE8ELNS1_11target_archE1030ELNS1_3gpuE2ELNS1_3repE0EEENS1_30default_config_static_selectorELNS0_4arch9wavefront6targetE1EEEvSP_,"axG",@progbits,_ZN7rocprim17ROCPRIM_400000_NS6detail17trampoline_kernelINS0_14default_configENS1_21merge_config_selectorIyNS0_10empty_typeEEEZNS1_10merge_implIS3_N6thrust23THRUST_200600_302600_NS6detail15normal_iteratorINS9_10device_ptrIKyEEEESF_NSB_INSC_IyEEEEPS5_SI_SI_NS9_7greaterIyEEEE10hipError_tPvRmT0_T1_T2_T3_T4_T5_mmT6_P12ihipStream_tbEUlT_E_NS1_11comp_targetILNS1_3genE8ELNS1_11target_archE1030ELNS1_3gpuE2ELNS1_3repE0EEENS1_30default_config_static_selectorELNS0_4arch9wavefront6targetE1EEEvSP_,comdat
	.protected	_ZN7rocprim17ROCPRIM_400000_NS6detail17trampoline_kernelINS0_14default_configENS1_21merge_config_selectorIyNS0_10empty_typeEEEZNS1_10merge_implIS3_N6thrust23THRUST_200600_302600_NS6detail15normal_iteratorINS9_10device_ptrIKyEEEESF_NSB_INSC_IyEEEEPS5_SI_SI_NS9_7greaterIyEEEE10hipError_tPvRmT0_T1_T2_T3_T4_T5_mmT6_P12ihipStream_tbEUlT_E_NS1_11comp_targetILNS1_3genE8ELNS1_11target_archE1030ELNS1_3gpuE2ELNS1_3repE0EEENS1_30default_config_static_selectorELNS0_4arch9wavefront6targetE1EEEvSP_ ; -- Begin function _ZN7rocprim17ROCPRIM_400000_NS6detail17trampoline_kernelINS0_14default_configENS1_21merge_config_selectorIyNS0_10empty_typeEEEZNS1_10merge_implIS3_N6thrust23THRUST_200600_302600_NS6detail15normal_iteratorINS9_10device_ptrIKyEEEESF_NSB_INSC_IyEEEEPS5_SI_SI_NS9_7greaterIyEEEE10hipError_tPvRmT0_T1_T2_T3_T4_T5_mmT6_P12ihipStream_tbEUlT_E_NS1_11comp_targetILNS1_3genE8ELNS1_11target_archE1030ELNS1_3gpuE2ELNS1_3repE0EEENS1_30default_config_static_selectorELNS0_4arch9wavefront6targetE1EEEvSP_
	.globl	_ZN7rocprim17ROCPRIM_400000_NS6detail17trampoline_kernelINS0_14default_configENS1_21merge_config_selectorIyNS0_10empty_typeEEEZNS1_10merge_implIS3_N6thrust23THRUST_200600_302600_NS6detail15normal_iteratorINS9_10device_ptrIKyEEEESF_NSB_INSC_IyEEEEPS5_SI_SI_NS9_7greaterIyEEEE10hipError_tPvRmT0_T1_T2_T3_T4_T5_mmT6_P12ihipStream_tbEUlT_E_NS1_11comp_targetILNS1_3genE8ELNS1_11target_archE1030ELNS1_3gpuE2ELNS1_3repE0EEENS1_30default_config_static_selectorELNS0_4arch9wavefront6targetE1EEEvSP_
	.p2align	8
	.type	_ZN7rocprim17ROCPRIM_400000_NS6detail17trampoline_kernelINS0_14default_configENS1_21merge_config_selectorIyNS0_10empty_typeEEEZNS1_10merge_implIS3_N6thrust23THRUST_200600_302600_NS6detail15normal_iteratorINS9_10device_ptrIKyEEEESF_NSB_INSC_IyEEEEPS5_SI_SI_NS9_7greaterIyEEEE10hipError_tPvRmT0_T1_T2_T3_T4_T5_mmT6_P12ihipStream_tbEUlT_E_NS1_11comp_targetILNS1_3genE8ELNS1_11target_archE1030ELNS1_3gpuE2ELNS1_3repE0EEENS1_30default_config_static_selectorELNS0_4arch9wavefront6targetE1EEEvSP_,@function
_ZN7rocprim17ROCPRIM_400000_NS6detail17trampoline_kernelINS0_14default_configENS1_21merge_config_selectorIyNS0_10empty_typeEEEZNS1_10merge_implIS3_N6thrust23THRUST_200600_302600_NS6detail15normal_iteratorINS9_10device_ptrIKyEEEESF_NSB_INSC_IyEEEEPS5_SI_SI_NS9_7greaterIyEEEE10hipError_tPvRmT0_T1_T2_T3_T4_T5_mmT6_P12ihipStream_tbEUlT_E_NS1_11comp_targetILNS1_3genE8ELNS1_11target_archE1030ELNS1_3gpuE2ELNS1_3repE0EEENS1_30default_config_static_selectorELNS0_4arch9wavefront6targetE1EEEvSP_: ; @_ZN7rocprim17ROCPRIM_400000_NS6detail17trampoline_kernelINS0_14default_configENS1_21merge_config_selectorIyNS0_10empty_typeEEEZNS1_10merge_implIS3_N6thrust23THRUST_200600_302600_NS6detail15normal_iteratorINS9_10device_ptrIKyEEEESF_NSB_INSC_IyEEEEPS5_SI_SI_NS9_7greaterIyEEEE10hipError_tPvRmT0_T1_T2_T3_T4_T5_mmT6_P12ihipStream_tbEUlT_E_NS1_11comp_targetILNS1_3genE8ELNS1_11target_archE1030ELNS1_3gpuE2ELNS1_3repE0EEENS1_30default_config_static_selectorELNS0_4arch9wavefront6targetE1EEEvSP_
; %bb.0:
	.section	.rodata,"a",@progbits
	.p2align	6, 0x0
	.amdhsa_kernel _ZN7rocprim17ROCPRIM_400000_NS6detail17trampoline_kernelINS0_14default_configENS1_21merge_config_selectorIyNS0_10empty_typeEEEZNS1_10merge_implIS3_N6thrust23THRUST_200600_302600_NS6detail15normal_iteratorINS9_10device_ptrIKyEEEESF_NSB_INSC_IyEEEEPS5_SI_SI_NS9_7greaterIyEEEE10hipError_tPvRmT0_T1_T2_T3_T4_T5_mmT6_P12ihipStream_tbEUlT_E_NS1_11comp_targetILNS1_3genE8ELNS1_11target_archE1030ELNS1_3gpuE2ELNS1_3repE0EEENS1_30default_config_static_selectorELNS0_4arch9wavefront6targetE1EEEvSP_
		.amdhsa_group_segment_fixed_size 0
		.amdhsa_private_segment_fixed_size 0
		.amdhsa_kernarg_size 48
		.amdhsa_user_sgpr_count 6
		.amdhsa_user_sgpr_private_segment_buffer 1
		.amdhsa_user_sgpr_dispatch_ptr 0
		.amdhsa_user_sgpr_queue_ptr 0
		.amdhsa_user_sgpr_kernarg_segment_ptr 1
		.amdhsa_user_sgpr_dispatch_id 0
		.amdhsa_user_sgpr_flat_scratch_init 0
		.amdhsa_user_sgpr_kernarg_preload_length 0
		.amdhsa_user_sgpr_kernarg_preload_offset 0
		.amdhsa_user_sgpr_private_segment_size 0
		.amdhsa_uses_dynamic_stack 0
		.amdhsa_system_sgpr_private_segment_wavefront_offset 0
		.amdhsa_system_sgpr_workgroup_id_x 1
		.amdhsa_system_sgpr_workgroup_id_y 0
		.amdhsa_system_sgpr_workgroup_id_z 0
		.amdhsa_system_sgpr_workgroup_info 0
		.amdhsa_system_vgpr_workitem_id 0
		.amdhsa_next_free_vgpr 1
		.amdhsa_next_free_sgpr 0
		.amdhsa_accum_offset 4
		.amdhsa_reserve_vcc 0
		.amdhsa_reserve_flat_scratch 0
		.amdhsa_float_round_mode_32 0
		.amdhsa_float_round_mode_16_64 0
		.amdhsa_float_denorm_mode_32 3
		.amdhsa_float_denorm_mode_16_64 3
		.amdhsa_dx10_clamp 1
		.amdhsa_ieee_mode 1
		.amdhsa_fp16_overflow 0
		.amdhsa_tg_split 0
		.amdhsa_exception_fp_ieee_invalid_op 0
		.amdhsa_exception_fp_denorm_src 0
		.amdhsa_exception_fp_ieee_div_zero 0
		.amdhsa_exception_fp_ieee_overflow 0
		.amdhsa_exception_fp_ieee_underflow 0
		.amdhsa_exception_fp_ieee_inexact 0
		.amdhsa_exception_int_div_zero 0
	.end_amdhsa_kernel
	.section	.text._ZN7rocprim17ROCPRIM_400000_NS6detail17trampoline_kernelINS0_14default_configENS1_21merge_config_selectorIyNS0_10empty_typeEEEZNS1_10merge_implIS3_N6thrust23THRUST_200600_302600_NS6detail15normal_iteratorINS9_10device_ptrIKyEEEESF_NSB_INSC_IyEEEEPS5_SI_SI_NS9_7greaterIyEEEE10hipError_tPvRmT0_T1_T2_T3_T4_T5_mmT6_P12ihipStream_tbEUlT_E_NS1_11comp_targetILNS1_3genE8ELNS1_11target_archE1030ELNS1_3gpuE2ELNS1_3repE0EEENS1_30default_config_static_selectorELNS0_4arch9wavefront6targetE1EEEvSP_,"axG",@progbits,_ZN7rocprim17ROCPRIM_400000_NS6detail17trampoline_kernelINS0_14default_configENS1_21merge_config_selectorIyNS0_10empty_typeEEEZNS1_10merge_implIS3_N6thrust23THRUST_200600_302600_NS6detail15normal_iteratorINS9_10device_ptrIKyEEEESF_NSB_INSC_IyEEEEPS5_SI_SI_NS9_7greaterIyEEEE10hipError_tPvRmT0_T1_T2_T3_T4_T5_mmT6_P12ihipStream_tbEUlT_E_NS1_11comp_targetILNS1_3genE8ELNS1_11target_archE1030ELNS1_3gpuE2ELNS1_3repE0EEENS1_30default_config_static_selectorELNS0_4arch9wavefront6targetE1EEEvSP_,comdat
.Lfunc_end505:
	.size	_ZN7rocprim17ROCPRIM_400000_NS6detail17trampoline_kernelINS0_14default_configENS1_21merge_config_selectorIyNS0_10empty_typeEEEZNS1_10merge_implIS3_N6thrust23THRUST_200600_302600_NS6detail15normal_iteratorINS9_10device_ptrIKyEEEESF_NSB_INSC_IyEEEEPS5_SI_SI_NS9_7greaterIyEEEE10hipError_tPvRmT0_T1_T2_T3_T4_T5_mmT6_P12ihipStream_tbEUlT_E_NS1_11comp_targetILNS1_3genE8ELNS1_11target_archE1030ELNS1_3gpuE2ELNS1_3repE0EEENS1_30default_config_static_selectorELNS0_4arch9wavefront6targetE1EEEvSP_, .Lfunc_end505-_ZN7rocprim17ROCPRIM_400000_NS6detail17trampoline_kernelINS0_14default_configENS1_21merge_config_selectorIyNS0_10empty_typeEEEZNS1_10merge_implIS3_N6thrust23THRUST_200600_302600_NS6detail15normal_iteratorINS9_10device_ptrIKyEEEESF_NSB_INSC_IyEEEEPS5_SI_SI_NS9_7greaterIyEEEE10hipError_tPvRmT0_T1_T2_T3_T4_T5_mmT6_P12ihipStream_tbEUlT_E_NS1_11comp_targetILNS1_3genE8ELNS1_11target_archE1030ELNS1_3gpuE2ELNS1_3repE0EEENS1_30default_config_static_selectorELNS0_4arch9wavefront6targetE1EEEvSP_
                                        ; -- End function
	.section	.AMDGPU.csdata,"",@progbits
; Kernel info:
; codeLenInByte = 0
; NumSgprs: 4
; NumVgprs: 0
; NumAgprs: 0
; TotalNumVgprs: 0
; ScratchSize: 0
; MemoryBound: 0
; FloatMode: 240
; IeeeMode: 1
; LDSByteSize: 0 bytes/workgroup (compile time only)
; SGPRBlocks: 0
; VGPRBlocks: 0
; NumSGPRsForWavesPerEU: 4
; NumVGPRsForWavesPerEU: 1
; AccumOffset: 4
; Occupancy: 8
; WaveLimiterHint : 0
; COMPUTE_PGM_RSRC2:SCRATCH_EN: 0
; COMPUTE_PGM_RSRC2:USER_SGPR: 6
; COMPUTE_PGM_RSRC2:TRAP_HANDLER: 0
; COMPUTE_PGM_RSRC2:TGID_X_EN: 1
; COMPUTE_PGM_RSRC2:TGID_Y_EN: 0
; COMPUTE_PGM_RSRC2:TGID_Z_EN: 0
; COMPUTE_PGM_RSRC2:TIDIG_COMP_CNT: 0
; COMPUTE_PGM_RSRC3_GFX90A:ACCUM_OFFSET: 0
; COMPUTE_PGM_RSRC3_GFX90A:TG_SPLIT: 0
	.section	.text._ZN7rocprim17ROCPRIM_400000_NS6detail17trampoline_kernelINS0_14default_configENS1_21merge_config_selectorIyNS0_10empty_typeEEEZNS1_10merge_implIS3_N6thrust23THRUST_200600_302600_NS6detail15normal_iteratorINS9_10device_ptrIKyEEEESF_NSB_INSC_IyEEEEPS5_SI_SI_NS9_7greaterIyEEEE10hipError_tPvRmT0_T1_T2_T3_T4_T5_mmT6_P12ihipStream_tbEUlT_E0_NS1_11comp_targetILNS1_3genE0ELNS1_11target_archE4294967295ELNS1_3gpuE0ELNS1_3repE0EEENS1_30default_config_static_selectorELNS0_4arch9wavefront6targetE1EEEvSP_,"axG",@progbits,_ZN7rocprim17ROCPRIM_400000_NS6detail17trampoline_kernelINS0_14default_configENS1_21merge_config_selectorIyNS0_10empty_typeEEEZNS1_10merge_implIS3_N6thrust23THRUST_200600_302600_NS6detail15normal_iteratorINS9_10device_ptrIKyEEEESF_NSB_INSC_IyEEEEPS5_SI_SI_NS9_7greaterIyEEEE10hipError_tPvRmT0_T1_T2_T3_T4_T5_mmT6_P12ihipStream_tbEUlT_E0_NS1_11comp_targetILNS1_3genE0ELNS1_11target_archE4294967295ELNS1_3gpuE0ELNS1_3repE0EEENS1_30default_config_static_selectorELNS0_4arch9wavefront6targetE1EEEvSP_,comdat
	.protected	_ZN7rocprim17ROCPRIM_400000_NS6detail17trampoline_kernelINS0_14default_configENS1_21merge_config_selectorIyNS0_10empty_typeEEEZNS1_10merge_implIS3_N6thrust23THRUST_200600_302600_NS6detail15normal_iteratorINS9_10device_ptrIKyEEEESF_NSB_INSC_IyEEEEPS5_SI_SI_NS9_7greaterIyEEEE10hipError_tPvRmT0_T1_T2_T3_T4_T5_mmT6_P12ihipStream_tbEUlT_E0_NS1_11comp_targetILNS1_3genE0ELNS1_11target_archE4294967295ELNS1_3gpuE0ELNS1_3repE0EEENS1_30default_config_static_selectorELNS0_4arch9wavefront6targetE1EEEvSP_ ; -- Begin function _ZN7rocprim17ROCPRIM_400000_NS6detail17trampoline_kernelINS0_14default_configENS1_21merge_config_selectorIyNS0_10empty_typeEEEZNS1_10merge_implIS3_N6thrust23THRUST_200600_302600_NS6detail15normal_iteratorINS9_10device_ptrIKyEEEESF_NSB_INSC_IyEEEEPS5_SI_SI_NS9_7greaterIyEEEE10hipError_tPvRmT0_T1_T2_T3_T4_T5_mmT6_P12ihipStream_tbEUlT_E0_NS1_11comp_targetILNS1_3genE0ELNS1_11target_archE4294967295ELNS1_3gpuE0ELNS1_3repE0EEENS1_30default_config_static_selectorELNS0_4arch9wavefront6targetE1EEEvSP_
	.globl	_ZN7rocprim17ROCPRIM_400000_NS6detail17trampoline_kernelINS0_14default_configENS1_21merge_config_selectorIyNS0_10empty_typeEEEZNS1_10merge_implIS3_N6thrust23THRUST_200600_302600_NS6detail15normal_iteratorINS9_10device_ptrIKyEEEESF_NSB_INSC_IyEEEEPS5_SI_SI_NS9_7greaterIyEEEE10hipError_tPvRmT0_T1_T2_T3_T4_T5_mmT6_P12ihipStream_tbEUlT_E0_NS1_11comp_targetILNS1_3genE0ELNS1_11target_archE4294967295ELNS1_3gpuE0ELNS1_3repE0EEENS1_30default_config_static_selectorELNS0_4arch9wavefront6targetE1EEEvSP_
	.p2align	8
	.type	_ZN7rocprim17ROCPRIM_400000_NS6detail17trampoline_kernelINS0_14default_configENS1_21merge_config_selectorIyNS0_10empty_typeEEEZNS1_10merge_implIS3_N6thrust23THRUST_200600_302600_NS6detail15normal_iteratorINS9_10device_ptrIKyEEEESF_NSB_INSC_IyEEEEPS5_SI_SI_NS9_7greaterIyEEEE10hipError_tPvRmT0_T1_T2_T3_T4_T5_mmT6_P12ihipStream_tbEUlT_E0_NS1_11comp_targetILNS1_3genE0ELNS1_11target_archE4294967295ELNS1_3gpuE0ELNS1_3repE0EEENS1_30default_config_static_selectorELNS0_4arch9wavefront6targetE1EEEvSP_,@function
_ZN7rocprim17ROCPRIM_400000_NS6detail17trampoline_kernelINS0_14default_configENS1_21merge_config_selectorIyNS0_10empty_typeEEEZNS1_10merge_implIS3_N6thrust23THRUST_200600_302600_NS6detail15normal_iteratorINS9_10device_ptrIKyEEEESF_NSB_INSC_IyEEEEPS5_SI_SI_NS9_7greaterIyEEEE10hipError_tPvRmT0_T1_T2_T3_T4_T5_mmT6_P12ihipStream_tbEUlT_E0_NS1_11comp_targetILNS1_3genE0ELNS1_11target_archE4294967295ELNS1_3gpuE0ELNS1_3repE0EEENS1_30default_config_static_selectorELNS0_4arch9wavefront6targetE1EEEvSP_: ; @_ZN7rocprim17ROCPRIM_400000_NS6detail17trampoline_kernelINS0_14default_configENS1_21merge_config_selectorIyNS0_10empty_typeEEEZNS1_10merge_implIS3_N6thrust23THRUST_200600_302600_NS6detail15normal_iteratorINS9_10device_ptrIKyEEEESF_NSB_INSC_IyEEEEPS5_SI_SI_NS9_7greaterIyEEEE10hipError_tPvRmT0_T1_T2_T3_T4_T5_mmT6_P12ihipStream_tbEUlT_E0_NS1_11comp_targetILNS1_3genE0ELNS1_11target_archE4294967295ELNS1_3gpuE0ELNS1_3repE0EEENS1_30default_config_static_selectorELNS0_4arch9wavefront6targetE1EEEvSP_
; %bb.0:
	.section	.rodata,"a",@progbits
	.p2align	6, 0x0
	.amdhsa_kernel _ZN7rocprim17ROCPRIM_400000_NS6detail17trampoline_kernelINS0_14default_configENS1_21merge_config_selectorIyNS0_10empty_typeEEEZNS1_10merge_implIS3_N6thrust23THRUST_200600_302600_NS6detail15normal_iteratorINS9_10device_ptrIKyEEEESF_NSB_INSC_IyEEEEPS5_SI_SI_NS9_7greaterIyEEEE10hipError_tPvRmT0_T1_T2_T3_T4_T5_mmT6_P12ihipStream_tbEUlT_E0_NS1_11comp_targetILNS1_3genE0ELNS1_11target_archE4294967295ELNS1_3gpuE0ELNS1_3repE0EEENS1_30default_config_static_selectorELNS0_4arch9wavefront6targetE1EEEvSP_
		.amdhsa_group_segment_fixed_size 0
		.amdhsa_private_segment_fixed_size 0
		.amdhsa_kernarg_size 88
		.amdhsa_user_sgpr_count 6
		.amdhsa_user_sgpr_private_segment_buffer 1
		.amdhsa_user_sgpr_dispatch_ptr 0
		.amdhsa_user_sgpr_queue_ptr 0
		.amdhsa_user_sgpr_kernarg_segment_ptr 1
		.amdhsa_user_sgpr_dispatch_id 0
		.amdhsa_user_sgpr_flat_scratch_init 0
		.amdhsa_user_sgpr_kernarg_preload_length 0
		.amdhsa_user_sgpr_kernarg_preload_offset 0
		.amdhsa_user_sgpr_private_segment_size 0
		.amdhsa_uses_dynamic_stack 0
		.amdhsa_system_sgpr_private_segment_wavefront_offset 0
		.amdhsa_system_sgpr_workgroup_id_x 1
		.amdhsa_system_sgpr_workgroup_id_y 0
		.amdhsa_system_sgpr_workgroup_id_z 0
		.amdhsa_system_sgpr_workgroup_info 0
		.amdhsa_system_vgpr_workitem_id 0
		.amdhsa_next_free_vgpr 1
		.amdhsa_next_free_sgpr 0
		.amdhsa_accum_offset 4
		.amdhsa_reserve_vcc 0
		.amdhsa_reserve_flat_scratch 0
		.amdhsa_float_round_mode_32 0
		.amdhsa_float_round_mode_16_64 0
		.amdhsa_float_denorm_mode_32 3
		.amdhsa_float_denorm_mode_16_64 3
		.amdhsa_dx10_clamp 1
		.amdhsa_ieee_mode 1
		.amdhsa_fp16_overflow 0
		.amdhsa_tg_split 0
		.amdhsa_exception_fp_ieee_invalid_op 0
		.amdhsa_exception_fp_denorm_src 0
		.amdhsa_exception_fp_ieee_div_zero 0
		.amdhsa_exception_fp_ieee_overflow 0
		.amdhsa_exception_fp_ieee_underflow 0
		.amdhsa_exception_fp_ieee_inexact 0
		.amdhsa_exception_int_div_zero 0
	.end_amdhsa_kernel
	.section	.text._ZN7rocprim17ROCPRIM_400000_NS6detail17trampoline_kernelINS0_14default_configENS1_21merge_config_selectorIyNS0_10empty_typeEEEZNS1_10merge_implIS3_N6thrust23THRUST_200600_302600_NS6detail15normal_iteratorINS9_10device_ptrIKyEEEESF_NSB_INSC_IyEEEEPS5_SI_SI_NS9_7greaterIyEEEE10hipError_tPvRmT0_T1_T2_T3_T4_T5_mmT6_P12ihipStream_tbEUlT_E0_NS1_11comp_targetILNS1_3genE0ELNS1_11target_archE4294967295ELNS1_3gpuE0ELNS1_3repE0EEENS1_30default_config_static_selectorELNS0_4arch9wavefront6targetE1EEEvSP_,"axG",@progbits,_ZN7rocprim17ROCPRIM_400000_NS6detail17trampoline_kernelINS0_14default_configENS1_21merge_config_selectorIyNS0_10empty_typeEEEZNS1_10merge_implIS3_N6thrust23THRUST_200600_302600_NS6detail15normal_iteratorINS9_10device_ptrIKyEEEESF_NSB_INSC_IyEEEEPS5_SI_SI_NS9_7greaterIyEEEE10hipError_tPvRmT0_T1_T2_T3_T4_T5_mmT6_P12ihipStream_tbEUlT_E0_NS1_11comp_targetILNS1_3genE0ELNS1_11target_archE4294967295ELNS1_3gpuE0ELNS1_3repE0EEENS1_30default_config_static_selectorELNS0_4arch9wavefront6targetE1EEEvSP_,comdat
.Lfunc_end506:
	.size	_ZN7rocprim17ROCPRIM_400000_NS6detail17trampoline_kernelINS0_14default_configENS1_21merge_config_selectorIyNS0_10empty_typeEEEZNS1_10merge_implIS3_N6thrust23THRUST_200600_302600_NS6detail15normal_iteratorINS9_10device_ptrIKyEEEESF_NSB_INSC_IyEEEEPS5_SI_SI_NS9_7greaterIyEEEE10hipError_tPvRmT0_T1_T2_T3_T4_T5_mmT6_P12ihipStream_tbEUlT_E0_NS1_11comp_targetILNS1_3genE0ELNS1_11target_archE4294967295ELNS1_3gpuE0ELNS1_3repE0EEENS1_30default_config_static_selectorELNS0_4arch9wavefront6targetE1EEEvSP_, .Lfunc_end506-_ZN7rocprim17ROCPRIM_400000_NS6detail17trampoline_kernelINS0_14default_configENS1_21merge_config_selectorIyNS0_10empty_typeEEEZNS1_10merge_implIS3_N6thrust23THRUST_200600_302600_NS6detail15normal_iteratorINS9_10device_ptrIKyEEEESF_NSB_INSC_IyEEEEPS5_SI_SI_NS9_7greaterIyEEEE10hipError_tPvRmT0_T1_T2_T3_T4_T5_mmT6_P12ihipStream_tbEUlT_E0_NS1_11comp_targetILNS1_3genE0ELNS1_11target_archE4294967295ELNS1_3gpuE0ELNS1_3repE0EEENS1_30default_config_static_selectorELNS0_4arch9wavefront6targetE1EEEvSP_
                                        ; -- End function
	.section	.AMDGPU.csdata,"",@progbits
; Kernel info:
; codeLenInByte = 0
; NumSgprs: 4
; NumVgprs: 0
; NumAgprs: 0
; TotalNumVgprs: 0
; ScratchSize: 0
; MemoryBound: 0
; FloatMode: 240
; IeeeMode: 1
; LDSByteSize: 0 bytes/workgroup (compile time only)
; SGPRBlocks: 0
; VGPRBlocks: 0
; NumSGPRsForWavesPerEU: 4
; NumVGPRsForWavesPerEU: 1
; AccumOffset: 4
; Occupancy: 8
; WaveLimiterHint : 0
; COMPUTE_PGM_RSRC2:SCRATCH_EN: 0
; COMPUTE_PGM_RSRC2:USER_SGPR: 6
; COMPUTE_PGM_RSRC2:TRAP_HANDLER: 0
; COMPUTE_PGM_RSRC2:TGID_X_EN: 1
; COMPUTE_PGM_RSRC2:TGID_Y_EN: 0
; COMPUTE_PGM_RSRC2:TGID_Z_EN: 0
; COMPUTE_PGM_RSRC2:TIDIG_COMP_CNT: 0
; COMPUTE_PGM_RSRC3_GFX90A:ACCUM_OFFSET: 0
; COMPUTE_PGM_RSRC3_GFX90A:TG_SPLIT: 0
	.section	.text._ZN7rocprim17ROCPRIM_400000_NS6detail17trampoline_kernelINS0_14default_configENS1_21merge_config_selectorIyNS0_10empty_typeEEEZNS1_10merge_implIS3_N6thrust23THRUST_200600_302600_NS6detail15normal_iteratorINS9_10device_ptrIKyEEEESF_NSB_INSC_IyEEEEPS5_SI_SI_NS9_7greaterIyEEEE10hipError_tPvRmT0_T1_T2_T3_T4_T5_mmT6_P12ihipStream_tbEUlT_E0_NS1_11comp_targetILNS1_3genE5ELNS1_11target_archE942ELNS1_3gpuE9ELNS1_3repE0EEENS1_30default_config_static_selectorELNS0_4arch9wavefront6targetE1EEEvSP_,"axG",@progbits,_ZN7rocprim17ROCPRIM_400000_NS6detail17trampoline_kernelINS0_14default_configENS1_21merge_config_selectorIyNS0_10empty_typeEEEZNS1_10merge_implIS3_N6thrust23THRUST_200600_302600_NS6detail15normal_iteratorINS9_10device_ptrIKyEEEESF_NSB_INSC_IyEEEEPS5_SI_SI_NS9_7greaterIyEEEE10hipError_tPvRmT0_T1_T2_T3_T4_T5_mmT6_P12ihipStream_tbEUlT_E0_NS1_11comp_targetILNS1_3genE5ELNS1_11target_archE942ELNS1_3gpuE9ELNS1_3repE0EEENS1_30default_config_static_selectorELNS0_4arch9wavefront6targetE1EEEvSP_,comdat
	.protected	_ZN7rocprim17ROCPRIM_400000_NS6detail17trampoline_kernelINS0_14default_configENS1_21merge_config_selectorIyNS0_10empty_typeEEEZNS1_10merge_implIS3_N6thrust23THRUST_200600_302600_NS6detail15normal_iteratorINS9_10device_ptrIKyEEEESF_NSB_INSC_IyEEEEPS5_SI_SI_NS9_7greaterIyEEEE10hipError_tPvRmT0_T1_T2_T3_T4_T5_mmT6_P12ihipStream_tbEUlT_E0_NS1_11comp_targetILNS1_3genE5ELNS1_11target_archE942ELNS1_3gpuE9ELNS1_3repE0EEENS1_30default_config_static_selectorELNS0_4arch9wavefront6targetE1EEEvSP_ ; -- Begin function _ZN7rocprim17ROCPRIM_400000_NS6detail17trampoline_kernelINS0_14default_configENS1_21merge_config_selectorIyNS0_10empty_typeEEEZNS1_10merge_implIS3_N6thrust23THRUST_200600_302600_NS6detail15normal_iteratorINS9_10device_ptrIKyEEEESF_NSB_INSC_IyEEEEPS5_SI_SI_NS9_7greaterIyEEEE10hipError_tPvRmT0_T1_T2_T3_T4_T5_mmT6_P12ihipStream_tbEUlT_E0_NS1_11comp_targetILNS1_3genE5ELNS1_11target_archE942ELNS1_3gpuE9ELNS1_3repE0EEENS1_30default_config_static_selectorELNS0_4arch9wavefront6targetE1EEEvSP_
	.globl	_ZN7rocprim17ROCPRIM_400000_NS6detail17trampoline_kernelINS0_14default_configENS1_21merge_config_selectorIyNS0_10empty_typeEEEZNS1_10merge_implIS3_N6thrust23THRUST_200600_302600_NS6detail15normal_iteratorINS9_10device_ptrIKyEEEESF_NSB_INSC_IyEEEEPS5_SI_SI_NS9_7greaterIyEEEE10hipError_tPvRmT0_T1_T2_T3_T4_T5_mmT6_P12ihipStream_tbEUlT_E0_NS1_11comp_targetILNS1_3genE5ELNS1_11target_archE942ELNS1_3gpuE9ELNS1_3repE0EEENS1_30default_config_static_selectorELNS0_4arch9wavefront6targetE1EEEvSP_
	.p2align	8
	.type	_ZN7rocprim17ROCPRIM_400000_NS6detail17trampoline_kernelINS0_14default_configENS1_21merge_config_selectorIyNS0_10empty_typeEEEZNS1_10merge_implIS3_N6thrust23THRUST_200600_302600_NS6detail15normal_iteratorINS9_10device_ptrIKyEEEESF_NSB_INSC_IyEEEEPS5_SI_SI_NS9_7greaterIyEEEE10hipError_tPvRmT0_T1_T2_T3_T4_T5_mmT6_P12ihipStream_tbEUlT_E0_NS1_11comp_targetILNS1_3genE5ELNS1_11target_archE942ELNS1_3gpuE9ELNS1_3repE0EEENS1_30default_config_static_selectorELNS0_4arch9wavefront6targetE1EEEvSP_,@function
_ZN7rocprim17ROCPRIM_400000_NS6detail17trampoline_kernelINS0_14default_configENS1_21merge_config_selectorIyNS0_10empty_typeEEEZNS1_10merge_implIS3_N6thrust23THRUST_200600_302600_NS6detail15normal_iteratorINS9_10device_ptrIKyEEEESF_NSB_INSC_IyEEEEPS5_SI_SI_NS9_7greaterIyEEEE10hipError_tPvRmT0_T1_T2_T3_T4_T5_mmT6_P12ihipStream_tbEUlT_E0_NS1_11comp_targetILNS1_3genE5ELNS1_11target_archE942ELNS1_3gpuE9ELNS1_3repE0EEENS1_30default_config_static_selectorELNS0_4arch9wavefront6targetE1EEEvSP_: ; @_ZN7rocprim17ROCPRIM_400000_NS6detail17trampoline_kernelINS0_14default_configENS1_21merge_config_selectorIyNS0_10empty_typeEEEZNS1_10merge_implIS3_N6thrust23THRUST_200600_302600_NS6detail15normal_iteratorINS9_10device_ptrIKyEEEESF_NSB_INSC_IyEEEEPS5_SI_SI_NS9_7greaterIyEEEE10hipError_tPvRmT0_T1_T2_T3_T4_T5_mmT6_P12ihipStream_tbEUlT_E0_NS1_11comp_targetILNS1_3genE5ELNS1_11target_archE942ELNS1_3gpuE9ELNS1_3repE0EEENS1_30default_config_static_selectorELNS0_4arch9wavefront6targetE1EEEvSP_
; %bb.0:
	.section	.rodata,"a",@progbits
	.p2align	6, 0x0
	.amdhsa_kernel _ZN7rocprim17ROCPRIM_400000_NS6detail17trampoline_kernelINS0_14default_configENS1_21merge_config_selectorIyNS0_10empty_typeEEEZNS1_10merge_implIS3_N6thrust23THRUST_200600_302600_NS6detail15normal_iteratorINS9_10device_ptrIKyEEEESF_NSB_INSC_IyEEEEPS5_SI_SI_NS9_7greaterIyEEEE10hipError_tPvRmT0_T1_T2_T3_T4_T5_mmT6_P12ihipStream_tbEUlT_E0_NS1_11comp_targetILNS1_3genE5ELNS1_11target_archE942ELNS1_3gpuE9ELNS1_3repE0EEENS1_30default_config_static_selectorELNS0_4arch9wavefront6targetE1EEEvSP_
		.amdhsa_group_segment_fixed_size 0
		.amdhsa_private_segment_fixed_size 0
		.amdhsa_kernarg_size 88
		.amdhsa_user_sgpr_count 6
		.amdhsa_user_sgpr_private_segment_buffer 1
		.amdhsa_user_sgpr_dispatch_ptr 0
		.amdhsa_user_sgpr_queue_ptr 0
		.amdhsa_user_sgpr_kernarg_segment_ptr 1
		.amdhsa_user_sgpr_dispatch_id 0
		.amdhsa_user_sgpr_flat_scratch_init 0
		.amdhsa_user_sgpr_kernarg_preload_length 0
		.amdhsa_user_sgpr_kernarg_preload_offset 0
		.amdhsa_user_sgpr_private_segment_size 0
		.amdhsa_uses_dynamic_stack 0
		.amdhsa_system_sgpr_private_segment_wavefront_offset 0
		.amdhsa_system_sgpr_workgroup_id_x 1
		.amdhsa_system_sgpr_workgroup_id_y 0
		.amdhsa_system_sgpr_workgroup_id_z 0
		.amdhsa_system_sgpr_workgroup_info 0
		.amdhsa_system_vgpr_workitem_id 0
		.amdhsa_next_free_vgpr 1
		.amdhsa_next_free_sgpr 0
		.amdhsa_accum_offset 4
		.amdhsa_reserve_vcc 0
		.amdhsa_reserve_flat_scratch 0
		.amdhsa_float_round_mode_32 0
		.amdhsa_float_round_mode_16_64 0
		.amdhsa_float_denorm_mode_32 3
		.amdhsa_float_denorm_mode_16_64 3
		.amdhsa_dx10_clamp 1
		.amdhsa_ieee_mode 1
		.amdhsa_fp16_overflow 0
		.amdhsa_tg_split 0
		.amdhsa_exception_fp_ieee_invalid_op 0
		.amdhsa_exception_fp_denorm_src 0
		.amdhsa_exception_fp_ieee_div_zero 0
		.amdhsa_exception_fp_ieee_overflow 0
		.amdhsa_exception_fp_ieee_underflow 0
		.amdhsa_exception_fp_ieee_inexact 0
		.amdhsa_exception_int_div_zero 0
	.end_amdhsa_kernel
	.section	.text._ZN7rocprim17ROCPRIM_400000_NS6detail17trampoline_kernelINS0_14default_configENS1_21merge_config_selectorIyNS0_10empty_typeEEEZNS1_10merge_implIS3_N6thrust23THRUST_200600_302600_NS6detail15normal_iteratorINS9_10device_ptrIKyEEEESF_NSB_INSC_IyEEEEPS5_SI_SI_NS9_7greaterIyEEEE10hipError_tPvRmT0_T1_T2_T3_T4_T5_mmT6_P12ihipStream_tbEUlT_E0_NS1_11comp_targetILNS1_3genE5ELNS1_11target_archE942ELNS1_3gpuE9ELNS1_3repE0EEENS1_30default_config_static_selectorELNS0_4arch9wavefront6targetE1EEEvSP_,"axG",@progbits,_ZN7rocprim17ROCPRIM_400000_NS6detail17trampoline_kernelINS0_14default_configENS1_21merge_config_selectorIyNS0_10empty_typeEEEZNS1_10merge_implIS3_N6thrust23THRUST_200600_302600_NS6detail15normal_iteratorINS9_10device_ptrIKyEEEESF_NSB_INSC_IyEEEEPS5_SI_SI_NS9_7greaterIyEEEE10hipError_tPvRmT0_T1_T2_T3_T4_T5_mmT6_P12ihipStream_tbEUlT_E0_NS1_11comp_targetILNS1_3genE5ELNS1_11target_archE942ELNS1_3gpuE9ELNS1_3repE0EEENS1_30default_config_static_selectorELNS0_4arch9wavefront6targetE1EEEvSP_,comdat
.Lfunc_end507:
	.size	_ZN7rocprim17ROCPRIM_400000_NS6detail17trampoline_kernelINS0_14default_configENS1_21merge_config_selectorIyNS0_10empty_typeEEEZNS1_10merge_implIS3_N6thrust23THRUST_200600_302600_NS6detail15normal_iteratorINS9_10device_ptrIKyEEEESF_NSB_INSC_IyEEEEPS5_SI_SI_NS9_7greaterIyEEEE10hipError_tPvRmT0_T1_T2_T3_T4_T5_mmT6_P12ihipStream_tbEUlT_E0_NS1_11comp_targetILNS1_3genE5ELNS1_11target_archE942ELNS1_3gpuE9ELNS1_3repE0EEENS1_30default_config_static_selectorELNS0_4arch9wavefront6targetE1EEEvSP_, .Lfunc_end507-_ZN7rocprim17ROCPRIM_400000_NS6detail17trampoline_kernelINS0_14default_configENS1_21merge_config_selectorIyNS0_10empty_typeEEEZNS1_10merge_implIS3_N6thrust23THRUST_200600_302600_NS6detail15normal_iteratorINS9_10device_ptrIKyEEEESF_NSB_INSC_IyEEEEPS5_SI_SI_NS9_7greaterIyEEEE10hipError_tPvRmT0_T1_T2_T3_T4_T5_mmT6_P12ihipStream_tbEUlT_E0_NS1_11comp_targetILNS1_3genE5ELNS1_11target_archE942ELNS1_3gpuE9ELNS1_3repE0EEENS1_30default_config_static_selectorELNS0_4arch9wavefront6targetE1EEEvSP_
                                        ; -- End function
	.section	.AMDGPU.csdata,"",@progbits
; Kernel info:
; codeLenInByte = 0
; NumSgprs: 4
; NumVgprs: 0
; NumAgprs: 0
; TotalNumVgprs: 0
; ScratchSize: 0
; MemoryBound: 0
; FloatMode: 240
; IeeeMode: 1
; LDSByteSize: 0 bytes/workgroup (compile time only)
; SGPRBlocks: 0
; VGPRBlocks: 0
; NumSGPRsForWavesPerEU: 4
; NumVGPRsForWavesPerEU: 1
; AccumOffset: 4
; Occupancy: 8
; WaveLimiterHint : 0
; COMPUTE_PGM_RSRC2:SCRATCH_EN: 0
; COMPUTE_PGM_RSRC2:USER_SGPR: 6
; COMPUTE_PGM_RSRC2:TRAP_HANDLER: 0
; COMPUTE_PGM_RSRC2:TGID_X_EN: 1
; COMPUTE_PGM_RSRC2:TGID_Y_EN: 0
; COMPUTE_PGM_RSRC2:TGID_Z_EN: 0
; COMPUTE_PGM_RSRC2:TIDIG_COMP_CNT: 0
; COMPUTE_PGM_RSRC3_GFX90A:ACCUM_OFFSET: 0
; COMPUTE_PGM_RSRC3_GFX90A:TG_SPLIT: 0
	.section	.text._ZN7rocprim17ROCPRIM_400000_NS6detail17trampoline_kernelINS0_14default_configENS1_21merge_config_selectorIyNS0_10empty_typeEEEZNS1_10merge_implIS3_N6thrust23THRUST_200600_302600_NS6detail15normal_iteratorINS9_10device_ptrIKyEEEESF_NSB_INSC_IyEEEEPS5_SI_SI_NS9_7greaterIyEEEE10hipError_tPvRmT0_T1_T2_T3_T4_T5_mmT6_P12ihipStream_tbEUlT_E0_NS1_11comp_targetILNS1_3genE4ELNS1_11target_archE910ELNS1_3gpuE8ELNS1_3repE0EEENS1_30default_config_static_selectorELNS0_4arch9wavefront6targetE1EEEvSP_,"axG",@progbits,_ZN7rocprim17ROCPRIM_400000_NS6detail17trampoline_kernelINS0_14default_configENS1_21merge_config_selectorIyNS0_10empty_typeEEEZNS1_10merge_implIS3_N6thrust23THRUST_200600_302600_NS6detail15normal_iteratorINS9_10device_ptrIKyEEEESF_NSB_INSC_IyEEEEPS5_SI_SI_NS9_7greaterIyEEEE10hipError_tPvRmT0_T1_T2_T3_T4_T5_mmT6_P12ihipStream_tbEUlT_E0_NS1_11comp_targetILNS1_3genE4ELNS1_11target_archE910ELNS1_3gpuE8ELNS1_3repE0EEENS1_30default_config_static_selectorELNS0_4arch9wavefront6targetE1EEEvSP_,comdat
	.protected	_ZN7rocprim17ROCPRIM_400000_NS6detail17trampoline_kernelINS0_14default_configENS1_21merge_config_selectorIyNS0_10empty_typeEEEZNS1_10merge_implIS3_N6thrust23THRUST_200600_302600_NS6detail15normal_iteratorINS9_10device_ptrIKyEEEESF_NSB_INSC_IyEEEEPS5_SI_SI_NS9_7greaterIyEEEE10hipError_tPvRmT0_T1_T2_T3_T4_T5_mmT6_P12ihipStream_tbEUlT_E0_NS1_11comp_targetILNS1_3genE4ELNS1_11target_archE910ELNS1_3gpuE8ELNS1_3repE0EEENS1_30default_config_static_selectorELNS0_4arch9wavefront6targetE1EEEvSP_ ; -- Begin function _ZN7rocprim17ROCPRIM_400000_NS6detail17trampoline_kernelINS0_14default_configENS1_21merge_config_selectorIyNS0_10empty_typeEEEZNS1_10merge_implIS3_N6thrust23THRUST_200600_302600_NS6detail15normal_iteratorINS9_10device_ptrIKyEEEESF_NSB_INSC_IyEEEEPS5_SI_SI_NS9_7greaterIyEEEE10hipError_tPvRmT0_T1_T2_T3_T4_T5_mmT6_P12ihipStream_tbEUlT_E0_NS1_11comp_targetILNS1_3genE4ELNS1_11target_archE910ELNS1_3gpuE8ELNS1_3repE0EEENS1_30default_config_static_selectorELNS0_4arch9wavefront6targetE1EEEvSP_
	.globl	_ZN7rocprim17ROCPRIM_400000_NS6detail17trampoline_kernelINS0_14default_configENS1_21merge_config_selectorIyNS0_10empty_typeEEEZNS1_10merge_implIS3_N6thrust23THRUST_200600_302600_NS6detail15normal_iteratorINS9_10device_ptrIKyEEEESF_NSB_INSC_IyEEEEPS5_SI_SI_NS9_7greaterIyEEEE10hipError_tPvRmT0_T1_T2_T3_T4_T5_mmT6_P12ihipStream_tbEUlT_E0_NS1_11comp_targetILNS1_3genE4ELNS1_11target_archE910ELNS1_3gpuE8ELNS1_3repE0EEENS1_30default_config_static_selectorELNS0_4arch9wavefront6targetE1EEEvSP_
	.p2align	8
	.type	_ZN7rocprim17ROCPRIM_400000_NS6detail17trampoline_kernelINS0_14default_configENS1_21merge_config_selectorIyNS0_10empty_typeEEEZNS1_10merge_implIS3_N6thrust23THRUST_200600_302600_NS6detail15normal_iteratorINS9_10device_ptrIKyEEEESF_NSB_INSC_IyEEEEPS5_SI_SI_NS9_7greaterIyEEEE10hipError_tPvRmT0_T1_T2_T3_T4_T5_mmT6_P12ihipStream_tbEUlT_E0_NS1_11comp_targetILNS1_3genE4ELNS1_11target_archE910ELNS1_3gpuE8ELNS1_3repE0EEENS1_30default_config_static_selectorELNS0_4arch9wavefront6targetE1EEEvSP_,@function
_ZN7rocprim17ROCPRIM_400000_NS6detail17trampoline_kernelINS0_14default_configENS1_21merge_config_selectorIyNS0_10empty_typeEEEZNS1_10merge_implIS3_N6thrust23THRUST_200600_302600_NS6detail15normal_iteratorINS9_10device_ptrIKyEEEESF_NSB_INSC_IyEEEEPS5_SI_SI_NS9_7greaterIyEEEE10hipError_tPvRmT0_T1_T2_T3_T4_T5_mmT6_P12ihipStream_tbEUlT_E0_NS1_11comp_targetILNS1_3genE4ELNS1_11target_archE910ELNS1_3gpuE8ELNS1_3repE0EEENS1_30default_config_static_selectorELNS0_4arch9wavefront6targetE1EEEvSP_: ; @_ZN7rocprim17ROCPRIM_400000_NS6detail17trampoline_kernelINS0_14default_configENS1_21merge_config_selectorIyNS0_10empty_typeEEEZNS1_10merge_implIS3_N6thrust23THRUST_200600_302600_NS6detail15normal_iteratorINS9_10device_ptrIKyEEEESF_NSB_INSC_IyEEEEPS5_SI_SI_NS9_7greaterIyEEEE10hipError_tPvRmT0_T1_T2_T3_T4_T5_mmT6_P12ihipStream_tbEUlT_E0_NS1_11comp_targetILNS1_3genE4ELNS1_11target_archE910ELNS1_3gpuE8ELNS1_3repE0EEENS1_30default_config_static_selectorELNS0_4arch9wavefront6targetE1EEEvSP_
; %bb.0:
	s_load_dwordx4 s[0:3], s[4:5], 0x40
	s_load_dwordx8 s[8:15], s[4:5], 0x8
	s_lshl_b32 s16, s6, 10
	s_mov_b32 s7, 0
	s_waitcnt lgkmcnt(0)
	s_mov_b32 s3, s7
	s_add_i32 s17, s2, s0
	s_add_i32 s0, s17, 0x3ff
	s_lshr_b32 s0, s0, 10
	s_min_u32 s1, s6, s0
	s_lshl_b32 s1, s1, 2
	s_add_i32 s6, s6, 1
	s_min_u32 s0, s6, s0
	s_load_dword s6, s[8:9], s1 offset:0x0
	s_lshl_b32 s0, s0, 2
	s_load_dword s8, s[8:9], s0 offset:0x0
	s_add_i32 s0, s16, 0x400
	s_min_u32 s9, s17, s0
	s_waitcnt lgkmcnt(0)
	s_sub_i32 s2, s16, s6
	s_lshl_b64 s[0:1], s[6:7], 3
	s_add_u32 s0, s10, s0
	s_addc_u32 s1, s11, s1
	s_lshl_b64 s[4:5], s[2:3], 3
	s_add_u32 s11, s12, s4
	s_addc_u32 s12, s13, s5
	s_add_i32 s2, s2, s8
	s_sub_i32 s6, s8, s6
	s_sub_i32 s10, s9, s2
	s_add_u32 s2, s10, s6
	s_addc_u32 s3, 0, 0
	v_mov_b32_e32 v1, 0
	v_cmp_le_u32_e32 vcc, s6, v0
	s_and_saveexec_b64 s[4:5], vcc
	s_xor_b64 s[4:5], exec, s[4:5]
	s_cbranch_execz .LBB508_4
; %bb.1:
	v_cmp_gt_u64_e32 vcc, s[2:3], v[0:1]
	s_and_saveexec_b64 s[8:9], vcc
	s_cbranch_execz .LBB508_3
; %bb.2:
	v_mov_b32_e32 v1, s7
	v_subrev_co_u32_e32 v2, vcc, s6, v0
	v_subb_co_u32_e32 v3, vcc, 0, v1, vcc
	v_lshlrev_b64 v[2:3], 3, v[2:3]
	v_mov_b32_e32 v1, s12
	v_add_co_u32_e32 v2, vcc, s11, v2
	v_addc_co_u32_e32 v3, vcc, v1, v3, vcc
	global_load_dwordx2 v[2:3], v[2:3], off
	v_lshlrev_b32_e32 v1, 3, v0
	s_waitcnt vmcnt(0)
	ds_write_b64 v1, v[2:3]
.LBB508_3:
	s_or_b64 exec, exec, s[8:9]
.LBB508_4:
	s_or_saveexec_b64 s[4:5], s[4:5]
	v_lshlrev_b32_e32 v1, 3, v0
	s_xor_b64 exec, exec, s[4:5]
	s_cbranch_execz .LBB508_6
; %bb.5:
	global_load_dwordx2 v[2:3], v1, s[0:1]
	s_waitcnt vmcnt(0)
	ds_write_b64 v1, v[2:3]
.LBB508_6:
	s_or_b64 exec, exec, s[4:5]
	v_or_b32_e32 v10, 0x100, v0
	v_mov_b32_e32 v11, 0
	v_cmp_le_u32_e32 vcc, s6, v10
	s_and_saveexec_b64 s[4:5], vcc
	s_xor_b64 s[4:5], exec, s[4:5]
	s_cbranch_execz .LBB508_10
; %bb.7:
	v_cmp_gt_u64_e32 vcc, s[2:3], v[10:11]
	s_and_saveexec_b64 s[8:9], vcc
	s_cbranch_execz .LBB508_9
; %bb.8:
	v_mov_b32_e32 v3, s7
	v_subrev_co_u32_e32 v2, vcc, s6, v0
	v_subb_co_u32_e32 v3, vcc, 0, v3, vcc
	v_lshlrev_b64 v[2:3], 3, v[2:3]
	v_mov_b32_e32 v4, s12
	v_add_co_u32_e32 v2, vcc, s11, v2
	v_addc_co_u32_e32 v3, vcc, v4, v3, vcc
	global_load_dwordx2 v[2:3], v[2:3], off offset:2048
	s_waitcnt vmcnt(0)
	ds_write_b64 v1, v[2:3] offset:2048
.LBB508_9:
	s_or_b64 exec, exec, s[8:9]
.LBB508_10:
	s_andn2_saveexec_b64 s[4:5], s[4:5]
	s_cbranch_execz .LBB508_12
; %bb.11:
	global_load_dwordx2 v[2:3], v1, s[0:1] offset:2048
	s_waitcnt vmcnt(0)
	ds_write_b64 v1, v[2:3] offset:2048
.LBB508_12:
	s_or_b64 exec, exec, s[4:5]
	v_or_b32_e32 v12, 0x200, v0
	v_mov_b32_e32 v13, 0
	v_cmp_le_u32_e32 vcc, s6, v12
	s_and_saveexec_b64 s[4:5], vcc
	s_xor_b64 s[4:5], exec, s[4:5]
	s_cbranch_execz .LBB508_16
; %bb.13:
	v_cmp_gt_u64_e32 vcc, s[2:3], v[12:13]
	s_and_saveexec_b64 s[8:9], vcc
	s_cbranch_execz .LBB508_15
; %bb.14:
	v_mov_b32_e32 v3, s7
	v_subrev_co_u32_e32 v2, vcc, s6, v12
	v_subb_co_u32_e32 v3, vcc, 0, v3, vcc
	v_lshlrev_b64 v[2:3], 3, v[2:3]
	v_mov_b32_e32 v4, s12
	v_add_co_u32_e32 v2, vcc, s11, v2
	v_addc_co_u32_e32 v3, vcc, v4, v3, vcc
	global_load_dwordx2 v[2:3], v[2:3], off
	s_waitcnt vmcnt(0)
	ds_write_b64 v1, v[2:3] offset:4096
.LBB508_15:
	s_or_b64 exec, exec, s[8:9]
.LBB508_16:
	s_andn2_saveexec_b64 s[4:5], s[4:5]
	s_cbranch_execz .LBB508_18
; %bb.17:
	v_lshlrev_b32_e32 v2, 3, v12
	global_load_dwordx2 v[2:3], v2, s[0:1]
	s_waitcnt vmcnt(0)
	ds_write_b64 v1, v[2:3] offset:4096
.LBB508_18:
	s_or_b64 exec, exec, s[4:5]
	v_or_b32_e32 v14, 0x300, v0
	v_mov_b32_e32 v15, 0
	v_cmp_le_u32_e32 vcc, s6, v14
	s_and_saveexec_b64 s[4:5], vcc
	s_xor_b64 s[4:5], exec, s[4:5]
	s_cbranch_execz .LBB508_22
; %bb.19:
	v_cmp_gt_u64_e32 vcc, s[2:3], v[14:15]
	s_and_saveexec_b64 s[2:3], vcc
	s_cbranch_execz .LBB508_21
; %bb.20:
	v_mov_b32_e32 v3, s7
	v_subrev_co_u32_e32 v2, vcc, s6, v14
	v_subb_co_u32_e32 v3, vcc, 0, v3, vcc
	v_lshlrev_b64 v[2:3], 3, v[2:3]
	v_mov_b32_e32 v4, s12
	v_add_co_u32_e32 v2, vcc, s11, v2
	v_addc_co_u32_e32 v3, vcc, v4, v3, vcc
	global_load_dwordx2 v[2:3], v[2:3], off
	s_waitcnt vmcnt(0)
	ds_write_b64 v1, v[2:3] offset:6144
.LBB508_21:
	s_or_b64 exec, exec, s[2:3]
.LBB508_22:
	s_andn2_saveexec_b64 s[2:3], s[4:5]
	s_cbranch_execz .LBB508_24
; %bb.23:
	v_lshlrev_b32_e32 v2, 3, v14
	global_load_dwordx2 v[2:3], v2, s[0:1]
	s_waitcnt vmcnt(0)
	ds_write_b64 v1, v[2:3] offset:6144
.LBB508_24:
	s_or_b64 exec, exec, s[2:3]
	v_lshlrev_b32_e32 v11, 2, v0
	v_sub_u32_e64 v13, v11, s10 clamp
	v_min_u32_e32 v2, s6, v11
	v_cmp_lt_u32_e32 vcc, v13, v2
	s_waitcnt lgkmcnt(0)
	s_barrier
	s_and_saveexec_b64 s[0:1], vcc
	s_cbranch_execz .LBB508_28
; %bb.25:
	v_lshlrev_b32_e32 v3, 3, v11
	v_lshl_add_u32 v3, s6, 3, v3
	s_mov_b64 s[2:3], 0
.LBB508_26:                             ; =>This Inner Loop Header: Depth=1
	v_add_u32_e32 v4, v2, v13
	v_lshrrev_b32_e32 v8, 1, v4
	v_not_b32_e32 v4, v8
	v_lshlrev_b32_e32 v5, 3, v8
	v_lshl_add_u32 v6, v4, 3, v3
	ds_read_b64 v[4:5], v5
	ds_read_b64 v[6:7], v6
	v_add_u32_e32 v9, 1, v8
	s_waitcnt lgkmcnt(0)
	v_cmp_gt_u64_e32 vcc, v[6:7], v[4:5]
	v_cndmask_b32_e32 v2, v2, v8, vcc
	v_cndmask_b32_e32 v13, v9, v13, vcc
	v_cmp_ge_u32_e32 vcc, v13, v2
	s_or_b64 s[2:3], vcc, s[2:3]
	s_andn2_b64 exec, exec, s[2:3]
	s_cbranch_execnz .LBB508_26
; %bb.27:
	s_or_b64 exec, exec, s[2:3]
.LBB508_28:
	s_or_b64 exec, exec, s[0:1]
	v_add_u32_e32 v2, s6, v11
	s_add_i32 s7, s10, s6
	v_sub_u32_e32 v15, v2, v13
	v_cmp_ge_u32_e32 vcc, s6, v13
	v_cmp_ge_u32_e64 s[0:1], s7, v15
	s_or_b64 s[0:1], vcc, s[0:1]
                                        ; implicit-def: $vgpr18_vgpr19
                                        ; implicit-def: $vgpr16_vgpr17
	s_and_saveexec_b64 s[8:9], s[0:1]
                                        ; implicit-def: $vgpr6_vgpr7_vgpr8_vgpr9
                                        ; implicit-def: $vgpr2_vgpr3_vgpr4_vgpr5
	s_cbranch_execz .LBB508_34
; %bb.29:
	v_cmp_gt_u32_e32 vcc, s6, v13
                                        ; implicit-def: $vgpr2_vgpr3
	s_and_saveexec_b64 s[0:1], vcc
	s_cbranch_execz .LBB508_31
; %bb.30:
	v_lshlrev_b32_e32 v2, 3, v13
	ds_read_b64 v[2:3], v2
.LBB508_31:
	s_or_b64 exec, exec, s[0:1]
	v_cmp_le_u32_e64 s[0:1], s7, v15
	v_cmp_gt_u32_e64 s[2:3], s7, v15
                                        ; implicit-def: $vgpr4_vgpr5
	s_and_saveexec_b64 s[4:5], s[2:3]
	s_cbranch_execz .LBB508_33
; %bb.32:
	v_lshlrev_b32_e32 v4, 3, v15
	ds_read_b64 v[4:5], v4
.LBB508_33:
	s_or_b64 exec, exec, s[4:5]
	s_waitcnt lgkmcnt(0)
	v_cmp_le_u64_e64 s[2:3], v[4:5], v[2:3]
	s_and_b64 s[2:3], vcc, s[2:3]
	s_or_b64 vcc, s[0:1], s[2:3]
	v_mov_b32_e32 v20, s7
	v_mov_b32_e32 v21, s6
	v_cndmask_b32_e32 v6, v15, v13, vcc
	v_cndmask_b32_e32 v7, v20, v21, vcc
	v_add_u32_e32 v16, 1, v6
	v_add_u32_e32 v6, -1, v7
	v_min_u32_e32 v6, v16, v6
	v_lshlrev_b32_e32 v6, 3, v6
	ds_read_b64 v[6:7], v6
	v_cndmask_b32_e32 v13, v13, v16, vcc
	v_cndmask_b32_e32 v15, v16, v15, vcc
	v_cmp_gt_u32_e64 s[2:3], s6, v13
	v_cmp_le_u32_e64 s[0:1], s7, v15
	s_waitcnt lgkmcnt(0)
	v_cndmask_b32_e32 v9, v7, v5, vcc
	v_cndmask_b32_e32 v8, v6, v4, vcc
	;; [unrolled: 1-line block ×4, first 2 shown]
	v_cmp_le_u64_e64 s[4:5], v[8:9], v[6:7]
	s_and_b64 s[2:3], s[2:3], s[4:5]
	s_or_b64 s[0:1], s[0:1], s[2:3]
	v_cndmask_b32_e64 v16, v15, v13, s[0:1]
	v_cndmask_b32_e64 v17, v20, v21, s[0:1]
	v_add_u32_e32 v22, 1, v16
	v_add_u32_e32 v16, -1, v17
	v_min_u32_e32 v16, v22, v16
	v_lshlrev_b32_e32 v16, 3, v16
	ds_read_b64 v[16:17], v16
	v_cndmask_b32_e32 v3, v5, v3, vcc
	v_cndmask_b32_e32 v2, v4, v2, vcc
	v_cndmask_b32_e64 v13, v13, v22, s[0:1]
	v_cndmask_b32_e64 v15, v22, v15, s[0:1]
	s_waitcnt lgkmcnt(0)
	v_cndmask_b32_e64 v5, v17, v9, s[0:1]
	v_cndmask_b32_e64 v4, v16, v8, s[0:1]
	;; [unrolled: 1-line block ×4, first 2 shown]
	v_cmp_gt_u32_e64 s[2:3], s6, v13
	v_cmp_le_u64_e64 s[4:5], v[4:5], v[18:19]
	v_cmp_le_u32_e32 vcc, s7, v15
	s_and_b64 s[2:3], s[2:3], s[4:5]
	s_or_b64 vcc, vcc, s[2:3]
	v_cndmask_b32_e32 v16, v15, v13, vcc
	v_cndmask_b32_e32 v17, v20, v21, vcc
	v_add_u32_e32 v22, 1, v16
	v_add_u32_e32 v16, -1, v17
	v_min_u32_e32 v16, v22, v16
	v_lshlrev_b32_e32 v16, 3, v16
	ds_read_b64 v[20:21], v16
	v_cndmask_b32_e64 v17, v9, v7, s[0:1]
	v_cndmask_b32_e64 v16, v8, v6, s[0:1]
	v_cndmask_b32_e32 v7, v5, v19, vcc
	v_cndmask_b32_e32 v6, v4, v18, vcc
	s_waitcnt lgkmcnt(0)
	v_cndmask_b32_e32 v5, v21, v5, vcc
	v_cndmask_b32_e32 v4, v20, v4, vcc
	;; [unrolled: 1-line block ×6, first 2 shown]
	v_cmp_gt_u32_e64 s[0:1], s6, v13
	v_cmp_le_u64_e64 s[2:3], v[4:5], v[8:9]
	v_cmp_le_u32_e32 vcc, s7, v15
	s_and_b64 s[0:1], s[0:1], s[2:3]
	s_or_b64 vcc, vcc, s[0:1]
	v_cndmask_b32_e32 v19, v5, v9, vcc
	v_cndmask_b32_e32 v18, v4, v8, vcc
.LBB508_34:
	s_or_b64 exec, exec, s[8:9]
	s_sub_i32 s6, s17, s16
	s_mov_b32 s17, 0
	s_lshl_b64 s[0:1], s[16:17], 3
	s_add_u32 s0, s14, s0
	v_and_b32_e32 v4, 0xf8, v0
	s_addc_u32 s1, s15, s1
	v_lshl_add_u32 v4, v11, 3, v4
	s_cmpk_gt_u32 s6, 0x3ff
	s_barrier
	ds_write2_b64 v4, v[2:3], v[16:17] offset1:1
	ds_write2_b64 v4, v[6:7], v[18:19] offset0:2 offset1:3
	v_lshrrev_b32_e32 v6, 5, v10
	v_lshrrev_b32_e32 v5, 5, v12
	;; [unrolled: 1-line block ×3, first 2 shown]
	s_waitcnt lgkmcnt(0)
	s_cbranch_scc0 .LBB508_36
; %bb.35:
	v_lshrrev_b32_e32 v2, 5, v0
	v_add_lshl_u32 v2, v2, v0, 3
	v_add_lshl_u32 v3, v6, v0, 3
	s_barrier
	v_add_lshl_u32 v7, v5, v0, 3
	v_add_lshl_u32 v11, v4, v0, 3
	ds_read_b64 v[8:9], v2
	ds_read_b64 v[16:17], v3 offset:2048
	ds_read_b64 v[18:19], v7 offset:4096
	;; [unrolled: 1-line block ×3, first 2 shown]
	v_mov_b32_e32 v7, s1
	v_add_co_u32_e32 v11, vcc, s0, v1
	v_addc_co_u32_e32 v7, vcc, 0, v7, vcc
	s_waitcnt lgkmcnt(3)
	global_store_dwordx2 v1, v[8:9], s[0:1]
	s_waitcnt lgkmcnt(2)
	global_store_dwordx2 v1, v[16:17], s[0:1] offset:2048
	v_add_co_u32_e32 v8, vcc, 0x1000, v11
	v_addc_co_u32_e32 v9, vcc, 0, v7, vcc
	s_waitcnt lgkmcnt(1)
	global_store_dwordx2 v[8:9], v[18:19], off
	s_mov_b64 s[2:3], -1
	s_cbranch_execz .LBB508_37
	s_branch .LBB508_42
.LBB508_36:
	s_mov_b64 s[2:3], 0
                                        ; implicit-def: $vgpr2_vgpr3
.LBB508_37:
	s_waitcnt lgkmcnt(0)
	v_add_lshl_u32 v2, v6, v0, 3
	v_add_lshl_u32 v3, v5, v0, 3
	s_barrier
	v_add_lshl_u32 v6, v4, v0, 3
	ds_read_b64 v[8:9], v2 offset:2048
	ds_read_b64 v[4:5], v3 offset:4096
	;; [unrolled: 1-line block ×3, first 2 shown]
	v_mov_b32_e32 v7, s1
	v_add_co_u32_e32 v6, vcc, s0, v1
	v_addc_co_u32_e32 v7, vcc, 0, v7, vcc
	v_cmp_gt_u32_e32 vcc, s6, v0
	s_and_saveexec_b64 s[2:3], vcc
	s_cbranch_execnz .LBB508_45
; %bb.38:
	s_or_b64 exec, exec, s[2:3]
	v_cmp_gt_u32_e32 vcc, s6, v10
	s_and_saveexec_b64 s[2:3], vcc
	s_cbranch_execnz .LBB508_46
.LBB508_39:
	s_or_b64 exec, exec, s[2:3]
	v_cmp_gt_u32_e32 vcc, s6, v12
	s_and_saveexec_b64 s[2:3], vcc
	s_cbranch_execz .LBB508_41
.LBB508_40:
	v_add_co_u32_e32 v6, vcc, 0x1000, v6
	v_addc_co_u32_e32 v7, vcc, 0, v7, vcc
	s_waitcnt lgkmcnt(1)
	global_store_dwordx2 v[6:7], v[4:5], off
.LBB508_41:
	s_or_b64 exec, exec, s[2:3]
	v_cmp_gt_u32_e64 s[2:3], s6, v14
.LBB508_42:
	s_and_saveexec_b64 s[4:5], s[2:3]
	s_cbranch_execnz .LBB508_44
; %bb.43:
	s_endpgm
.LBB508_44:
	v_mov_b32_e32 v0, s1
	v_add_co_u32_e32 v1, vcc, s0, v1
	s_waitcnt lgkmcnt(1)
	v_addc_co_u32_e32 v4, vcc, 0, v0, vcc
	v_add_co_u32_e32 v0, vcc, 0x1000, v1
	v_addc_co_u32_e32 v1, vcc, 0, v4, vcc
	s_waitcnt lgkmcnt(0)
	global_store_dwordx2 v[0:1], v[2:3], off offset:2048
	s_endpgm
.LBB508_45:
	v_lshrrev_b32_e32 v11, 5, v0
	v_add_lshl_u32 v0, v11, v0, 3
	ds_read_b64 v[16:17], v0
	s_waitcnt lgkmcnt(0)
	global_store_dwordx2 v[6:7], v[16:17], off
	s_or_b64 exec, exec, s[2:3]
	v_cmp_gt_u32_e32 vcc, s6, v10
	s_and_saveexec_b64 s[2:3], vcc
	s_cbranch_execz .LBB508_39
.LBB508_46:
	s_waitcnt lgkmcnt(2)
	global_store_dwordx2 v[6:7], v[8:9], off offset:2048
	s_or_b64 exec, exec, s[2:3]
	v_cmp_gt_u32_e32 vcc, s6, v12
	s_and_saveexec_b64 s[2:3], vcc
	s_cbranch_execnz .LBB508_40
	s_branch .LBB508_41
	.section	.rodata,"a",@progbits
	.p2align	6, 0x0
	.amdhsa_kernel _ZN7rocprim17ROCPRIM_400000_NS6detail17trampoline_kernelINS0_14default_configENS1_21merge_config_selectorIyNS0_10empty_typeEEEZNS1_10merge_implIS3_N6thrust23THRUST_200600_302600_NS6detail15normal_iteratorINS9_10device_ptrIKyEEEESF_NSB_INSC_IyEEEEPS5_SI_SI_NS9_7greaterIyEEEE10hipError_tPvRmT0_T1_T2_T3_T4_T5_mmT6_P12ihipStream_tbEUlT_E0_NS1_11comp_targetILNS1_3genE4ELNS1_11target_archE910ELNS1_3gpuE8ELNS1_3repE0EEENS1_30default_config_static_selectorELNS0_4arch9wavefront6targetE1EEEvSP_
		.amdhsa_group_segment_fixed_size 8448
		.amdhsa_private_segment_fixed_size 0
		.amdhsa_kernarg_size 88
		.amdhsa_user_sgpr_count 6
		.amdhsa_user_sgpr_private_segment_buffer 1
		.amdhsa_user_sgpr_dispatch_ptr 0
		.amdhsa_user_sgpr_queue_ptr 0
		.amdhsa_user_sgpr_kernarg_segment_ptr 1
		.amdhsa_user_sgpr_dispatch_id 0
		.amdhsa_user_sgpr_flat_scratch_init 0
		.amdhsa_user_sgpr_kernarg_preload_length 0
		.amdhsa_user_sgpr_kernarg_preload_offset 0
		.amdhsa_user_sgpr_private_segment_size 0
		.amdhsa_uses_dynamic_stack 0
		.amdhsa_system_sgpr_private_segment_wavefront_offset 0
		.amdhsa_system_sgpr_workgroup_id_x 1
		.amdhsa_system_sgpr_workgroup_id_y 0
		.amdhsa_system_sgpr_workgroup_id_z 0
		.amdhsa_system_sgpr_workgroup_info 0
		.amdhsa_system_vgpr_workitem_id 0
		.amdhsa_next_free_vgpr 23
		.amdhsa_next_free_sgpr 18
		.amdhsa_accum_offset 24
		.amdhsa_reserve_vcc 1
		.amdhsa_reserve_flat_scratch 0
		.amdhsa_float_round_mode_32 0
		.amdhsa_float_round_mode_16_64 0
		.amdhsa_float_denorm_mode_32 3
		.amdhsa_float_denorm_mode_16_64 3
		.amdhsa_dx10_clamp 1
		.amdhsa_ieee_mode 1
		.amdhsa_fp16_overflow 0
		.amdhsa_tg_split 0
		.amdhsa_exception_fp_ieee_invalid_op 0
		.amdhsa_exception_fp_denorm_src 0
		.amdhsa_exception_fp_ieee_div_zero 0
		.amdhsa_exception_fp_ieee_overflow 0
		.amdhsa_exception_fp_ieee_underflow 0
		.amdhsa_exception_fp_ieee_inexact 0
		.amdhsa_exception_int_div_zero 0
	.end_amdhsa_kernel
	.section	.text._ZN7rocprim17ROCPRIM_400000_NS6detail17trampoline_kernelINS0_14default_configENS1_21merge_config_selectorIyNS0_10empty_typeEEEZNS1_10merge_implIS3_N6thrust23THRUST_200600_302600_NS6detail15normal_iteratorINS9_10device_ptrIKyEEEESF_NSB_INSC_IyEEEEPS5_SI_SI_NS9_7greaterIyEEEE10hipError_tPvRmT0_T1_T2_T3_T4_T5_mmT6_P12ihipStream_tbEUlT_E0_NS1_11comp_targetILNS1_3genE4ELNS1_11target_archE910ELNS1_3gpuE8ELNS1_3repE0EEENS1_30default_config_static_selectorELNS0_4arch9wavefront6targetE1EEEvSP_,"axG",@progbits,_ZN7rocprim17ROCPRIM_400000_NS6detail17trampoline_kernelINS0_14default_configENS1_21merge_config_selectorIyNS0_10empty_typeEEEZNS1_10merge_implIS3_N6thrust23THRUST_200600_302600_NS6detail15normal_iteratorINS9_10device_ptrIKyEEEESF_NSB_INSC_IyEEEEPS5_SI_SI_NS9_7greaterIyEEEE10hipError_tPvRmT0_T1_T2_T3_T4_T5_mmT6_P12ihipStream_tbEUlT_E0_NS1_11comp_targetILNS1_3genE4ELNS1_11target_archE910ELNS1_3gpuE8ELNS1_3repE0EEENS1_30default_config_static_selectorELNS0_4arch9wavefront6targetE1EEEvSP_,comdat
.Lfunc_end508:
	.size	_ZN7rocprim17ROCPRIM_400000_NS6detail17trampoline_kernelINS0_14default_configENS1_21merge_config_selectorIyNS0_10empty_typeEEEZNS1_10merge_implIS3_N6thrust23THRUST_200600_302600_NS6detail15normal_iteratorINS9_10device_ptrIKyEEEESF_NSB_INSC_IyEEEEPS5_SI_SI_NS9_7greaterIyEEEE10hipError_tPvRmT0_T1_T2_T3_T4_T5_mmT6_P12ihipStream_tbEUlT_E0_NS1_11comp_targetILNS1_3genE4ELNS1_11target_archE910ELNS1_3gpuE8ELNS1_3repE0EEENS1_30default_config_static_selectorELNS0_4arch9wavefront6targetE1EEEvSP_, .Lfunc_end508-_ZN7rocprim17ROCPRIM_400000_NS6detail17trampoline_kernelINS0_14default_configENS1_21merge_config_selectorIyNS0_10empty_typeEEEZNS1_10merge_implIS3_N6thrust23THRUST_200600_302600_NS6detail15normal_iteratorINS9_10device_ptrIKyEEEESF_NSB_INSC_IyEEEEPS5_SI_SI_NS9_7greaterIyEEEE10hipError_tPvRmT0_T1_T2_T3_T4_T5_mmT6_P12ihipStream_tbEUlT_E0_NS1_11comp_targetILNS1_3genE4ELNS1_11target_archE910ELNS1_3gpuE8ELNS1_3repE0EEENS1_30default_config_static_selectorELNS0_4arch9wavefront6targetE1EEEvSP_
                                        ; -- End function
	.section	.AMDGPU.csdata,"",@progbits
; Kernel info:
; codeLenInByte = 1796
; NumSgprs: 22
; NumVgprs: 23
; NumAgprs: 0
; TotalNumVgprs: 23
; ScratchSize: 0
; MemoryBound: 0
; FloatMode: 240
; IeeeMode: 1
; LDSByteSize: 8448 bytes/workgroup (compile time only)
; SGPRBlocks: 2
; VGPRBlocks: 2
; NumSGPRsForWavesPerEU: 22
; NumVGPRsForWavesPerEU: 23
; AccumOffset: 24
; Occupancy: 7
; WaveLimiterHint : 1
; COMPUTE_PGM_RSRC2:SCRATCH_EN: 0
; COMPUTE_PGM_RSRC2:USER_SGPR: 6
; COMPUTE_PGM_RSRC2:TRAP_HANDLER: 0
; COMPUTE_PGM_RSRC2:TGID_X_EN: 1
; COMPUTE_PGM_RSRC2:TGID_Y_EN: 0
; COMPUTE_PGM_RSRC2:TGID_Z_EN: 0
; COMPUTE_PGM_RSRC2:TIDIG_COMP_CNT: 0
; COMPUTE_PGM_RSRC3_GFX90A:ACCUM_OFFSET: 5
; COMPUTE_PGM_RSRC3_GFX90A:TG_SPLIT: 0
	.section	.text._ZN7rocprim17ROCPRIM_400000_NS6detail17trampoline_kernelINS0_14default_configENS1_21merge_config_selectorIyNS0_10empty_typeEEEZNS1_10merge_implIS3_N6thrust23THRUST_200600_302600_NS6detail15normal_iteratorINS9_10device_ptrIKyEEEESF_NSB_INSC_IyEEEEPS5_SI_SI_NS9_7greaterIyEEEE10hipError_tPvRmT0_T1_T2_T3_T4_T5_mmT6_P12ihipStream_tbEUlT_E0_NS1_11comp_targetILNS1_3genE3ELNS1_11target_archE908ELNS1_3gpuE7ELNS1_3repE0EEENS1_30default_config_static_selectorELNS0_4arch9wavefront6targetE1EEEvSP_,"axG",@progbits,_ZN7rocprim17ROCPRIM_400000_NS6detail17trampoline_kernelINS0_14default_configENS1_21merge_config_selectorIyNS0_10empty_typeEEEZNS1_10merge_implIS3_N6thrust23THRUST_200600_302600_NS6detail15normal_iteratorINS9_10device_ptrIKyEEEESF_NSB_INSC_IyEEEEPS5_SI_SI_NS9_7greaterIyEEEE10hipError_tPvRmT0_T1_T2_T3_T4_T5_mmT6_P12ihipStream_tbEUlT_E0_NS1_11comp_targetILNS1_3genE3ELNS1_11target_archE908ELNS1_3gpuE7ELNS1_3repE0EEENS1_30default_config_static_selectorELNS0_4arch9wavefront6targetE1EEEvSP_,comdat
	.protected	_ZN7rocprim17ROCPRIM_400000_NS6detail17trampoline_kernelINS0_14default_configENS1_21merge_config_selectorIyNS0_10empty_typeEEEZNS1_10merge_implIS3_N6thrust23THRUST_200600_302600_NS6detail15normal_iteratorINS9_10device_ptrIKyEEEESF_NSB_INSC_IyEEEEPS5_SI_SI_NS9_7greaterIyEEEE10hipError_tPvRmT0_T1_T2_T3_T4_T5_mmT6_P12ihipStream_tbEUlT_E0_NS1_11comp_targetILNS1_3genE3ELNS1_11target_archE908ELNS1_3gpuE7ELNS1_3repE0EEENS1_30default_config_static_selectorELNS0_4arch9wavefront6targetE1EEEvSP_ ; -- Begin function _ZN7rocprim17ROCPRIM_400000_NS6detail17trampoline_kernelINS0_14default_configENS1_21merge_config_selectorIyNS0_10empty_typeEEEZNS1_10merge_implIS3_N6thrust23THRUST_200600_302600_NS6detail15normal_iteratorINS9_10device_ptrIKyEEEESF_NSB_INSC_IyEEEEPS5_SI_SI_NS9_7greaterIyEEEE10hipError_tPvRmT0_T1_T2_T3_T4_T5_mmT6_P12ihipStream_tbEUlT_E0_NS1_11comp_targetILNS1_3genE3ELNS1_11target_archE908ELNS1_3gpuE7ELNS1_3repE0EEENS1_30default_config_static_selectorELNS0_4arch9wavefront6targetE1EEEvSP_
	.globl	_ZN7rocprim17ROCPRIM_400000_NS6detail17trampoline_kernelINS0_14default_configENS1_21merge_config_selectorIyNS0_10empty_typeEEEZNS1_10merge_implIS3_N6thrust23THRUST_200600_302600_NS6detail15normal_iteratorINS9_10device_ptrIKyEEEESF_NSB_INSC_IyEEEEPS5_SI_SI_NS9_7greaterIyEEEE10hipError_tPvRmT0_T1_T2_T3_T4_T5_mmT6_P12ihipStream_tbEUlT_E0_NS1_11comp_targetILNS1_3genE3ELNS1_11target_archE908ELNS1_3gpuE7ELNS1_3repE0EEENS1_30default_config_static_selectorELNS0_4arch9wavefront6targetE1EEEvSP_
	.p2align	8
	.type	_ZN7rocprim17ROCPRIM_400000_NS6detail17trampoline_kernelINS0_14default_configENS1_21merge_config_selectorIyNS0_10empty_typeEEEZNS1_10merge_implIS3_N6thrust23THRUST_200600_302600_NS6detail15normal_iteratorINS9_10device_ptrIKyEEEESF_NSB_INSC_IyEEEEPS5_SI_SI_NS9_7greaterIyEEEE10hipError_tPvRmT0_T1_T2_T3_T4_T5_mmT6_P12ihipStream_tbEUlT_E0_NS1_11comp_targetILNS1_3genE3ELNS1_11target_archE908ELNS1_3gpuE7ELNS1_3repE0EEENS1_30default_config_static_selectorELNS0_4arch9wavefront6targetE1EEEvSP_,@function
_ZN7rocprim17ROCPRIM_400000_NS6detail17trampoline_kernelINS0_14default_configENS1_21merge_config_selectorIyNS0_10empty_typeEEEZNS1_10merge_implIS3_N6thrust23THRUST_200600_302600_NS6detail15normal_iteratorINS9_10device_ptrIKyEEEESF_NSB_INSC_IyEEEEPS5_SI_SI_NS9_7greaterIyEEEE10hipError_tPvRmT0_T1_T2_T3_T4_T5_mmT6_P12ihipStream_tbEUlT_E0_NS1_11comp_targetILNS1_3genE3ELNS1_11target_archE908ELNS1_3gpuE7ELNS1_3repE0EEENS1_30default_config_static_selectorELNS0_4arch9wavefront6targetE1EEEvSP_: ; @_ZN7rocprim17ROCPRIM_400000_NS6detail17trampoline_kernelINS0_14default_configENS1_21merge_config_selectorIyNS0_10empty_typeEEEZNS1_10merge_implIS3_N6thrust23THRUST_200600_302600_NS6detail15normal_iteratorINS9_10device_ptrIKyEEEESF_NSB_INSC_IyEEEEPS5_SI_SI_NS9_7greaterIyEEEE10hipError_tPvRmT0_T1_T2_T3_T4_T5_mmT6_P12ihipStream_tbEUlT_E0_NS1_11comp_targetILNS1_3genE3ELNS1_11target_archE908ELNS1_3gpuE7ELNS1_3repE0EEENS1_30default_config_static_selectorELNS0_4arch9wavefront6targetE1EEEvSP_
; %bb.0:
	.section	.rodata,"a",@progbits
	.p2align	6, 0x0
	.amdhsa_kernel _ZN7rocprim17ROCPRIM_400000_NS6detail17trampoline_kernelINS0_14default_configENS1_21merge_config_selectorIyNS0_10empty_typeEEEZNS1_10merge_implIS3_N6thrust23THRUST_200600_302600_NS6detail15normal_iteratorINS9_10device_ptrIKyEEEESF_NSB_INSC_IyEEEEPS5_SI_SI_NS9_7greaterIyEEEE10hipError_tPvRmT0_T1_T2_T3_T4_T5_mmT6_P12ihipStream_tbEUlT_E0_NS1_11comp_targetILNS1_3genE3ELNS1_11target_archE908ELNS1_3gpuE7ELNS1_3repE0EEENS1_30default_config_static_selectorELNS0_4arch9wavefront6targetE1EEEvSP_
		.amdhsa_group_segment_fixed_size 0
		.amdhsa_private_segment_fixed_size 0
		.amdhsa_kernarg_size 88
		.amdhsa_user_sgpr_count 6
		.amdhsa_user_sgpr_private_segment_buffer 1
		.amdhsa_user_sgpr_dispatch_ptr 0
		.amdhsa_user_sgpr_queue_ptr 0
		.amdhsa_user_sgpr_kernarg_segment_ptr 1
		.amdhsa_user_sgpr_dispatch_id 0
		.amdhsa_user_sgpr_flat_scratch_init 0
		.amdhsa_user_sgpr_kernarg_preload_length 0
		.amdhsa_user_sgpr_kernarg_preload_offset 0
		.amdhsa_user_sgpr_private_segment_size 0
		.amdhsa_uses_dynamic_stack 0
		.amdhsa_system_sgpr_private_segment_wavefront_offset 0
		.amdhsa_system_sgpr_workgroup_id_x 1
		.amdhsa_system_sgpr_workgroup_id_y 0
		.amdhsa_system_sgpr_workgroup_id_z 0
		.amdhsa_system_sgpr_workgroup_info 0
		.amdhsa_system_vgpr_workitem_id 0
		.amdhsa_next_free_vgpr 1
		.amdhsa_next_free_sgpr 0
		.amdhsa_accum_offset 4
		.amdhsa_reserve_vcc 0
		.amdhsa_reserve_flat_scratch 0
		.amdhsa_float_round_mode_32 0
		.amdhsa_float_round_mode_16_64 0
		.amdhsa_float_denorm_mode_32 3
		.amdhsa_float_denorm_mode_16_64 3
		.amdhsa_dx10_clamp 1
		.amdhsa_ieee_mode 1
		.amdhsa_fp16_overflow 0
		.amdhsa_tg_split 0
		.amdhsa_exception_fp_ieee_invalid_op 0
		.amdhsa_exception_fp_denorm_src 0
		.amdhsa_exception_fp_ieee_div_zero 0
		.amdhsa_exception_fp_ieee_overflow 0
		.amdhsa_exception_fp_ieee_underflow 0
		.amdhsa_exception_fp_ieee_inexact 0
		.amdhsa_exception_int_div_zero 0
	.end_amdhsa_kernel
	.section	.text._ZN7rocprim17ROCPRIM_400000_NS6detail17trampoline_kernelINS0_14default_configENS1_21merge_config_selectorIyNS0_10empty_typeEEEZNS1_10merge_implIS3_N6thrust23THRUST_200600_302600_NS6detail15normal_iteratorINS9_10device_ptrIKyEEEESF_NSB_INSC_IyEEEEPS5_SI_SI_NS9_7greaterIyEEEE10hipError_tPvRmT0_T1_T2_T3_T4_T5_mmT6_P12ihipStream_tbEUlT_E0_NS1_11comp_targetILNS1_3genE3ELNS1_11target_archE908ELNS1_3gpuE7ELNS1_3repE0EEENS1_30default_config_static_selectorELNS0_4arch9wavefront6targetE1EEEvSP_,"axG",@progbits,_ZN7rocprim17ROCPRIM_400000_NS6detail17trampoline_kernelINS0_14default_configENS1_21merge_config_selectorIyNS0_10empty_typeEEEZNS1_10merge_implIS3_N6thrust23THRUST_200600_302600_NS6detail15normal_iteratorINS9_10device_ptrIKyEEEESF_NSB_INSC_IyEEEEPS5_SI_SI_NS9_7greaterIyEEEE10hipError_tPvRmT0_T1_T2_T3_T4_T5_mmT6_P12ihipStream_tbEUlT_E0_NS1_11comp_targetILNS1_3genE3ELNS1_11target_archE908ELNS1_3gpuE7ELNS1_3repE0EEENS1_30default_config_static_selectorELNS0_4arch9wavefront6targetE1EEEvSP_,comdat
.Lfunc_end509:
	.size	_ZN7rocprim17ROCPRIM_400000_NS6detail17trampoline_kernelINS0_14default_configENS1_21merge_config_selectorIyNS0_10empty_typeEEEZNS1_10merge_implIS3_N6thrust23THRUST_200600_302600_NS6detail15normal_iteratorINS9_10device_ptrIKyEEEESF_NSB_INSC_IyEEEEPS5_SI_SI_NS9_7greaterIyEEEE10hipError_tPvRmT0_T1_T2_T3_T4_T5_mmT6_P12ihipStream_tbEUlT_E0_NS1_11comp_targetILNS1_3genE3ELNS1_11target_archE908ELNS1_3gpuE7ELNS1_3repE0EEENS1_30default_config_static_selectorELNS0_4arch9wavefront6targetE1EEEvSP_, .Lfunc_end509-_ZN7rocprim17ROCPRIM_400000_NS6detail17trampoline_kernelINS0_14default_configENS1_21merge_config_selectorIyNS0_10empty_typeEEEZNS1_10merge_implIS3_N6thrust23THRUST_200600_302600_NS6detail15normal_iteratorINS9_10device_ptrIKyEEEESF_NSB_INSC_IyEEEEPS5_SI_SI_NS9_7greaterIyEEEE10hipError_tPvRmT0_T1_T2_T3_T4_T5_mmT6_P12ihipStream_tbEUlT_E0_NS1_11comp_targetILNS1_3genE3ELNS1_11target_archE908ELNS1_3gpuE7ELNS1_3repE0EEENS1_30default_config_static_selectorELNS0_4arch9wavefront6targetE1EEEvSP_
                                        ; -- End function
	.section	.AMDGPU.csdata,"",@progbits
; Kernel info:
; codeLenInByte = 0
; NumSgprs: 4
; NumVgprs: 0
; NumAgprs: 0
; TotalNumVgprs: 0
; ScratchSize: 0
; MemoryBound: 0
; FloatMode: 240
; IeeeMode: 1
; LDSByteSize: 0 bytes/workgroup (compile time only)
; SGPRBlocks: 0
; VGPRBlocks: 0
; NumSGPRsForWavesPerEU: 4
; NumVGPRsForWavesPerEU: 1
; AccumOffset: 4
; Occupancy: 8
; WaveLimiterHint : 0
; COMPUTE_PGM_RSRC2:SCRATCH_EN: 0
; COMPUTE_PGM_RSRC2:USER_SGPR: 6
; COMPUTE_PGM_RSRC2:TRAP_HANDLER: 0
; COMPUTE_PGM_RSRC2:TGID_X_EN: 1
; COMPUTE_PGM_RSRC2:TGID_Y_EN: 0
; COMPUTE_PGM_RSRC2:TGID_Z_EN: 0
; COMPUTE_PGM_RSRC2:TIDIG_COMP_CNT: 0
; COMPUTE_PGM_RSRC3_GFX90A:ACCUM_OFFSET: 0
; COMPUTE_PGM_RSRC3_GFX90A:TG_SPLIT: 0
	.section	.text._ZN7rocprim17ROCPRIM_400000_NS6detail17trampoline_kernelINS0_14default_configENS1_21merge_config_selectorIyNS0_10empty_typeEEEZNS1_10merge_implIS3_N6thrust23THRUST_200600_302600_NS6detail15normal_iteratorINS9_10device_ptrIKyEEEESF_NSB_INSC_IyEEEEPS5_SI_SI_NS9_7greaterIyEEEE10hipError_tPvRmT0_T1_T2_T3_T4_T5_mmT6_P12ihipStream_tbEUlT_E0_NS1_11comp_targetILNS1_3genE2ELNS1_11target_archE906ELNS1_3gpuE6ELNS1_3repE0EEENS1_30default_config_static_selectorELNS0_4arch9wavefront6targetE1EEEvSP_,"axG",@progbits,_ZN7rocprim17ROCPRIM_400000_NS6detail17trampoline_kernelINS0_14default_configENS1_21merge_config_selectorIyNS0_10empty_typeEEEZNS1_10merge_implIS3_N6thrust23THRUST_200600_302600_NS6detail15normal_iteratorINS9_10device_ptrIKyEEEESF_NSB_INSC_IyEEEEPS5_SI_SI_NS9_7greaterIyEEEE10hipError_tPvRmT0_T1_T2_T3_T4_T5_mmT6_P12ihipStream_tbEUlT_E0_NS1_11comp_targetILNS1_3genE2ELNS1_11target_archE906ELNS1_3gpuE6ELNS1_3repE0EEENS1_30default_config_static_selectorELNS0_4arch9wavefront6targetE1EEEvSP_,comdat
	.protected	_ZN7rocprim17ROCPRIM_400000_NS6detail17trampoline_kernelINS0_14default_configENS1_21merge_config_selectorIyNS0_10empty_typeEEEZNS1_10merge_implIS3_N6thrust23THRUST_200600_302600_NS6detail15normal_iteratorINS9_10device_ptrIKyEEEESF_NSB_INSC_IyEEEEPS5_SI_SI_NS9_7greaterIyEEEE10hipError_tPvRmT0_T1_T2_T3_T4_T5_mmT6_P12ihipStream_tbEUlT_E0_NS1_11comp_targetILNS1_3genE2ELNS1_11target_archE906ELNS1_3gpuE6ELNS1_3repE0EEENS1_30default_config_static_selectorELNS0_4arch9wavefront6targetE1EEEvSP_ ; -- Begin function _ZN7rocprim17ROCPRIM_400000_NS6detail17trampoline_kernelINS0_14default_configENS1_21merge_config_selectorIyNS0_10empty_typeEEEZNS1_10merge_implIS3_N6thrust23THRUST_200600_302600_NS6detail15normal_iteratorINS9_10device_ptrIKyEEEESF_NSB_INSC_IyEEEEPS5_SI_SI_NS9_7greaterIyEEEE10hipError_tPvRmT0_T1_T2_T3_T4_T5_mmT6_P12ihipStream_tbEUlT_E0_NS1_11comp_targetILNS1_3genE2ELNS1_11target_archE906ELNS1_3gpuE6ELNS1_3repE0EEENS1_30default_config_static_selectorELNS0_4arch9wavefront6targetE1EEEvSP_
	.globl	_ZN7rocprim17ROCPRIM_400000_NS6detail17trampoline_kernelINS0_14default_configENS1_21merge_config_selectorIyNS0_10empty_typeEEEZNS1_10merge_implIS3_N6thrust23THRUST_200600_302600_NS6detail15normal_iteratorINS9_10device_ptrIKyEEEESF_NSB_INSC_IyEEEEPS5_SI_SI_NS9_7greaterIyEEEE10hipError_tPvRmT0_T1_T2_T3_T4_T5_mmT6_P12ihipStream_tbEUlT_E0_NS1_11comp_targetILNS1_3genE2ELNS1_11target_archE906ELNS1_3gpuE6ELNS1_3repE0EEENS1_30default_config_static_selectorELNS0_4arch9wavefront6targetE1EEEvSP_
	.p2align	8
	.type	_ZN7rocprim17ROCPRIM_400000_NS6detail17trampoline_kernelINS0_14default_configENS1_21merge_config_selectorIyNS0_10empty_typeEEEZNS1_10merge_implIS3_N6thrust23THRUST_200600_302600_NS6detail15normal_iteratorINS9_10device_ptrIKyEEEESF_NSB_INSC_IyEEEEPS5_SI_SI_NS9_7greaterIyEEEE10hipError_tPvRmT0_T1_T2_T3_T4_T5_mmT6_P12ihipStream_tbEUlT_E0_NS1_11comp_targetILNS1_3genE2ELNS1_11target_archE906ELNS1_3gpuE6ELNS1_3repE0EEENS1_30default_config_static_selectorELNS0_4arch9wavefront6targetE1EEEvSP_,@function
_ZN7rocprim17ROCPRIM_400000_NS6detail17trampoline_kernelINS0_14default_configENS1_21merge_config_selectorIyNS0_10empty_typeEEEZNS1_10merge_implIS3_N6thrust23THRUST_200600_302600_NS6detail15normal_iteratorINS9_10device_ptrIKyEEEESF_NSB_INSC_IyEEEEPS5_SI_SI_NS9_7greaterIyEEEE10hipError_tPvRmT0_T1_T2_T3_T4_T5_mmT6_P12ihipStream_tbEUlT_E0_NS1_11comp_targetILNS1_3genE2ELNS1_11target_archE906ELNS1_3gpuE6ELNS1_3repE0EEENS1_30default_config_static_selectorELNS0_4arch9wavefront6targetE1EEEvSP_: ; @_ZN7rocprim17ROCPRIM_400000_NS6detail17trampoline_kernelINS0_14default_configENS1_21merge_config_selectorIyNS0_10empty_typeEEEZNS1_10merge_implIS3_N6thrust23THRUST_200600_302600_NS6detail15normal_iteratorINS9_10device_ptrIKyEEEESF_NSB_INSC_IyEEEEPS5_SI_SI_NS9_7greaterIyEEEE10hipError_tPvRmT0_T1_T2_T3_T4_T5_mmT6_P12ihipStream_tbEUlT_E0_NS1_11comp_targetILNS1_3genE2ELNS1_11target_archE906ELNS1_3gpuE6ELNS1_3repE0EEENS1_30default_config_static_selectorELNS0_4arch9wavefront6targetE1EEEvSP_
; %bb.0:
	.section	.rodata,"a",@progbits
	.p2align	6, 0x0
	.amdhsa_kernel _ZN7rocprim17ROCPRIM_400000_NS6detail17trampoline_kernelINS0_14default_configENS1_21merge_config_selectorIyNS0_10empty_typeEEEZNS1_10merge_implIS3_N6thrust23THRUST_200600_302600_NS6detail15normal_iteratorINS9_10device_ptrIKyEEEESF_NSB_INSC_IyEEEEPS5_SI_SI_NS9_7greaterIyEEEE10hipError_tPvRmT0_T1_T2_T3_T4_T5_mmT6_P12ihipStream_tbEUlT_E0_NS1_11comp_targetILNS1_3genE2ELNS1_11target_archE906ELNS1_3gpuE6ELNS1_3repE0EEENS1_30default_config_static_selectorELNS0_4arch9wavefront6targetE1EEEvSP_
		.amdhsa_group_segment_fixed_size 0
		.amdhsa_private_segment_fixed_size 0
		.amdhsa_kernarg_size 88
		.amdhsa_user_sgpr_count 6
		.amdhsa_user_sgpr_private_segment_buffer 1
		.amdhsa_user_sgpr_dispatch_ptr 0
		.amdhsa_user_sgpr_queue_ptr 0
		.amdhsa_user_sgpr_kernarg_segment_ptr 1
		.amdhsa_user_sgpr_dispatch_id 0
		.amdhsa_user_sgpr_flat_scratch_init 0
		.amdhsa_user_sgpr_kernarg_preload_length 0
		.amdhsa_user_sgpr_kernarg_preload_offset 0
		.amdhsa_user_sgpr_private_segment_size 0
		.amdhsa_uses_dynamic_stack 0
		.amdhsa_system_sgpr_private_segment_wavefront_offset 0
		.amdhsa_system_sgpr_workgroup_id_x 1
		.amdhsa_system_sgpr_workgroup_id_y 0
		.amdhsa_system_sgpr_workgroup_id_z 0
		.amdhsa_system_sgpr_workgroup_info 0
		.amdhsa_system_vgpr_workitem_id 0
		.amdhsa_next_free_vgpr 1
		.amdhsa_next_free_sgpr 0
		.amdhsa_accum_offset 4
		.amdhsa_reserve_vcc 0
		.amdhsa_reserve_flat_scratch 0
		.amdhsa_float_round_mode_32 0
		.amdhsa_float_round_mode_16_64 0
		.amdhsa_float_denorm_mode_32 3
		.amdhsa_float_denorm_mode_16_64 3
		.amdhsa_dx10_clamp 1
		.amdhsa_ieee_mode 1
		.amdhsa_fp16_overflow 0
		.amdhsa_tg_split 0
		.amdhsa_exception_fp_ieee_invalid_op 0
		.amdhsa_exception_fp_denorm_src 0
		.amdhsa_exception_fp_ieee_div_zero 0
		.amdhsa_exception_fp_ieee_overflow 0
		.amdhsa_exception_fp_ieee_underflow 0
		.amdhsa_exception_fp_ieee_inexact 0
		.amdhsa_exception_int_div_zero 0
	.end_amdhsa_kernel
	.section	.text._ZN7rocprim17ROCPRIM_400000_NS6detail17trampoline_kernelINS0_14default_configENS1_21merge_config_selectorIyNS0_10empty_typeEEEZNS1_10merge_implIS3_N6thrust23THRUST_200600_302600_NS6detail15normal_iteratorINS9_10device_ptrIKyEEEESF_NSB_INSC_IyEEEEPS5_SI_SI_NS9_7greaterIyEEEE10hipError_tPvRmT0_T1_T2_T3_T4_T5_mmT6_P12ihipStream_tbEUlT_E0_NS1_11comp_targetILNS1_3genE2ELNS1_11target_archE906ELNS1_3gpuE6ELNS1_3repE0EEENS1_30default_config_static_selectorELNS0_4arch9wavefront6targetE1EEEvSP_,"axG",@progbits,_ZN7rocprim17ROCPRIM_400000_NS6detail17trampoline_kernelINS0_14default_configENS1_21merge_config_selectorIyNS0_10empty_typeEEEZNS1_10merge_implIS3_N6thrust23THRUST_200600_302600_NS6detail15normal_iteratorINS9_10device_ptrIKyEEEESF_NSB_INSC_IyEEEEPS5_SI_SI_NS9_7greaterIyEEEE10hipError_tPvRmT0_T1_T2_T3_T4_T5_mmT6_P12ihipStream_tbEUlT_E0_NS1_11comp_targetILNS1_3genE2ELNS1_11target_archE906ELNS1_3gpuE6ELNS1_3repE0EEENS1_30default_config_static_selectorELNS0_4arch9wavefront6targetE1EEEvSP_,comdat
.Lfunc_end510:
	.size	_ZN7rocprim17ROCPRIM_400000_NS6detail17trampoline_kernelINS0_14default_configENS1_21merge_config_selectorIyNS0_10empty_typeEEEZNS1_10merge_implIS3_N6thrust23THRUST_200600_302600_NS6detail15normal_iteratorINS9_10device_ptrIKyEEEESF_NSB_INSC_IyEEEEPS5_SI_SI_NS9_7greaterIyEEEE10hipError_tPvRmT0_T1_T2_T3_T4_T5_mmT6_P12ihipStream_tbEUlT_E0_NS1_11comp_targetILNS1_3genE2ELNS1_11target_archE906ELNS1_3gpuE6ELNS1_3repE0EEENS1_30default_config_static_selectorELNS0_4arch9wavefront6targetE1EEEvSP_, .Lfunc_end510-_ZN7rocprim17ROCPRIM_400000_NS6detail17trampoline_kernelINS0_14default_configENS1_21merge_config_selectorIyNS0_10empty_typeEEEZNS1_10merge_implIS3_N6thrust23THRUST_200600_302600_NS6detail15normal_iteratorINS9_10device_ptrIKyEEEESF_NSB_INSC_IyEEEEPS5_SI_SI_NS9_7greaterIyEEEE10hipError_tPvRmT0_T1_T2_T3_T4_T5_mmT6_P12ihipStream_tbEUlT_E0_NS1_11comp_targetILNS1_3genE2ELNS1_11target_archE906ELNS1_3gpuE6ELNS1_3repE0EEENS1_30default_config_static_selectorELNS0_4arch9wavefront6targetE1EEEvSP_
                                        ; -- End function
	.section	.AMDGPU.csdata,"",@progbits
; Kernel info:
; codeLenInByte = 0
; NumSgprs: 4
; NumVgprs: 0
; NumAgprs: 0
; TotalNumVgprs: 0
; ScratchSize: 0
; MemoryBound: 0
; FloatMode: 240
; IeeeMode: 1
; LDSByteSize: 0 bytes/workgroup (compile time only)
; SGPRBlocks: 0
; VGPRBlocks: 0
; NumSGPRsForWavesPerEU: 4
; NumVGPRsForWavesPerEU: 1
; AccumOffset: 4
; Occupancy: 8
; WaveLimiterHint : 0
; COMPUTE_PGM_RSRC2:SCRATCH_EN: 0
; COMPUTE_PGM_RSRC2:USER_SGPR: 6
; COMPUTE_PGM_RSRC2:TRAP_HANDLER: 0
; COMPUTE_PGM_RSRC2:TGID_X_EN: 1
; COMPUTE_PGM_RSRC2:TGID_Y_EN: 0
; COMPUTE_PGM_RSRC2:TGID_Z_EN: 0
; COMPUTE_PGM_RSRC2:TIDIG_COMP_CNT: 0
; COMPUTE_PGM_RSRC3_GFX90A:ACCUM_OFFSET: 0
; COMPUTE_PGM_RSRC3_GFX90A:TG_SPLIT: 0
	.section	.text._ZN7rocprim17ROCPRIM_400000_NS6detail17trampoline_kernelINS0_14default_configENS1_21merge_config_selectorIyNS0_10empty_typeEEEZNS1_10merge_implIS3_N6thrust23THRUST_200600_302600_NS6detail15normal_iteratorINS9_10device_ptrIKyEEEESF_NSB_INSC_IyEEEEPS5_SI_SI_NS9_7greaterIyEEEE10hipError_tPvRmT0_T1_T2_T3_T4_T5_mmT6_P12ihipStream_tbEUlT_E0_NS1_11comp_targetILNS1_3genE10ELNS1_11target_archE1201ELNS1_3gpuE5ELNS1_3repE0EEENS1_30default_config_static_selectorELNS0_4arch9wavefront6targetE1EEEvSP_,"axG",@progbits,_ZN7rocprim17ROCPRIM_400000_NS6detail17trampoline_kernelINS0_14default_configENS1_21merge_config_selectorIyNS0_10empty_typeEEEZNS1_10merge_implIS3_N6thrust23THRUST_200600_302600_NS6detail15normal_iteratorINS9_10device_ptrIKyEEEESF_NSB_INSC_IyEEEEPS5_SI_SI_NS9_7greaterIyEEEE10hipError_tPvRmT0_T1_T2_T3_T4_T5_mmT6_P12ihipStream_tbEUlT_E0_NS1_11comp_targetILNS1_3genE10ELNS1_11target_archE1201ELNS1_3gpuE5ELNS1_3repE0EEENS1_30default_config_static_selectorELNS0_4arch9wavefront6targetE1EEEvSP_,comdat
	.protected	_ZN7rocprim17ROCPRIM_400000_NS6detail17trampoline_kernelINS0_14default_configENS1_21merge_config_selectorIyNS0_10empty_typeEEEZNS1_10merge_implIS3_N6thrust23THRUST_200600_302600_NS6detail15normal_iteratorINS9_10device_ptrIKyEEEESF_NSB_INSC_IyEEEEPS5_SI_SI_NS9_7greaterIyEEEE10hipError_tPvRmT0_T1_T2_T3_T4_T5_mmT6_P12ihipStream_tbEUlT_E0_NS1_11comp_targetILNS1_3genE10ELNS1_11target_archE1201ELNS1_3gpuE5ELNS1_3repE0EEENS1_30default_config_static_selectorELNS0_4arch9wavefront6targetE1EEEvSP_ ; -- Begin function _ZN7rocprim17ROCPRIM_400000_NS6detail17trampoline_kernelINS0_14default_configENS1_21merge_config_selectorIyNS0_10empty_typeEEEZNS1_10merge_implIS3_N6thrust23THRUST_200600_302600_NS6detail15normal_iteratorINS9_10device_ptrIKyEEEESF_NSB_INSC_IyEEEEPS5_SI_SI_NS9_7greaterIyEEEE10hipError_tPvRmT0_T1_T2_T3_T4_T5_mmT6_P12ihipStream_tbEUlT_E0_NS1_11comp_targetILNS1_3genE10ELNS1_11target_archE1201ELNS1_3gpuE5ELNS1_3repE0EEENS1_30default_config_static_selectorELNS0_4arch9wavefront6targetE1EEEvSP_
	.globl	_ZN7rocprim17ROCPRIM_400000_NS6detail17trampoline_kernelINS0_14default_configENS1_21merge_config_selectorIyNS0_10empty_typeEEEZNS1_10merge_implIS3_N6thrust23THRUST_200600_302600_NS6detail15normal_iteratorINS9_10device_ptrIKyEEEESF_NSB_INSC_IyEEEEPS5_SI_SI_NS9_7greaterIyEEEE10hipError_tPvRmT0_T1_T2_T3_T4_T5_mmT6_P12ihipStream_tbEUlT_E0_NS1_11comp_targetILNS1_3genE10ELNS1_11target_archE1201ELNS1_3gpuE5ELNS1_3repE0EEENS1_30default_config_static_selectorELNS0_4arch9wavefront6targetE1EEEvSP_
	.p2align	8
	.type	_ZN7rocprim17ROCPRIM_400000_NS6detail17trampoline_kernelINS0_14default_configENS1_21merge_config_selectorIyNS0_10empty_typeEEEZNS1_10merge_implIS3_N6thrust23THRUST_200600_302600_NS6detail15normal_iteratorINS9_10device_ptrIKyEEEESF_NSB_INSC_IyEEEEPS5_SI_SI_NS9_7greaterIyEEEE10hipError_tPvRmT0_T1_T2_T3_T4_T5_mmT6_P12ihipStream_tbEUlT_E0_NS1_11comp_targetILNS1_3genE10ELNS1_11target_archE1201ELNS1_3gpuE5ELNS1_3repE0EEENS1_30default_config_static_selectorELNS0_4arch9wavefront6targetE1EEEvSP_,@function
_ZN7rocprim17ROCPRIM_400000_NS6detail17trampoline_kernelINS0_14default_configENS1_21merge_config_selectorIyNS0_10empty_typeEEEZNS1_10merge_implIS3_N6thrust23THRUST_200600_302600_NS6detail15normal_iteratorINS9_10device_ptrIKyEEEESF_NSB_INSC_IyEEEEPS5_SI_SI_NS9_7greaterIyEEEE10hipError_tPvRmT0_T1_T2_T3_T4_T5_mmT6_P12ihipStream_tbEUlT_E0_NS1_11comp_targetILNS1_3genE10ELNS1_11target_archE1201ELNS1_3gpuE5ELNS1_3repE0EEENS1_30default_config_static_selectorELNS0_4arch9wavefront6targetE1EEEvSP_: ; @_ZN7rocprim17ROCPRIM_400000_NS6detail17trampoline_kernelINS0_14default_configENS1_21merge_config_selectorIyNS0_10empty_typeEEEZNS1_10merge_implIS3_N6thrust23THRUST_200600_302600_NS6detail15normal_iteratorINS9_10device_ptrIKyEEEESF_NSB_INSC_IyEEEEPS5_SI_SI_NS9_7greaterIyEEEE10hipError_tPvRmT0_T1_T2_T3_T4_T5_mmT6_P12ihipStream_tbEUlT_E0_NS1_11comp_targetILNS1_3genE10ELNS1_11target_archE1201ELNS1_3gpuE5ELNS1_3repE0EEENS1_30default_config_static_selectorELNS0_4arch9wavefront6targetE1EEEvSP_
; %bb.0:
	.section	.rodata,"a",@progbits
	.p2align	6, 0x0
	.amdhsa_kernel _ZN7rocprim17ROCPRIM_400000_NS6detail17trampoline_kernelINS0_14default_configENS1_21merge_config_selectorIyNS0_10empty_typeEEEZNS1_10merge_implIS3_N6thrust23THRUST_200600_302600_NS6detail15normal_iteratorINS9_10device_ptrIKyEEEESF_NSB_INSC_IyEEEEPS5_SI_SI_NS9_7greaterIyEEEE10hipError_tPvRmT0_T1_T2_T3_T4_T5_mmT6_P12ihipStream_tbEUlT_E0_NS1_11comp_targetILNS1_3genE10ELNS1_11target_archE1201ELNS1_3gpuE5ELNS1_3repE0EEENS1_30default_config_static_selectorELNS0_4arch9wavefront6targetE1EEEvSP_
		.amdhsa_group_segment_fixed_size 0
		.amdhsa_private_segment_fixed_size 0
		.amdhsa_kernarg_size 88
		.amdhsa_user_sgpr_count 6
		.amdhsa_user_sgpr_private_segment_buffer 1
		.amdhsa_user_sgpr_dispatch_ptr 0
		.amdhsa_user_sgpr_queue_ptr 0
		.amdhsa_user_sgpr_kernarg_segment_ptr 1
		.amdhsa_user_sgpr_dispatch_id 0
		.amdhsa_user_sgpr_flat_scratch_init 0
		.amdhsa_user_sgpr_kernarg_preload_length 0
		.amdhsa_user_sgpr_kernarg_preload_offset 0
		.amdhsa_user_sgpr_private_segment_size 0
		.amdhsa_uses_dynamic_stack 0
		.amdhsa_system_sgpr_private_segment_wavefront_offset 0
		.amdhsa_system_sgpr_workgroup_id_x 1
		.amdhsa_system_sgpr_workgroup_id_y 0
		.amdhsa_system_sgpr_workgroup_id_z 0
		.amdhsa_system_sgpr_workgroup_info 0
		.amdhsa_system_vgpr_workitem_id 0
		.amdhsa_next_free_vgpr 1
		.amdhsa_next_free_sgpr 0
		.amdhsa_accum_offset 4
		.amdhsa_reserve_vcc 0
		.amdhsa_reserve_flat_scratch 0
		.amdhsa_float_round_mode_32 0
		.amdhsa_float_round_mode_16_64 0
		.amdhsa_float_denorm_mode_32 3
		.amdhsa_float_denorm_mode_16_64 3
		.amdhsa_dx10_clamp 1
		.amdhsa_ieee_mode 1
		.amdhsa_fp16_overflow 0
		.amdhsa_tg_split 0
		.amdhsa_exception_fp_ieee_invalid_op 0
		.amdhsa_exception_fp_denorm_src 0
		.amdhsa_exception_fp_ieee_div_zero 0
		.amdhsa_exception_fp_ieee_overflow 0
		.amdhsa_exception_fp_ieee_underflow 0
		.amdhsa_exception_fp_ieee_inexact 0
		.amdhsa_exception_int_div_zero 0
	.end_amdhsa_kernel
	.section	.text._ZN7rocprim17ROCPRIM_400000_NS6detail17trampoline_kernelINS0_14default_configENS1_21merge_config_selectorIyNS0_10empty_typeEEEZNS1_10merge_implIS3_N6thrust23THRUST_200600_302600_NS6detail15normal_iteratorINS9_10device_ptrIKyEEEESF_NSB_INSC_IyEEEEPS5_SI_SI_NS9_7greaterIyEEEE10hipError_tPvRmT0_T1_T2_T3_T4_T5_mmT6_P12ihipStream_tbEUlT_E0_NS1_11comp_targetILNS1_3genE10ELNS1_11target_archE1201ELNS1_3gpuE5ELNS1_3repE0EEENS1_30default_config_static_selectorELNS0_4arch9wavefront6targetE1EEEvSP_,"axG",@progbits,_ZN7rocprim17ROCPRIM_400000_NS6detail17trampoline_kernelINS0_14default_configENS1_21merge_config_selectorIyNS0_10empty_typeEEEZNS1_10merge_implIS3_N6thrust23THRUST_200600_302600_NS6detail15normal_iteratorINS9_10device_ptrIKyEEEESF_NSB_INSC_IyEEEEPS5_SI_SI_NS9_7greaterIyEEEE10hipError_tPvRmT0_T1_T2_T3_T4_T5_mmT6_P12ihipStream_tbEUlT_E0_NS1_11comp_targetILNS1_3genE10ELNS1_11target_archE1201ELNS1_3gpuE5ELNS1_3repE0EEENS1_30default_config_static_selectorELNS0_4arch9wavefront6targetE1EEEvSP_,comdat
.Lfunc_end511:
	.size	_ZN7rocprim17ROCPRIM_400000_NS6detail17trampoline_kernelINS0_14default_configENS1_21merge_config_selectorIyNS0_10empty_typeEEEZNS1_10merge_implIS3_N6thrust23THRUST_200600_302600_NS6detail15normal_iteratorINS9_10device_ptrIKyEEEESF_NSB_INSC_IyEEEEPS5_SI_SI_NS9_7greaterIyEEEE10hipError_tPvRmT0_T1_T2_T3_T4_T5_mmT6_P12ihipStream_tbEUlT_E0_NS1_11comp_targetILNS1_3genE10ELNS1_11target_archE1201ELNS1_3gpuE5ELNS1_3repE0EEENS1_30default_config_static_selectorELNS0_4arch9wavefront6targetE1EEEvSP_, .Lfunc_end511-_ZN7rocprim17ROCPRIM_400000_NS6detail17trampoline_kernelINS0_14default_configENS1_21merge_config_selectorIyNS0_10empty_typeEEEZNS1_10merge_implIS3_N6thrust23THRUST_200600_302600_NS6detail15normal_iteratorINS9_10device_ptrIKyEEEESF_NSB_INSC_IyEEEEPS5_SI_SI_NS9_7greaterIyEEEE10hipError_tPvRmT0_T1_T2_T3_T4_T5_mmT6_P12ihipStream_tbEUlT_E0_NS1_11comp_targetILNS1_3genE10ELNS1_11target_archE1201ELNS1_3gpuE5ELNS1_3repE0EEENS1_30default_config_static_selectorELNS0_4arch9wavefront6targetE1EEEvSP_
                                        ; -- End function
	.section	.AMDGPU.csdata,"",@progbits
; Kernel info:
; codeLenInByte = 0
; NumSgprs: 4
; NumVgprs: 0
; NumAgprs: 0
; TotalNumVgprs: 0
; ScratchSize: 0
; MemoryBound: 0
; FloatMode: 240
; IeeeMode: 1
; LDSByteSize: 0 bytes/workgroup (compile time only)
; SGPRBlocks: 0
; VGPRBlocks: 0
; NumSGPRsForWavesPerEU: 4
; NumVGPRsForWavesPerEU: 1
; AccumOffset: 4
; Occupancy: 8
; WaveLimiterHint : 0
; COMPUTE_PGM_RSRC2:SCRATCH_EN: 0
; COMPUTE_PGM_RSRC2:USER_SGPR: 6
; COMPUTE_PGM_RSRC2:TRAP_HANDLER: 0
; COMPUTE_PGM_RSRC2:TGID_X_EN: 1
; COMPUTE_PGM_RSRC2:TGID_Y_EN: 0
; COMPUTE_PGM_RSRC2:TGID_Z_EN: 0
; COMPUTE_PGM_RSRC2:TIDIG_COMP_CNT: 0
; COMPUTE_PGM_RSRC3_GFX90A:ACCUM_OFFSET: 0
; COMPUTE_PGM_RSRC3_GFX90A:TG_SPLIT: 0
	.section	.text._ZN7rocprim17ROCPRIM_400000_NS6detail17trampoline_kernelINS0_14default_configENS1_21merge_config_selectorIyNS0_10empty_typeEEEZNS1_10merge_implIS3_N6thrust23THRUST_200600_302600_NS6detail15normal_iteratorINS9_10device_ptrIKyEEEESF_NSB_INSC_IyEEEEPS5_SI_SI_NS9_7greaterIyEEEE10hipError_tPvRmT0_T1_T2_T3_T4_T5_mmT6_P12ihipStream_tbEUlT_E0_NS1_11comp_targetILNS1_3genE10ELNS1_11target_archE1200ELNS1_3gpuE4ELNS1_3repE0EEENS1_30default_config_static_selectorELNS0_4arch9wavefront6targetE1EEEvSP_,"axG",@progbits,_ZN7rocprim17ROCPRIM_400000_NS6detail17trampoline_kernelINS0_14default_configENS1_21merge_config_selectorIyNS0_10empty_typeEEEZNS1_10merge_implIS3_N6thrust23THRUST_200600_302600_NS6detail15normal_iteratorINS9_10device_ptrIKyEEEESF_NSB_INSC_IyEEEEPS5_SI_SI_NS9_7greaterIyEEEE10hipError_tPvRmT0_T1_T2_T3_T4_T5_mmT6_P12ihipStream_tbEUlT_E0_NS1_11comp_targetILNS1_3genE10ELNS1_11target_archE1200ELNS1_3gpuE4ELNS1_3repE0EEENS1_30default_config_static_selectorELNS0_4arch9wavefront6targetE1EEEvSP_,comdat
	.protected	_ZN7rocprim17ROCPRIM_400000_NS6detail17trampoline_kernelINS0_14default_configENS1_21merge_config_selectorIyNS0_10empty_typeEEEZNS1_10merge_implIS3_N6thrust23THRUST_200600_302600_NS6detail15normal_iteratorINS9_10device_ptrIKyEEEESF_NSB_INSC_IyEEEEPS5_SI_SI_NS9_7greaterIyEEEE10hipError_tPvRmT0_T1_T2_T3_T4_T5_mmT6_P12ihipStream_tbEUlT_E0_NS1_11comp_targetILNS1_3genE10ELNS1_11target_archE1200ELNS1_3gpuE4ELNS1_3repE0EEENS1_30default_config_static_selectorELNS0_4arch9wavefront6targetE1EEEvSP_ ; -- Begin function _ZN7rocprim17ROCPRIM_400000_NS6detail17trampoline_kernelINS0_14default_configENS1_21merge_config_selectorIyNS0_10empty_typeEEEZNS1_10merge_implIS3_N6thrust23THRUST_200600_302600_NS6detail15normal_iteratorINS9_10device_ptrIKyEEEESF_NSB_INSC_IyEEEEPS5_SI_SI_NS9_7greaterIyEEEE10hipError_tPvRmT0_T1_T2_T3_T4_T5_mmT6_P12ihipStream_tbEUlT_E0_NS1_11comp_targetILNS1_3genE10ELNS1_11target_archE1200ELNS1_3gpuE4ELNS1_3repE0EEENS1_30default_config_static_selectorELNS0_4arch9wavefront6targetE1EEEvSP_
	.globl	_ZN7rocprim17ROCPRIM_400000_NS6detail17trampoline_kernelINS0_14default_configENS1_21merge_config_selectorIyNS0_10empty_typeEEEZNS1_10merge_implIS3_N6thrust23THRUST_200600_302600_NS6detail15normal_iteratorINS9_10device_ptrIKyEEEESF_NSB_INSC_IyEEEEPS5_SI_SI_NS9_7greaterIyEEEE10hipError_tPvRmT0_T1_T2_T3_T4_T5_mmT6_P12ihipStream_tbEUlT_E0_NS1_11comp_targetILNS1_3genE10ELNS1_11target_archE1200ELNS1_3gpuE4ELNS1_3repE0EEENS1_30default_config_static_selectorELNS0_4arch9wavefront6targetE1EEEvSP_
	.p2align	8
	.type	_ZN7rocprim17ROCPRIM_400000_NS6detail17trampoline_kernelINS0_14default_configENS1_21merge_config_selectorIyNS0_10empty_typeEEEZNS1_10merge_implIS3_N6thrust23THRUST_200600_302600_NS6detail15normal_iteratorINS9_10device_ptrIKyEEEESF_NSB_INSC_IyEEEEPS5_SI_SI_NS9_7greaterIyEEEE10hipError_tPvRmT0_T1_T2_T3_T4_T5_mmT6_P12ihipStream_tbEUlT_E0_NS1_11comp_targetILNS1_3genE10ELNS1_11target_archE1200ELNS1_3gpuE4ELNS1_3repE0EEENS1_30default_config_static_selectorELNS0_4arch9wavefront6targetE1EEEvSP_,@function
_ZN7rocprim17ROCPRIM_400000_NS6detail17trampoline_kernelINS0_14default_configENS1_21merge_config_selectorIyNS0_10empty_typeEEEZNS1_10merge_implIS3_N6thrust23THRUST_200600_302600_NS6detail15normal_iteratorINS9_10device_ptrIKyEEEESF_NSB_INSC_IyEEEEPS5_SI_SI_NS9_7greaterIyEEEE10hipError_tPvRmT0_T1_T2_T3_T4_T5_mmT6_P12ihipStream_tbEUlT_E0_NS1_11comp_targetILNS1_3genE10ELNS1_11target_archE1200ELNS1_3gpuE4ELNS1_3repE0EEENS1_30default_config_static_selectorELNS0_4arch9wavefront6targetE1EEEvSP_: ; @_ZN7rocprim17ROCPRIM_400000_NS6detail17trampoline_kernelINS0_14default_configENS1_21merge_config_selectorIyNS0_10empty_typeEEEZNS1_10merge_implIS3_N6thrust23THRUST_200600_302600_NS6detail15normal_iteratorINS9_10device_ptrIKyEEEESF_NSB_INSC_IyEEEEPS5_SI_SI_NS9_7greaterIyEEEE10hipError_tPvRmT0_T1_T2_T3_T4_T5_mmT6_P12ihipStream_tbEUlT_E0_NS1_11comp_targetILNS1_3genE10ELNS1_11target_archE1200ELNS1_3gpuE4ELNS1_3repE0EEENS1_30default_config_static_selectorELNS0_4arch9wavefront6targetE1EEEvSP_
; %bb.0:
	.section	.rodata,"a",@progbits
	.p2align	6, 0x0
	.amdhsa_kernel _ZN7rocprim17ROCPRIM_400000_NS6detail17trampoline_kernelINS0_14default_configENS1_21merge_config_selectorIyNS0_10empty_typeEEEZNS1_10merge_implIS3_N6thrust23THRUST_200600_302600_NS6detail15normal_iteratorINS9_10device_ptrIKyEEEESF_NSB_INSC_IyEEEEPS5_SI_SI_NS9_7greaterIyEEEE10hipError_tPvRmT0_T1_T2_T3_T4_T5_mmT6_P12ihipStream_tbEUlT_E0_NS1_11comp_targetILNS1_3genE10ELNS1_11target_archE1200ELNS1_3gpuE4ELNS1_3repE0EEENS1_30default_config_static_selectorELNS0_4arch9wavefront6targetE1EEEvSP_
		.amdhsa_group_segment_fixed_size 0
		.amdhsa_private_segment_fixed_size 0
		.amdhsa_kernarg_size 88
		.amdhsa_user_sgpr_count 6
		.amdhsa_user_sgpr_private_segment_buffer 1
		.amdhsa_user_sgpr_dispatch_ptr 0
		.amdhsa_user_sgpr_queue_ptr 0
		.amdhsa_user_sgpr_kernarg_segment_ptr 1
		.amdhsa_user_sgpr_dispatch_id 0
		.amdhsa_user_sgpr_flat_scratch_init 0
		.amdhsa_user_sgpr_kernarg_preload_length 0
		.amdhsa_user_sgpr_kernarg_preload_offset 0
		.amdhsa_user_sgpr_private_segment_size 0
		.amdhsa_uses_dynamic_stack 0
		.amdhsa_system_sgpr_private_segment_wavefront_offset 0
		.amdhsa_system_sgpr_workgroup_id_x 1
		.amdhsa_system_sgpr_workgroup_id_y 0
		.amdhsa_system_sgpr_workgroup_id_z 0
		.amdhsa_system_sgpr_workgroup_info 0
		.amdhsa_system_vgpr_workitem_id 0
		.amdhsa_next_free_vgpr 1
		.amdhsa_next_free_sgpr 0
		.amdhsa_accum_offset 4
		.amdhsa_reserve_vcc 0
		.amdhsa_reserve_flat_scratch 0
		.amdhsa_float_round_mode_32 0
		.amdhsa_float_round_mode_16_64 0
		.amdhsa_float_denorm_mode_32 3
		.amdhsa_float_denorm_mode_16_64 3
		.amdhsa_dx10_clamp 1
		.amdhsa_ieee_mode 1
		.amdhsa_fp16_overflow 0
		.amdhsa_tg_split 0
		.amdhsa_exception_fp_ieee_invalid_op 0
		.amdhsa_exception_fp_denorm_src 0
		.amdhsa_exception_fp_ieee_div_zero 0
		.amdhsa_exception_fp_ieee_overflow 0
		.amdhsa_exception_fp_ieee_underflow 0
		.amdhsa_exception_fp_ieee_inexact 0
		.amdhsa_exception_int_div_zero 0
	.end_amdhsa_kernel
	.section	.text._ZN7rocprim17ROCPRIM_400000_NS6detail17trampoline_kernelINS0_14default_configENS1_21merge_config_selectorIyNS0_10empty_typeEEEZNS1_10merge_implIS3_N6thrust23THRUST_200600_302600_NS6detail15normal_iteratorINS9_10device_ptrIKyEEEESF_NSB_INSC_IyEEEEPS5_SI_SI_NS9_7greaterIyEEEE10hipError_tPvRmT0_T1_T2_T3_T4_T5_mmT6_P12ihipStream_tbEUlT_E0_NS1_11comp_targetILNS1_3genE10ELNS1_11target_archE1200ELNS1_3gpuE4ELNS1_3repE0EEENS1_30default_config_static_selectorELNS0_4arch9wavefront6targetE1EEEvSP_,"axG",@progbits,_ZN7rocprim17ROCPRIM_400000_NS6detail17trampoline_kernelINS0_14default_configENS1_21merge_config_selectorIyNS0_10empty_typeEEEZNS1_10merge_implIS3_N6thrust23THRUST_200600_302600_NS6detail15normal_iteratorINS9_10device_ptrIKyEEEESF_NSB_INSC_IyEEEEPS5_SI_SI_NS9_7greaterIyEEEE10hipError_tPvRmT0_T1_T2_T3_T4_T5_mmT6_P12ihipStream_tbEUlT_E0_NS1_11comp_targetILNS1_3genE10ELNS1_11target_archE1200ELNS1_3gpuE4ELNS1_3repE0EEENS1_30default_config_static_selectorELNS0_4arch9wavefront6targetE1EEEvSP_,comdat
.Lfunc_end512:
	.size	_ZN7rocprim17ROCPRIM_400000_NS6detail17trampoline_kernelINS0_14default_configENS1_21merge_config_selectorIyNS0_10empty_typeEEEZNS1_10merge_implIS3_N6thrust23THRUST_200600_302600_NS6detail15normal_iteratorINS9_10device_ptrIKyEEEESF_NSB_INSC_IyEEEEPS5_SI_SI_NS9_7greaterIyEEEE10hipError_tPvRmT0_T1_T2_T3_T4_T5_mmT6_P12ihipStream_tbEUlT_E0_NS1_11comp_targetILNS1_3genE10ELNS1_11target_archE1200ELNS1_3gpuE4ELNS1_3repE0EEENS1_30default_config_static_selectorELNS0_4arch9wavefront6targetE1EEEvSP_, .Lfunc_end512-_ZN7rocprim17ROCPRIM_400000_NS6detail17trampoline_kernelINS0_14default_configENS1_21merge_config_selectorIyNS0_10empty_typeEEEZNS1_10merge_implIS3_N6thrust23THRUST_200600_302600_NS6detail15normal_iteratorINS9_10device_ptrIKyEEEESF_NSB_INSC_IyEEEEPS5_SI_SI_NS9_7greaterIyEEEE10hipError_tPvRmT0_T1_T2_T3_T4_T5_mmT6_P12ihipStream_tbEUlT_E0_NS1_11comp_targetILNS1_3genE10ELNS1_11target_archE1200ELNS1_3gpuE4ELNS1_3repE0EEENS1_30default_config_static_selectorELNS0_4arch9wavefront6targetE1EEEvSP_
                                        ; -- End function
	.section	.AMDGPU.csdata,"",@progbits
; Kernel info:
; codeLenInByte = 0
; NumSgprs: 4
; NumVgprs: 0
; NumAgprs: 0
; TotalNumVgprs: 0
; ScratchSize: 0
; MemoryBound: 0
; FloatMode: 240
; IeeeMode: 1
; LDSByteSize: 0 bytes/workgroup (compile time only)
; SGPRBlocks: 0
; VGPRBlocks: 0
; NumSGPRsForWavesPerEU: 4
; NumVGPRsForWavesPerEU: 1
; AccumOffset: 4
; Occupancy: 8
; WaveLimiterHint : 0
; COMPUTE_PGM_RSRC2:SCRATCH_EN: 0
; COMPUTE_PGM_RSRC2:USER_SGPR: 6
; COMPUTE_PGM_RSRC2:TRAP_HANDLER: 0
; COMPUTE_PGM_RSRC2:TGID_X_EN: 1
; COMPUTE_PGM_RSRC2:TGID_Y_EN: 0
; COMPUTE_PGM_RSRC2:TGID_Z_EN: 0
; COMPUTE_PGM_RSRC2:TIDIG_COMP_CNT: 0
; COMPUTE_PGM_RSRC3_GFX90A:ACCUM_OFFSET: 0
; COMPUTE_PGM_RSRC3_GFX90A:TG_SPLIT: 0
	.section	.text._ZN7rocprim17ROCPRIM_400000_NS6detail17trampoline_kernelINS0_14default_configENS1_21merge_config_selectorIyNS0_10empty_typeEEEZNS1_10merge_implIS3_N6thrust23THRUST_200600_302600_NS6detail15normal_iteratorINS9_10device_ptrIKyEEEESF_NSB_INSC_IyEEEEPS5_SI_SI_NS9_7greaterIyEEEE10hipError_tPvRmT0_T1_T2_T3_T4_T5_mmT6_P12ihipStream_tbEUlT_E0_NS1_11comp_targetILNS1_3genE9ELNS1_11target_archE1100ELNS1_3gpuE3ELNS1_3repE0EEENS1_30default_config_static_selectorELNS0_4arch9wavefront6targetE1EEEvSP_,"axG",@progbits,_ZN7rocprim17ROCPRIM_400000_NS6detail17trampoline_kernelINS0_14default_configENS1_21merge_config_selectorIyNS0_10empty_typeEEEZNS1_10merge_implIS3_N6thrust23THRUST_200600_302600_NS6detail15normal_iteratorINS9_10device_ptrIKyEEEESF_NSB_INSC_IyEEEEPS5_SI_SI_NS9_7greaterIyEEEE10hipError_tPvRmT0_T1_T2_T3_T4_T5_mmT6_P12ihipStream_tbEUlT_E0_NS1_11comp_targetILNS1_3genE9ELNS1_11target_archE1100ELNS1_3gpuE3ELNS1_3repE0EEENS1_30default_config_static_selectorELNS0_4arch9wavefront6targetE1EEEvSP_,comdat
	.protected	_ZN7rocprim17ROCPRIM_400000_NS6detail17trampoline_kernelINS0_14default_configENS1_21merge_config_selectorIyNS0_10empty_typeEEEZNS1_10merge_implIS3_N6thrust23THRUST_200600_302600_NS6detail15normal_iteratorINS9_10device_ptrIKyEEEESF_NSB_INSC_IyEEEEPS5_SI_SI_NS9_7greaterIyEEEE10hipError_tPvRmT0_T1_T2_T3_T4_T5_mmT6_P12ihipStream_tbEUlT_E0_NS1_11comp_targetILNS1_3genE9ELNS1_11target_archE1100ELNS1_3gpuE3ELNS1_3repE0EEENS1_30default_config_static_selectorELNS0_4arch9wavefront6targetE1EEEvSP_ ; -- Begin function _ZN7rocprim17ROCPRIM_400000_NS6detail17trampoline_kernelINS0_14default_configENS1_21merge_config_selectorIyNS0_10empty_typeEEEZNS1_10merge_implIS3_N6thrust23THRUST_200600_302600_NS6detail15normal_iteratorINS9_10device_ptrIKyEEEESF_NSB_INSC_IyEEEEPS5_SI_SI_NS9_7greaterIyEEEE10hipError_tPvRmT0_T1_T2_T3_T4_T5_mmT6_P12ihipStream_tbEUlT_E0_NS1_11comp_targetILNS1_3genE9ELNS1_11target_archE1100ELNS1_3gpuE3ELNS1_3repE0EEENS1_30default_config_static_selectorELNS0_4arch9wavefront6targetE1EEEvSP_
	.globl	_ZN7rocprim17ROCPRIM_400000_NS6detail17trampoline_kernelINS0_14default_configENS1_21merge_config_selectorIyNS0_10empty_typeEEEZNS1_10merge_implIS3_N6thrust23THRUST_200600_302600_NS6detail15normal_iteratorINS9_10device_ptrIKyEEEESF_NSB_INSC_IyEEEEPS5_SI_SI_NS9_7greaterIyEEEE10hipError_tPvRmT0_T1_T2_T3_T4_T5_mmT6_P12ihipStream_tbEUlT_E0_NS1_11comp_targetILNS1_3genE9ELNS1_11target_archE1100ELNS1_3gpuE3ELNS1_3repE0EEENS1_30default_config_static_selectorELNS0_4arch9wavefront6targetE1EEEvSP_
	.p2align	8
	.type	_ZN7rocprim17ROCPRIM_400000_NS6detail17trampoline_kernelINS0_14default_configENS1_21merge_config_selectorIyNS0_10empty_typeEEEZNS1_10merge_implIS3_N6thrust23THRUST_200600_302600_NS6detail15normal_iteratorINS9_10device_ptrIKyEEEESF_NSB_INSC_IyEEEEPS5_SI_SI_NS9_7greaterIyEEEE10hipError_tPvRmT0_T1_T2_T3_T4_T5_mmT6_P12ihipStream_tbEUlT_E0_NS1_11comp_targetILNS1_3genE9ELNS1_11target_archE1100ELNS1_3gpuE3ELNS1_3repE0EEENS1_30default_config_static_selectorELNS0_4arch9wavefront6targetE1EEEvSP_,@function
_ZN7rocprim17ROCPRIM_400000_NS6detail17trampoline_kernelINS0_14default_configENS1_21merge_config_selectorIyNS0_10empty_typeEEEZNS1_10merge_implIS3_N6thrust23THRUST_200600_302600_NS6detail15normal_iteratorINS9_10device_ptrIKyEEEESF_NSB_INSC_IyEEEEPS5_SI_SI_NS9_7greaterIyEEEE10hipError_tPvRmT0_T1_T2_T3_T4_T5_mmT6_P12ihipStream_tbEUlT_E0_NS1_11comp_targetILNS1_3genE9ELNS1_11target_archE1100ELNS1_3gpuE3ELNS1_3repE0EEENS1_30default_config_static_selectorELNS0_4arch9wavefront6targetE1EEEvSP_: ; @_ZN7rocprim17ROCPRIM_400000_NS6detail17trampoline_kernelINS0_14default_configENS1_21merge_config_selectorIyNS0_10empty_typeEEEZNS1_10merge_implIS3_N6thrust23THRUST_200600_302600_NS6detail15normal_iteratorINS9_10device_ptrIKyEEEESF_NSB_INSC_IyEEEEPS5_SI_SI_NS9_7greaterIyEEEE10hipError_tPvRmT0_T1_T2_T3_T4_T5_mmT6_P12ihipStream_tbEUlT_E0_NS1_11comp_targetILNS1_3genE9ELNS1_11target_archE1100ELNS1_3gpuE3ELNS1_3repE0EEENS1_30default_config_static_selectorELNS0_4arch9wavefront6targetE1EEEvSP_
; %bb.0:
	.section	.rodata,"a",@progbits
	.p2align	6, 0x0
	.amdhsa_kernel _ZN7rocprim17ROCPRIM_400000_NS6detail17trampoline_kernelINS0_14default_configENS1_21merge_config_selectorIyNS0_10empty_typeEEEZNS1_10merge_implIS3_N6thrust23THRUST_200600_302600_NS6detail15normal_iteratorINS9_10device_ptrIKyEEEESF_NSB_INSC_IyEEEEPS5_SI_SI_NS9_7greaterIyEEEE10hipError_tPvRmT0_T1_T2_T3_T4_T5_mmT6_P12ihipStream_tbEUlT_E0_NS1_11comp_targetILNS1_3genE9ELNS1_11target_archE1100ELNS1_3gpuE3ELNS1_3repE0EEENS1_30default_config_static_selectorELNS0_4arch9wavefront6targetE1EEEvSP_
		.amdhsa_group_segment_fixed_size 0
		.amdhsa_private_segment_fixed_size 0
		.amdhsa_kernarg_size 88
		.amdhsa_user_sgpr_count 6
		.amdhsa_user_sgpr_private_segment_buffer 1
		.amdhsa_user_sgpr_dispatch_ptr 0
		.amdhsa_user_sgpr_queue_ptr 0
		.amdhsa_user_sgpr_kernarg_segment_ptr 1
		.amdhsa_user_sgpr_dispatch_id 0
		.amdhsa_user_sgpr_flat_scratch_init 0
		.amdhsa_user_sgpr_kernarg_preload_length 0
		.amdhsa_user_sgpr_kernarg_preload_offset 0
		.amdhsa_user_sgpr_private_segment_size 0
		.amdhsa_uses_dynamic_stack 0
		.amdhsa_system_sgpr_private_segment_wavefront_offset 0
		.amdhsa_system_sgpr_workgroup_id_x 1
		.amdhsa_system_sgpr_workgroup_id_y 0
		.amdhsa_system_sgpr_workgroup_id_z 0
		.amdhsa_system_sgpr_workgroup_info 0
		.amdhsa_system_vgpr_workitem_id 0
		.amdhsa_next_free_vgpr 1
		.amdhsa_next_free_sgpr 0
		.amdhsa_accum_offset 4
		.amdhsa_reserve_vcc 0
		.amdhsa_reserve_flat_scratch 0
		.amdhsa_float_round_mode_32 0
		.amdhsa_float_round_mode_16_64 0
		.amdhsa_float_denorm_mode_32 3
		.amdhsa_float_denorm_mode_16_64 3
		.amdhsa_dx10_clamp 1
		.amdhsa_ieee_mode 1
		.amdhsa_fp16_overflow 0
		.amdhsa_tg_split 0
		.amdhsa_exception_fp_ieee_invalid_op 0
		.amdhsa_exception_fp_denorm_src 0
		.amdhsa_exception_fp_ieee_div_zero 0
		.amdhsa_exception_fp_ieee_overflow 0
		.amdhsa_exception_fp_ieee_underflow 0
		.amdhsa_exception_fp_ieee_inexact 0
		.amdhsa_exception_int_div_zero 0
	.end_amdhsa_kernel
	.section	.text._ZN7rocprim17ROCPRIM_400000_NS6detail17trampoline_kernelINS0_14default_configENS1_21merge_config_selectorIyNS0_10empty_typeEEEZNS1_10merge_implIS3_N6thrust23THRUST_200600_302600_NS6detail15normal_iteratorINS9_10device_ptrIKyEEEESF_NSB_INSC_IyEEEEPS5_SI_SI_NS9_7greaterIyEEEE10hipError_tPvRmT0_T1_T2_T3_T4_T5_mmT6_P12ihipStream_tbEUlT_E0_NS1_11comp_targetILNS1_3genE9ELNS1_11target_archE1100ELNS1_3gpuE3ELNS1_3repE0EEENS1_30default_config_static_selectorELNS0_4arch9wavefront6targetE1EEEvSP_,"axG",@progbits,_ZN7rocprim17ROCPRIM_400000_NS6detail17trampoline_kernelINS0_14default_configENS1_21merge_config_selectorIyNS0_10empty_typeEEEZNS1_10merge_implIS3_N6thrust23THRUST_200600_302600_NS6detail15normal_iteratorINS9_10device_ptrIKyEEEESF_NSB_INSC_IyEEEEPS5_SI_SI_NS9_7greaterIyEEEE10hipError_tPvRmT0_T1_T2_T3_T4_T5_mmT6_P12ihipStream_tbEUlT_E0_NS1_11comp_targetILNS1_3genE9ELNS1_11target_archE1100ELNS1_3gpuE3ELNS1_3repE0EEENS1_30default_config_static_selectorELNS0_4arch9wavefront6targetE1EEEvSP_,comdat
.Lfunc_end513:
	.size	_ZN7rocprim17ROCPRIM_400000_NS6detail17trampoline_kernelINS0_14default_configENS1_21merge_config_selectorIyNS0_10empty_typeEEEZNS1_10merge_implIS3_N6thrust23THRUST_200600_302600_NS6detail15normal_iteratorINS9_10device_ptrIKyEEEESF_NSB_INSC_IyEEEEPS5_SI_SI_NS9_7greaterIyEEEE10hipError_tPvRmT0_T1_T2_T3_T4_T5_mmT6_P12ihipStream_tbEUlT_E0_NS1_11comp_targetILNS1_3genE9ELNS1_11target_archE1100ELNS1_3gpuE3ELNS1_3repE0EEENS1_30default_config_static_selectorELNS0_4arch9wavefront6targetE1EEEvSP_, .Lfunc_end513-_ZN7rocprim17ROCPRIM_400000_NS6detail17trampoline_kernelINS0_14default_configENS1_21merge_config_selectorIyNS0_10empty_typeEEEZNS1_10merge_implIS3_N6thrust23THRUST_200600_302600_NS6detail15normal_iteratorINS9_10device_ptrIKyEEEESF_NSB_INSC_IyEEEEPS5_SI_SI_NS9_7greaterIyEEEE10hipError_tPvRmT0_T1_T2_T3_T4_T5_mmT6_P12ihipStream_tbEUlT_E0_NS1_11comp_targetILNS1_3genE9ELNS1_11target_archE1100ELNS1_3gpuE3ELNS1_3repE0EEENS1_30default_config_static_selectorELNS0_4arch9wavefront6targetE1EEEvSP_
                                        ; -- End function
	.section	.AMDGPU.csdata,"",@progbits
; Kernel info:
; codeLenInByte = 0
; NumSgprs: 4
; NumVgprs: 0
; NumAgprs: 0
; TotalNumVgprs: 0
; ScratchSize: 0
; MemoryBound: 0
; FloatMode: 240
; IeeeMode: 1
; LDSByteSize: 0 bytes/workgroup (compile time only)
; SGPRBlocks: 0
; VGPRBlocks: 0
; NumSGPRsForWavesPerEU: 4
; NumVGPRsForWavesPerEU: 1
; AccumOffset: 4
; Occupancy: 8
; WaveLimiterHint : 0
; COMPUTE_PGM_RSRC2:SCRATCH_EN: 0
; COMPUTE_PGM_RSRC2:USER_SGPR: 6
; COMPUTE_PGM_RSRC2:TRAP_HANDLER: 0
; COMPUTE_PGM_RSRC2:TGID_X_EN: 1
; COMPUTE_PGM_RSRC2:TGID_Y_EN: 0
; COMPUTE_PGM_RSRC2:TGID_Z_EN: 0
; COMPUTE_PGM_RSRC2:TIDIG_COMP_CNT: 0
; COMPUTE_PGM_RSRC3_GFX90A:ACCUM_OFFSET: 0
; COMPUTE_PGM_RSRC3_GFX90A:TG_SPLIT: 0
	.section	.text._ZN7rocprim17ROCPRIM_400000_NS6detail17trampoline_kernelINS0_14default_configENS1_21merge_config_selectorIyNS0_10empty_typeEEEZNS1_10merge_implIS3_N6thrust23THRUST_200600_302600_NS6detail15normal_iteratorINS9_10device_ptrIKyEEEESF_NSB_INSC_IyEEEEPS5_SI_SI_NS9_7greaterIyEEEE10hipError_tPvRmT0_T1_T2_T3_T4_T5_mmT6_P12ihipStream_tbEUlT_E0_NS1_11comp_targetILNS1_3genE8ELNS1_11target_archE1030ELNS1_3gpuE2ELNS1_3repE0EEENS1_30default_config_static_selectorELNS0_4arch9wavefront6targetE1EEEvSP_,"axG",@progbits,_ZN7rocprim17ROCPRIM_400000_NS6detail17trampoline_kernelINS0_14default_configENS1_21merge_config_selectorIyNS0_10empty_typeEEEZNS1_10merge_implIS3_N6thrust23THRUST_200600_302600_NS6detail15normal_iteratorINS9_10device_ptrIKyEEEESF_NSB_INSC_IyEEEEPS5_SI_SI_NS9_7greaterIyEEEE10hipError_tPvRmT0_T1_T2_T3_T4_T5_mmT6_P12ihipStream_tbEUlT_E0_NS1_11comp_targetILNS1_3genE8ELNS1_11target_archE1030ELNS1_3gpuE2ELNS1_3repE0EEENS1_30default_config_static_selectorELNS0_4arch9wavefront6targetE1EEEvSP_,comdat
	.protected	_ZN7rocprim17ROCPRIM_400000_NS6detail17trampoline_kernelINS0_14default_configENS1_21merge_config_selectorIyNS0_10empty_typeEEEZNS1_10merge_implIS3_N6thrust23THRUST_200600_302600_NS6detail15normal_iteratorINS9_10device_ptrIKyEEEESF_NSB_INSC_IyEEEEPS5_SI_SI_NS9_7greaterIyEEEE10hipError_tPvRmT0_T1_T2_T3_T4_T5_mmT6_P12ihipStream_tbEUlT_E0_NS1_11comp_targetILNS1_3genE8ELNS1_11target_archE1030ELNS1_3gpuE2ELNS1_3repE0EEENS1_30default_config_static_selectorELNS0_4arch9wavefront6targetE1EEEvSP_ ; -- Begin function _ZN7rocprim17ROCPRIM_400000_NS6detail17trampoline_kernelINS0_14default_configENS1_21merge_config_selectorIyNS0_10empty_typeEEEZNS1_10merge_implIS3_N6thrust23THRUST_200600_302600_NS6detail15normal_iteratorINS9_10device_ptrIKyEEEESF_NSB_INSC_IyEEEEPS5_SI_SI_NS9_7greaterIyEEEE10hipError_tPvRmT0_T1_T2_T3_T4_T5_mmT6_P12ihipStream_tbEUlT_E0_NS1_11comp_targetILNS1_3genE8ELNS1_11target_archE1030ELNS1_3gpuE2ELNS1_3repE0EEENS1_30default_config_static_selectorELNS0_4arch9wavefront6targetE1EEEvSP_
	.globl	_ZN7rocprim17ROCPRIM_400000_NS6detail17trampoline_kernelINS0_14default_configENS1_21merge_config_selectorIyNS0_10empty_typeEEEZNS1_10merge_implIS3_N6thrust23THRUST_200600_302600_NS6detail15normal_iteratorINS9_10device_ptrIKyEEEESF_NSB_INSC_IyEEEEPS5_SI_SI_NS9_7greaterIyEEEE10hipError_tPvRmT0_T1_T2_T3_T4_T5_mmT6_P12ihipStream_tbEUlT_E0_NS1_11comp_targetILNS1_3genE8ELNS1_11target_archE1030ELNS1_3gpuE2ELNS1_3repE0EEENS1_30default_config_static_selectorELNS0_4arch9wavefront6targetE1EEEvSP_
	.p2align	8
	.type	_ZN7rocprim17ROCPRIM_400000_NS6detail17trampoline_kernelINS0_14default_configENS1_21merge_config_selectorIyNS0_10empty_typeEEEZNS1_10merge_implIS3_N6thrust23THRUST_200600_302600_NS6detail15normal_iteratorINS9_10device_ptrIKyEEEESF_NSB_INSC_IyEEEEPS5_SI_SI_NS9_7greaterIyEEEE10hipError_tPvRmT0_T1_T2_T3_T4_T5_mmT6_P12ihipStream_tbEUlT_E0_NS1_11comp_targetILNS1_3genE8ELNS1_11target_archE1030ELNS1_3gpuE2ELNS1_3repE0EEENS1_30default_config_static_selectorELNS0_4arch9wavefront6targetE1EEEvSP_,@function
_ZN7rocprim17ROCPRIM_400000_NS6detail17trampoline_kernelINS0_14default_configENS1_21merge_config_selectorIyNS0_10empty_typeEEEZNS1_10merge_implIS3_N6thrust23THRUST_200600_302600_NS6detail15normal_iteratorINS9_10device_ptrIKyEEEESF_NSB_INSC_IyEEEEPS5_SI_SI_NS9_7greaterIyEEEE10hipError_tPvRmT0_T1_T2_T3_T4_T5_mmT6_P12ihipStream_tbEUlT_E0_NS1_11comp_targetILNS1_3genE8ELNS1_11target_archE1030ELNS1_3gpuE2ELNS1_3repE0EEENS1_30default_config_static_selectorELNS0_4arch9wavefront6targetE1EEEvSP_: ; @_ZN7rocprim17ROCPRIM_400000_NS6detail17trampoline_kernelINS0_14default_configENS1_21merge_config_selectorIyNS0_10empty_typeEEEZNS1_10merge_implIS3_N6thrust23THRUST_200600_302600_NS6detail15normal_iteratorINS9_10device_ptrIKyEEEESF_NSB_INSC_IyEEEEPS5_SI_SI_NS9_7greaterIyEEEE10hipError_tPvRmT0_T1_T2_T3_T4_T5_mmT6_P12ihipStream_tbEUlT_E0_NS1_11comp_targetILNS1_3genE8ELNS1_11target_archE1030ELNS1_3gpuE2ELNS1_3repE0EEENS1_30default_config_static_selectorELNS0_4arch9wavefront6targetE1EEEvSP_
; %bb.0:
	.section	.rodata,"a",@progbits
	.p2align	6, 0x0
	.amdhsa_kernel _ZN7rocprim17ROCPRIM_400000_NS6detail17trampoline_kernelINS0_14default_configENS1_21merge_config_selectorIyNS0_10empty_typeEEEZNS1_10merge_implIS3_N6thrust23THRUST_200600_302600_NS6detail15normal_iteratorINS9_10device_ptrIKyEEEESF_NSB_INSC_IyEEEEPS5_SI_SI_NS9_7greaterIyEEEE10hipError_tPvRmT0_T1_T2_T3_T4_T5_mmT6_P12ihipStream_tbEUlT_E0_NS1_11comp_targetILNS1_3genE8ELNS1_11target_archE1030ELNS1_3gpuE2ELNS1_3repE0EEENS1_30default_config_static_selectorELNS0_4arch9wavefront6targetE1EEEvSP_
		.amdhsa_group_segment_fixed_size 0
		.amdhsa_private_segment_fixed_size 0
		.amdhsa_kernarg_size 88
		.amdhsa_user_sgpr_count 6
		.amdhsa_user_sgpr_private_segment_buffer 1
		.amdhsa_user_sgpr_dispatch_ptr 0
		.amdhsa_user_sgpr_queue_ptr 0
		.amdhsa_user_sgpr_kernarg_segment_ptr 1
		.amdhsa_user_sgpr_dispatch_id 0
		.amdhsa_user_sgpr_flat_scratch_init 0
		.amdhsa_user_sgpr_kernarg_preload_length 0
		.amdhsa_user_sgpr_kernarg_preload_offset 0
		.amdhsa_user_sgpr_private_segment_size 0
		.amdhsa_uses_dynamic_stack 0
		.amdhsa_system_sgpr_private_segment_wavefront_offset 0
		.amdhsa_system_sgpr_workgroup_id_x 1
		.amdhsa_system_sgpr_workgroup_id_y 0
		.amdhsa_system_sgpr_workgroup_id_z 0
		.amdhsa_system_sgpr_workgroup_info 0
		.amdhsa_system_vgpr_workitem_id 0
		.amdhsa_next_free_vgpr 1
		.amdhsa_next_free_sgpr 0
		.amdhsa_accum_offset 4
		.amdhsa_reserve_vcc 0
		.amdhsa_reserve_flat_scratch 0
		.amdhsa_float_round_mode_32 0
		.amdhsa_float_round_mode_16_64 0
		.amdhsa_float_denorm_mode_32 3
		.amdhsa_float_denorm_mode_16_64 3
		.amdhsa_dx10_clamp 1
		.amdhsa_ieee_mode 1
		.amdhsa_fp16_overflow 0
		.amdhsa_tg_split 0
		.amdhsa_exception_fp_ieee_invalid_op 0
		.amdhsa_exception_fp_denorm_src 0
		.amdhsa_exception_fp_ieee_div_zero 0
		.amdhsa_exception_fp_ieee_overflow 0
		.amdhsa_exception_fp_ieee_underflow 0
		.amdhsa_exception_fp_ieee_inexact 0
		.amdhsa_exception_int_div_zero 0
	.end_amdhsa_kernel
	.section	.text._ZN7rocprim17ROCPRIM_400000_NS6detail17trampoline_kernelINS0_14default_configENS1_21merge_config_selectorIyNS0_10empty_typeEEEZNS1_10merge_implIS3_N6thrust23THRUST_200600_302600_NS6detail15normal_iteratorINS9_10device_ptrIKyEEEESF_NSB_INSC_IyEEEEPS5_SI_SI_NS9_7greaterIyEEEE10hipError_tPvRmT0_T1_T2_T3_T4_T5_mmT6_P12ihipStream_tbEUlT_E0_NS1_11comp_targetILNS1_3genE8ELNS1_11target_archE1030ELNS1_3gpuE2ELNS1_3repE0EEENS1_30default_config_static_selectorELNS0_4arch9wavefront6targetE1EEEvSP_,"axG",@progbits,_ZN7rocprim17ROCPRIM_400000_NS6detail17trampoline_kernelINS0_14default_configENS1_21merge_config_selectorIyNS0_10empty_typeEEEZNS1_10merge_implIS3_N6thrust23THRUST_200600_302600_NS6detail15normal_iteratorINS9_10device_ptrIKyEEEESF_NSB_INSC_IyEEEEPS5_SI_SI_NS9_7greaterIyEEEE10hipError_tPvRmT0_T1_T2_T3_T4_T5_mmT6_P12ihipStream_tbEUlT_E0_NS1_11comp_targetILNS1_3genE8ELNS1_11target_archE1030ELNS1_3gpuE2ELNS1_3repE0EEENS1_30default_config_static_selectorELNS0_4arch9wavefront6targetE1EEEvSP_,comdat
.Lfunc_end514:
	.size	_ZN7rocprim17ROCPRIM_400000_NS6detail17trampoline_kernelINS0_14default_configENS1_21merge_config_selectorIyNS0_10empty_typeEEEZNS1_10merge_implIS3_N6thrust23THRUST_200600_302600_NS6detail15normal_iteratorINS9_10device_ptrIKyEEEESF_NSB_INSC_IyEEEEPS5_SI_SI_NS9_7greaterIyEEEE10hipError_tPvRmT0_T1_T2_T3_T4_T5_mmT6_P12ihipStream_tbEUlT_E0_NS1_11comp_targetILNS1_3genE8ELNS1_11target_archE1030ELNS1_3gpuE2ELNS1_3repE0EEENS1_30default_config_static_selectorELNS0_4arch9wavefront6targetE1EEEvSP_, .Lfunc_end514-_ZN7rocprim17ROCPRIM_400000_NS6detail17trampoline_kernelINS0_14default_configENS1_21merge_config_selectorIyNS0_10empty_typeEEEZNS1_10merge_implIS3_N6thrust23THRUST_200600_302600_NS6detail15normal_iteratorINS9_10device_ptrIKyEEEESF_NSB_INSC_IyEEEEPS5_SI_SI_NS9_7greaterIyEEEE10hipError_tPvRmT0_T1_T2_T3_T4_T5_mmT6_P12ihipStream_tbEUlT_E0_NS1_11comp_targetILNS1_3genE8ELNS1_11target_archE1030ELNS1_3gpuE2ELNS1_3repE0EEENS1_30default_config_static_selectorELNS0_4arch9wavefront6targetE1EEEvSP_
                                        ; -- End function
	.section	.AMDGPU.csdata,"",@progbits
; Kernel info:
; codeLenInByte = 0
; NumSgprs: 4
; NumVgprs: 0
; NumAgprs: 0
; TotalNumVgprs: 0
; ScratchSize: 0
; MemoryBound: 0
; FloatMode: 240
; IeeeMode: 1
; LDSByteSize: 0 bytes/workgroup (compile time only)
; SGPRBlocks: 0
; VGPRBlocks: 0
; NumSGPRsForWavesPerEU: 4
; NumVGPRsForWavesPerEU: 1
; AccumOffset: 4
; Occupancy: 8
; WaveLimiterHint : 0
; COMPUTE_PGM_RSRC2:SCRATCH_EN: 0
; COMPUTE_PGM_RSRC2:USER_SGPR: 6
; COMPUTE_PGM_RSRC2:TRAP_HANDLER: 0
; COMPUTE_PGM_RSRC2:TGID_X_EN: 1
; COMPUTE_PGM_RSRC2:TGID_Y_EN: 0
; COMPUTE_PGM_RSRC2:TGID_Z_EN: 0
; COMPUTE_PGM_RSRC2:TIDIG_COMP_CNT: 0
; COMPUTE_PGM_RSRC3_GFX90A:ACCUM_OFFSET: 0
; COMPUTE_PGM_RSRC3_GFX90A:TG_SPLIT: 0
	.section	.text._ZN7rocprim17ROCPRIM_400000_NS6detail17trampoline_kernelINS0_14default_configENS1_21merge_config_selectorIjNS0_10empty_typeEEEZNS1_10merge_implIS3_N6thrust23THRUST_200600_302600_NS6detail15normal_iteratorINS9_10device_ptrIKjEEEESF_NSB_INSC_IjEEEEPS5_SI_SI_NS9_7greaterIjEEEE10hipError_tPvRmT0_T1_T2_T3_T4_T5_mmT6_P12ihipStream_tbEUlT_E_NS1_11comp_targetILNS1_3genE0ELNS1_11target_archE4294967295ELNS1_3gpuE0ELNS1_3repE0EEENS1_30default_config_static_selectorELNS0_4arch9wavefront6targetE1EEEvSP_,"axG",@progbits,_ZN7rocprim17ROCPRIM_400000_NS6detail17trampoline_kernelINS0_14default_configENS1_21merge_config_selectorIjNS0_10empty_typeEEEZNS1_10merge_implIS3_N6thrust23THRUST_200600_302600_NS6detail15normal_iteratorINS9_10device_ptrIKjEEEESF_NSB_INSC_IjEEEEPS5_SI_SI_NS9_7greaterIjEEEE10hipError_tPvRmT0_T1_T2_T3_T4_T5_mmT6_P12ihipStream_tbEUlT_E_NS1_11comp_targetILNS1_3genE0ELNS1_11target_archE4294967295ELNS1_3gpuE0ELNS1_3repE0EEENS1_30default_config_static_selectorELNS0_4arch9wavefront6targetE1EEEvSP_,comdat
	.protected	_ZN7rocprim17ROCPRIM_400000_NS6detail17trampoline_kernelINS0_14default_configENS1_21merge_config_selectorIjNS0_10empty_typeEEEZNS1_10merge_implIS3_N6thrust23THRUST_200600_302600_NS6detail15normal_iteratorINS9_10device_ptrIKjEEEESF_NSB_INSC_IjEEEEPS5_SI_SI_NS9_7greaterIjEEEE10hipError_tPvRmT0_T1_T2_T3_T4_T5_mmT6_P12ihipStream_tbEUlT_E_NS1_11comp_targetILNS1_3genE0ELNS1_11target_archE4294967295ELNS1_3gpuE0ELNS1_3repE0EEENS1_30default_config_static_selectorELNS0_4arch9wavefront6targetE1EEEvSP_ ; -- Begin function _ZN7rocprim17ROCPRIM_400000_NS6detail17trampoline_kernelINS0_14default_configENS1_21merge_config_selectorIjNS0_10empty_typeEEEZNS1_10merge_implIS3_N6thrust23THRUST_200600_302600_NS6detail15normal_iteratorINS9_10device_ptrIKjEEEESF_NSB_INSC_IjEEEEPS5_SI_SI_NS9_7greaterIjEEEE10hipError_tPvRmT0_T1_T2_T3_T4_T5_mmT6_P12ihipStream_tbEUlT_E_NS1_11comp_targetILNS1_3genE0ELNS1_11target_archE4294967295ELNS1_3gpuE0ELNS1_3repE0EEENS1_30default_config_static_selectorELNS0_4arch9wavefront6targetE1EEEvSP_
	.globl	_ZN7rocprim17ROCPRIM_400000_NS6detail17trampoline_kernelINS0_14default_configENS1_21merge_config_selectorIjNS0_10empty_typeEEEZNS1_10merge_implIS3_N6thrust23THRUST_200600_302600_NS6detail15normal_iteratorINS9_10device_ptrIKjEEEESF_NSB_INSC_IjEEEEPS5_SI_SI_NS9_7greaterIjEEEE10hipError_tPvRmT0_T1_T2_T3_T4_T5_mmT6_P12ihipStream_tbEUlT_E_NS1_11comp_targetILNS1_3genE0ELNS1_11target_archE4294967295ELNS1_3gpuE0ELNS1_3repE0EEENS1_30default_config_static_selectorELNS0_4arch9wavefront6targetE1EEEvSP_
	.p2align	8
	.type	_ZN7rocprim17ROCPRIM_400000_NS6detail17trampoline_kernelINS0_14default_configENS1_21merge_config_selectorIjNS0_10empty_typeEEEZNS1_10merge_implIS3_N6thrust23THRUST_200600_302600_NS6detail15normal_iteratorINS9_10device_ptrIKjEEEESF_NSB_INSC_IjEEEEPS5_SI_SI_NS9_7greaterIjEEEE10hipError_tPvRmT0_T1_T2_T3_T4_T5_mmT6_P12ihipStream_tbEUlT_E_NS1_11comp_targetILNS1_3genE0ELNS1_11target_archE4294967295ELNS1_3gpuE0ELNS1_3repE0EEENS1_30default_config_static_selectorELNS0_4arch9wavefront6targetE1EEEvSP_,@function
_ZN7rocprim17ROCPRIM_400000_NS6detail17trampoline_kernelINS0_14default_configENS1_21merge_config_selectorIjNS0_10empty_typeEEEZNS1_10merge_implIS3_N6thrust23THRUST_200600_302600_NS6detail15normal_iteratorINS9_10device_ptrIKjEEEESF_NSB_INSC_IjEEEEPS5_SI_SI_NS9_7greaterIjEEEE10hipError_tPvRmT0_T1_T2_T3_T4_T5_mmT6_P12ihipStream_tbEUlT_E_NS1_11comp_targetILNS1_3genE0ELNS1_11target_archE4294967295ELNS1_3gpuE0ELNS1_3repE0EEENS1_30default_config_static_selectorELNS0_4arch9wavefront6targetE1EEEvSP_: ; @_ZN7rocprim17ROCPRIM_400000_NS6detail17trampoline_kernelINS0_14default_configENS1_21merge_config_selectorIjNS0_10empty_typeEEEZNS1_10merge_implIS3_N6thrust23THRUST_200600_302600_NS6detail15normal_iteratorINS9_10device_ptrIKjEEEESF_NSB_INSC_IjEEEEPS5_SI_SI_NS9_7greaterIjEEEE10hipError_tPvRmT0_T1_T2_T3_T4_T5_mmT6_P12ihipStream_tbEUlT_E_NS1_11comp_targetILNS1_3genE0ELNS1_11target_archE4294967295ELNS1_3gpuE0ELNS1_3repE0EEENS1_30default_config_static_selectorELNS0_4arch9wavefront6targetE1EEEvSP_
; %bb.0:
	.section	.rodata,"a",@progbits
	.p2align	6, 0x0
	.amdhsa_kernel _ZN7rocprim17ROCPRIM_400000_NS6detail17trampoline_kernelINS0_14default_configENS1_21merge_config_selectorIjNS0_10empty_typeEEEZNS1_10merge_implIS3_N6thrust23THRUST_200600_302600_NS6detail15normal_iteratorINS9_10device_ptrIKjEEEESF_NSB_INSC_IjEEEEPS5_SI_SI_NS9_7greaterIjEEEE10hipError_tPvRmT0_T1_T2_T3_T4_T5_mmT6_P12ihipStream_tbEUlT_E_NS1_11comp_targetILNS1_3genE0ELNS1_11target_archE4294967295ELNS1_3gpuE0ELNS1_3repE0EEENS1_30default_config_static_selectorELNS0_4arch9wavefront6targetE1EEEvSP_
		.amdhsa_group_segment_fixed_size 0
		.amdhsa_private_segment_fixed_size 0
		.amdhsa_kernarg_size 48
		.amdhsa_user_sgpr_count 6
		.amdhsa_user_sgpr_private_segment_buffer 1
		.amdhsa_user_sgpr_dispatch_ptr 0
		.amdhsa_user_sgpr_queue_ptr 0
		.amdhsa_user_sgpr_kernarg_segment_ptr 1
		.amdhsa_user_sgpr_dispatch_id 0
		.amdhsa_user_sgpr_flat_scratch_init 0
		.amdhsa_user_sgpr_kernarg_preload_length 0
		.amdhsa_user_sgpr_kernarg_preload_offset 0
		.amdhsa_user_sgpr_private_segment_size 0
		.amdhsa_uses_dynamic_stack 0
		.amdhsa_system_sgpr_private_segment_wavefront_offset 0
		.amdhsa_system_sgpr_workgroup_id_x 1
		.amdhsa_system_sgpr_workgroup_id_y 0
		.amdhsa_system_sgpr_workgroup_id_z 0
		.amdhsa_system_sgpr_workgroup_info 0
		.amdhsa_system_vgpr_workitem_id 0
		.amdhsa_next_free_vgpr 1
		.amdhsa_next_free_sgpr 0
		.amdhsa_accum_offset 4
		.amdhsa_reserve_vcc 0
		.amdhsa_reserve_flat_scratch 0
		.amdhsa_float_round_mode_32 0
		.amdhsa_float_round_mode_16_64 0
		.amdhsa_float_denorm_mode_32 3
		.amdhsa_float_denorm_mode_16_64 3
		.amdhsa_dx10_clamp 1
		.amdhsa_ieee_mode 1
		.amdhsa_fp16_overflow 0
		.amdhsa_tg_split 0
		.amdhsa_exception_fp_ieee_invalid_op 0
		.amdhsa_exception_fp_denorm_src 0
		.amdhsa_exception_fp_ieee_div_zero 0
		.amdhsa_exception_fp_ieee_overflow 0
		.amdhsa_exception_fp_ieee_underflow 0
		.amdhsa_exception_fp_ieee_inexact 0
		.amdhsa_exception_int_div_zero 0
	.end_amdhsa_kernel
	.section	.text._ZN7rocprim17ROCPRIM_400000_NS6detail17trampoline_kernelINS0_14default_configENS1_21merge_config_selectorIjNS0_10empty_typeEEEZNS1_10merge_implIS3_N6thrust23THRUST_200600_302600_NS6detail15normal_iteratorINS9_10device_ptrIKjEEEESF_NSB_INSC_IjEEEEPS5_SI_SI_NS9_7greaterIjEEEE10hipError_tPvRmT0_T1_T2_T3_T4_T5_mmT6_P12ihipStream_tbEUlT_E_NS1_11comp_targetILNS1_3genE0ELNS1_11target_archE4294967295ELNS1_3gpuE0ELNS1_3repE0EEENS1_30default_config_static_selectorELNS0_4arch9wavefront6targetE1EEEvSP_,"axG",@progbits,_ZN7rocprim17ROCPRIM_400000_NS6detail17trampoline_kernelINS0_14default_configENS1_21merge_config_selectorIjNS0_10empty_typeEEEZNS1_10merge_implIS3_N6thrust23THRUST_200600_302600_NS6detail15normal_iteratorINS9_10device_ptrIKjEEEESF_NSB_INSC_IjEEEEPS5_SI_SI_NS9_7greaterIjEEEE10hipError_tPvRmT0_T1_T2_T3_T4_T5_mmT6_P12ihipStream_tbEUlT_E_NS1_11comp_targetILNS1_3genE0ELNS1_11target_archE4294967295ELNS1_3gpuE0ELNS1_3repE0EEENS1_30default_config_static_selectorELNS0_4arch9wavefront6targetE1EEEvSP_,comdat
.Lfunc_end515:
	.size	_ZN7rocprim17ROCPRIM_400000_NS6detail17trampoline_kernelINS0_14default_configENS1_21merge_config_selectorIjNS0_10empty_typeEEEZNS1_10merge_implIS3_N6thrust23THRUST_200600_302600_NS6detail15normal_iteratorINS9_10device_ptrIKjEEEESF_NSB_INSC_IjEEEEPS5_SI_SI_NS9_7greaterIjEEEE10hipError_tPvRmT0_T1_T2_T3_T4_T5_mmT6_P12ihipStream_tbEUlT_E_NS1_11comp_targetILNS1_3genE0ELNS1_11target_archE4294967295ELNS1_3gpuE0ELNS1_3repE0EEENS1_30default_config_static_selectorELNS0_4arch9wavefront6targetE1EEEvSP_, .Lfunc_end515-_ZN7rocprim17ROCPRIM_400000_NS6detail17trampoline_kernelINS0_14default_configENS1_21merge_config_selectorIjNS0_10empty_typeEEEZNS1_10merge_implIS3_N6thrust23THRUST_200600_302600_NS6detail15normal_iteratorINS9_10device_ptrIKjEEEESF_NSB_INSC_IjEEEEPS5_SI_SI_NS9_7greaterIjEEEE10hipError_tPvRmT0_T1_T2_T3_T4_T5_mmT6_P12ihipStream_tbEUlT_E_NS1_11comp_targetILNS1_3genE0ELNS1_11target_archE4294967295ELNS1_3gpuE0ELNS1_3repE0EEENS1_30default_config_static_selectorELNS0_4arch9wavefront6targetE1EEEvSP_
                                        ; -- End function
	.section	.AMDGPU.csdata,"",@progbits
; Kernel info:
; codeLenInByte = 0
; NumSgprs: 4
; NumVgprs: 0
; NumAgprs: 0
; TotalNumVgprs: 0
; ScratchSize: 0
; MemoryBound: 0
; FloatMode: 240
; IeeeMode: 1
; LDSByteSize: 0 bytes/workgroup (compile time only)
; SGPRBlocks: 0
; VGPRBlocks: 0
; NumSGPRsForWavesPerEU: 4
; NumVGPRsForWavesPerEU: 1
; AccumOffset: 4
; Occupancy: 8
; WaveLimiterHint : 0
; COMPUTE_PGM_RSRC2:SCRATCH_EN: 0
; COMPUTE_PGM_RSRC2:USER_SGPR: 6
; COMPUTE_PGM_RSRC2:TRAP_HANDLER: 0
; COMPUTE_PGM_RSRC2:TGID_X_EN: 1
; COMPUTE_PGM_RSRC2:TGID_Y_EN: 0
; COMPUTE_PGM_RSRC2:TGID_Z_EN: 0
; COMPUTE_PGM_RSRC2:TIDIG_COMP_CNT: 0
; COMPUTE_PGM_RSRC3_GFX90A:ACCUM_OFFSET: 0
; COMPUTE_PGM_RSRC3_GFX90A:TG_SPLIT: 0
	.section	.text._ZN7rocprim17ROCPRIM_400000_NS6detail17trampoline_kernelINS0_14default_configENS1_21merge_config_selectorIjNS0_10empty_typeEEEZNS1_10merge_implIS3_N6thrust23THRUST_200600_302600_NS6detail15normal_iteratorINS9_10device_ptrIKjEEEESF_NSB_INSC_IjEEEEPS5_SI_SI_NS9_7greaterIjEEEE10hipError_tPvRmT0_T1_T2_T3_T4_T5_mmT6_P12ihipStream_tbEUlT_E_NS1_11comp_targetILNS1_3genE5ELNS1_11target_archE942ELNS1_3gpuE9ELNS1_3repE0EEENS1_30default_config_static_selectorELNS0_4arch9wavefront6targetE1EEEvSP_,"axG",@progbits,_ZN7rocprim17ROCPRIM_400000_NS6detail17trampoline_kernelINS0_14default_configENS1_21merge_config_selectorIjNS0_10empty_typeEEEZNS1_10merge_implIS3_N6thrust23THRUST_200600_302600_NS6detail15normal_iteratorINS9_10device_ptrIKjEEEESF_NSB_INSC_IjEEEEPS5_SI_SI_NS9_7greaterIjEEEE10hipError_tPvRmT0_T1_T2_T3_T4_T5_mmT6_P12ihipStream_tbEUlT_E_NS1_11comp_targetILNS1_3genE5ELNS1_11target_archE942ELNS1_3gpuE9ELNS1_3repE0EEENS1_30default_config_static_selectorELNS0_4arch9wavefront6targetE1EEEvSP_,comdat
	.protected	_ZN7rocprim17ROCPRIM_400000_NS6detail17trampoline_kernelINS0_14default_configENS1_21merge_config_selectorIjNS0_10empty_typeEEEZNS1_10merge_implIS3_N6thrust23THRUST_200600_302600_NS6detail15normal_iteratorINS9_10device_ptrIKjEEEESF_NSB_INSC_IjEEEEPS5_SI_SI_NS9_7greaterIjEEEE10hipError_tPvRmT0_T1_T2_T3_T4_T5_mmT6_P12ihipStream_tbEUlT_E_NS1_11comp_targetILNS1_3genE5ELNS1_11target_archE942ELNS1_3gpuE9ELNS1_3repE0EEENS1_30default_config_static_selectorELNS0_4arch9wavefront6targetE1EEEvSP_ ; -- Begin function _ZN7rocprim17ROCPRIM_400000_NS6detail17trampoline_kernelINS0_14default_configENS1_21merge_config_selectorIjNS0_10empty_typeEEEZNS1_10merge_implIS3_N6thrust23THRUST_200600_302600_NS6detail15normal_iteratorINS9_10device_ptrIKjEEEESF_NSB_INSC_IjEEEEPS5_SI_SI_NS9_7greaterIjEEEE10hipError_tPvRmT0_T1_T2_T3_T4_T5_mmT6_P12ihipStream_tbEUlT_E_NS1_11comp_targetILNS1_3genE5ELNS1_11target_archE942ELNS1_3gpuE9ELNS1_3repE0EEENS1_30default_config_static_selectorELNS0_4arch9wavefront6targetE1EEEvSP_
	.globl	_ZN7rocprim17ROCPRIM_400000_NS6detail17trampoline_kernelINS0_14default_configENS1_21merge_config_selectorIjNS0_10empty_typeEEEZNS1_10merge_implIS3_N6thrust23THRUST_200600_302600_NS6detail15normal_iteratorINS9_10device_ptrIKjEEEESF_NSB_INSC_IjEEEEPS5_SI_SI_NS9_7greaterIjEEEE10hipError_tPvRmT0_T1_T2_T3_T4_T5_mmT6_P12ihipStream_tbEUlT_E_NS1_11comp_targetILNS1_3genE5ELNS1_11target_archE942ELNS1_3gpuE9ELNS1_3repE0EEENS1_30default_config_static_selectorELNS0_4arch9wavefront6targetE1EEEvSP_
	.p2align	8
	.type	_ZN7rocprim17ROCPRIM_400000_NS6detail17trampoline_kernelINS0_14default_configENS1_21merge_config_selectorIjNS0_10empty_typeEEEZNS1_10merge_implIS3_N6thrust23THRUST_200600_302600_NS6detail15normal_iteratorINS9_10device_ptrIKjEEEESF_NSB_INSC_IjEEEEPS5_SI_SI_NS9_7greaterIjEEEE10hipError_tPvRmT0_T1_T2_T3_T4_T5_mmT6_P12ihipStream_tbEUlT_E_NS1_11comp_targetILNS1_3genE5ELNS1_11target_archE942ELNS1_3gpuE9ELNS1_3repE0EEENS1_30default_config_static_selectorELNS0_4arch9wavefront6targetE1EEEvSP_,@function
_ZN7rocprim17ROCPRIM_400000_NS6detail17trampoline_kernelINS0_14default_configENS1_21merge_config_selectorIjNS0_10empty_typeEEEZNS1_10merge_implIS3_N6thrust23THRUST_200600_302600_NS6detail15normal_iteratorINS9_10device_ptrIKjEEEESF_NSB_INSC_IjEEEEPS5_SI_SI_NS9_7greaterIjEEEE10hipError_tPvRmT0_T1_T2_T3_T4_T5_mmT6_P12ihipStream_tbEUlT_E_NS1_11comp_targetILNS1_3genE5ELNS1_11target_archE942ELNS1_3gpuE9ELNS1_3repE0EEENS1_30default_config_static_selectorELNS0_4arch9wavefront6targetE1EEEvSP_: ; @_ZN7rocprim17ROCPRIM_400000_NS6detail17trampoline_kernelINS0_14default_configENS1_21merge_config_selectorIjNS0_10empty_typeEEEZNS1_10merge_implIS3_N6thrust23THRUST_200600_302600_NS6detail15normal_iteratorINS9_10device_ptrIKjEEEESF_NSB_INSC_IjEEEEPS5_SI_SI_NS9_7greaterIjEEEE10hipError_tPvRmT0_T1_T2_T3_T4_T5_mmT6_P12ihipStream_tbEUlT_E_NS1_11comp_targetILNS1_3genE5ELNS1_11target_archE942ELNS1_3gpuE9ELNS1_3repE0EEENS1_30default_config_static_selectorELNS0_4arch9wavefront6targetE1EEEvSP_
; %bb.0:
	.section	.rodata,"a",@progbits
	.p2align	6, 0x0
	.amdhsa_kernel _ZN7rocprim17ROCPRIM_400000_NS6detail17trampoline_kernelINS0_14default_configENS1_21merge_config_selectorIjNS0_10empty_typeEEEZNS1_10merge_implIS3_N6thrust23THRUST_200600_302600_NS6detail15normal_iteratorINS9_10device_ptrIKjEEEESF_NSB_INSC_IjEEEEPS5_SI_SI_NS9_7greaterIjEEEE10hipError_tPvRmT0_T1_T2_T3_T4_T5_mmT6_P12ihipStream_tbEUlT_E_NS1_11comp_targetILNS1_3genE5ELNS1_11target_archE942ELNS1_3gpuE9ELNS1_3repE0EEENS1_30default_config_static_selectorELNS0_4arch9wavefront6targetE1EEEvSP_
		.amdhsa_group_segment_fixed_size 0
		.amdhsa_private_segment_fixed_size 0
		.amdhsa_kernarg_size 48
		.amdhsa_user_sgpr_count 6
		.amdhsa_user_sgpr_private_segment_buffer 1
		.amdhsa_user_sgpr_dispatch_ptr 0
		.amdhsa_user_sgpr_queue_ptr 0
		.amdhsa_user_sgpr_kernarg_segment_ptr 1
		.amdhsa_user_sgpr_dispatch_id 0
		.amdhsa_user_sgpr_flat_scratch_init 0
		.amdhsa_user_sgpr_kernarg_preload_length 0
		.amdhsa_user_sgpr_kernarg_preload_offset 0
		.amdhsa_user_sgpr_private_segment_size 0
		.amdhsa_uses_dynamic_stack 0
		.amdhsa_system_sgpr_private_segment_wavefront_offset 0
		.amdhsa_system_sgpr_workgroup_id_x 1
		.amdhsa_system_sgpr_workgroup_id_y 0
		.amdhsa_system_sgpr_workgroup_id_z 0
		.amdhsa_system_sgpr_workgroup_info 0
		.amdhsa_system_vgpr_workitem_id 0
		.amdhsa_next_free_vgpr 1
		.amdhsa_next_free_sgpr 0
		.amdhsa_accum_offset 4
		.amdhsa_reserve_vcc 0
		.amdhsa_reserve_flat_scratch 0
		.amdhsa_float_round_mode_32 0
		.amdhsa_float_round_mode_16_64 0
		.amdhsa_float_denorm_mode_32 3
		.amdhsa_float_denorm_mode_16_64 3
		.amdhsa_dx10_clamp 1
		.amdhsa_ieee_mode 1
		.amdhsa_fp16_overflow 0
		.amdhsa_tg_split 0
		.amdhsa_exception_fp_ieee_invalid_op 0
		.amdhsa_exception_fp_denorm_src 0
		.amdhsa_exception_fp_ieee_div_zero 0
		.amdhsa_exception_fp_ieee_overflow 0
		.amdhsa_exception_fp_ieee_underflow 0
		.amdhsa_exception_fp_ieee_inexact 0
		.amdhsa_exception_int_div_zero 0
	.end_amdhsa_kernel
	.section	.text._ZN7rocprim17ROCPRIM_400000_NS6detail17trampoline_kernelINS0_14default_configENS1_21merge_config_selectorIjNS0_10empty_typeEEEZNS1_10merge_implIS3_N6thrust23THRUST_200600_302600_NS6detail15normal_iteratorINS9_10device_ptrIKjEEEESF_NSB_INSC_IjEEEEPS5_SI_SI_NS9_7greaterIjEEEE10hipError_tPvRmT0_T1_T2_T3_T4_T5_mmT6_P12ihipStream_tbEUlT_E_NS1_11comp_targetILNS1_3genE5ELNS1_11target_archE942ELNS1_3gpuE9ELNS1_3repE0EEENS1_30default_config_static_selectorELNS0_4arch9wavefront6targetE1EEEvSP_,"axG",@progbits,_ZN7rocprim17ROCPRIM_400000_NS6detail17trampoline_kernelINS0_14default_configENS1_21merge_config_selectorIjNS0_10empty_typeEEEZNS1_10merge_implIS3_N6thrust23THRUST_200600_302600_NS6detail15normal_iteratorINS9_10device_ptrIKjEEEESF_NSB_INSC_IjEEEEPS5_SI_SI_NS9_7greaterIjEEEE10hipError_tPvRmT0_T1_T2_T3_T4_T5_mmT6_P12ihipStream_tbEUlT_E_NS1_11comp_targetILNS1_3genE5ELNS1_11target_archE942ELNS1_3gpuE9ELNS1_3repE0EEENS1_30default_config_static_selectorELNS0_4arch9wavefront6targetE1EEEvSP_,comdat
.Lfunc_end516:
	.size	_ZN7rocprim17ROCPRIM_400000_NS6detail17trampoline_kernelINS0_14default_configENS1_21merge_config_selectorIjNS0_10empty_typeEEEZNS1_10merge_implIS3_N6thrust23THRUST_200600_302600_NS6detail15normal_iteratorINS9_10device_ptrIKjEEEESF_NSB_INSC_IjEEEEPS5_SI_SI_NS9_7greaterIjEEEE10hipError_tPvRmT0_T1_T2_T3_T4_T5_mmT6_P12ihipStream_tbEUlT_E_NS1_11comp_targetILNS1_3genE5ELNS1_11target_archE942ELNS1_3gpuE9ELNS1_3repE0EEENS1_30default_config_static_selectorELNS0_4arch9wavefront6targetE1EEEvSP_, .Lfunc_end516-_ZN7rocprim17ROCPRIM_400000_NS6detail17trampoline_kernelINS0_14default_configENS1_21merge_config_selectorIjNS0_10empty_typeEEEZNS1_10merge_implIS3_N6thrust23THRUST_200600_302600_NS6detail15normal_iteratorINS9_10device_ptrIKjEEEESF_NSB_INSC_IjEEEEPS5_SI_SI_NS9_7greaterIjEEEE10hipError_tPvRmT0_T1_T2_T3_T4_T5_mmT6_P12ihipStream_tbEUlT_E_NS1_11comp_targetILNS1_3genE5ELNS1_11target_archE942ELNS1_3gpuE9ELNS1_3repE0EEENS1_30default_config_static_selectorELNS0_4arch9wavefront6targetE1EEEvSP_
                                        ; -- End function
	.section	.AMDGPU.csdata,"",@progbits
; Kernel info:
; codeLenInByte = 0
; NumSgprs: 4
; NumVgprs: 0
; NumAgprs: 0
; TotalNumVgprs: 0
; ScratchSize: 0
; MemoryBound: 0
; FloatMode: 240
; IeeeMode: 1
; LDSByteSize: 0 bytes/workgroup (compile time only)
; SGPRBlocks: 0
; VGPRBlocks: 0
; NumSGPRsForWavesPerEU: 4
; NumVGPRsForWavesPerEU: 1
; AccumOffset: 4
; Occupancy: 8
; WaveLimiterHint : 0
; COMPUTE_PGM_RSRC2:SCRATCH_EN: 0
; COMPUTE_PGM_RSRC2:USER_SGPR: 6
; COMPUTE_PGM_RSRC2:TRAP_HANDLER: 0
; COMPUTE_PGM_RSRC2:TGID_X_EN: 1
; COMPUTE_PGM_RSRC2:TGID_Y_EN: 0
; COMPUTE_PGM_RSRC2:TGID_Z_EN: 0
; COMPUTE_PGM_RSRC2:TIDIG_COMP_CNT: 0
; COMPUTE_PGM_RSRC3_GFX90A:ACCUM_OFFSET: 0
; COMPUTE_PGM_RSRC3_GFX90A:TG_SPLIT: 0
	.section	.text._ZN7rocprim17ROCPRIM_400000_NS6detail17trampoline_kernelINS0_14default_configENS1_21merge_config_selectorIjNS0_10empty_typeEEEZNS1_10merge_implIS3_N6thrust23THRUST_200600_302600_NS6detail15normal_iteratorINS9_10device_ptrIKjEEEESF_NSB_INSC_IjEEEEPS5_SI_SI_NS9_7greaterIjEEEE10hipError_tPvRmT0_T1_T2_T3_T4_T5_mmT6_P12ihipStream_tbEUlT_E_NS1_11comp_targetILNS1_3genE4ELNS1_11target_archE910ELNS1_3gpuE8ELNS1_3repE0EEENS1_30default_config_static_selectorELNS0_4arch9wavefront6targetE1EEEvSP_,"axG",@progbits,_ZN7rocprim17ROCPRIM_400000_NS6detail17trampoline_kernelINS0_14default_configENS1_21merge_config_selectorIjNS0_10empty_typeEEEZNS1_10merge_implIS3_N6thrust23THRUST_200600_302600_NS6detail15normal_iteratorINS9_10device_ptrIKjEEEESF_NSB_INSC_IjEEEEPS5_SI_SI_NS9_7greaterIjEEEE10hipError_tPvRmT0_T1_T2_T3_T4_T5_mmT6_P12ihipStream_tbEUlT_E_NS1_11comp_targetILNS1_3genE4ELNS1_11target_archE910ELNS1_3gpuE8ELNS1_3repE0EEENS1_30default_config_static_selectorELNS0_4arch9wavefront6targetE1EEEvSP_,comdat
	.protected	_ZN7rocprim17ROCPRIM_400000_NS6detail17trampoline_kernelINS0_14default_configENS1_21merge_config_selectorIjNS0_10empty_typeEEEZNS1_10merge_implIS3_N6thrust23THRUST_200600_302600_NS6detail15normal_iteratorINS9_10device_ptrIKjEEEESF_NSB_INSC_IjEEEEPS5_SI_SI_NS9_7greaterIjEEEE10hipError_tPvRmT0_T1_T2_T3_T4_T5_mmT6_P12ihipStream_tbEUlT_E_NS1_11comp_targetILNS1_3genE4ELNS1_11target_archE910ELNS1_3gpuE8ELNS1_3repE0EEENS1_30default_config_static_selectorELNS0_4arch9wavefront6targetE1EEEvSP_ ; -- Begin function _ZN7rocprim17ROCPRIM_400000_NS6detail17trampoline_kernelINS0_14default_configENS1_21merge_config_selectorIjNS0_10empty_typeEEEZNS1_10merge_implIS3_N6thrust23THRUST_200600_302600_NS6detail15normal_iteratorINS9_10device_ptrIKjEEEESF_NSB_INSC_IjEEEEPS5_SI_SI_NS9_7greaterIjEEEE10hipError_tPvRmT0_T1_T2_T3_T4_T5_mmT6_P12ihipStream_tbEUlT_E_NS1_11comp_targetILNS1_3genE4ELNS1_11target_archE910ELNS1_3gpuE8ELNS1_3repE0EEENS1_30default_config_static_selectorELNS0_4arch9wavefront6targetE1EEEvSP_
	.globl	_ZN7rocprim17ROCPRIM_400000_NS6detail17trampoline_kernelINS0_14default_configENS1_21merge_config_selectorIjNS0_10empty_typeEEEZNS1_10merge_implIS3_N6thrust23THRUST_200600_302600_NS6detail15normal_iteratorINS9_10device_ptrIKjEEEESF_NSB_INSC_IjEEEEPS5_SI_SI_NS9_7greaterIjEEEE10hipError_tPvRmT0_T1_T2_T3_T4_T5_mmT6_P12ihipStream_tbEUlT_E_NS1_11comp_targetILNS1_3genE4ELNS1_11target_archE910ELNS1_3gpuE8ELNS1_3repE0EEENS1_30default_config_static_selectorELNS0_4arch9wavefront6targetE1EEEvSP_
	.p2align	8
	.type	_ZN7rocprim17ROCPRIM_400000_NS6detail17trampoline_kernelINS0_14default_configENS1_21merge_config_selectorIjNS0_10empty_typeEEEZNS1_10merge_implIS3_N6thrust23THRUST_200600_302600_NS6detail15normal_iteratorINS9_10device_ptrIKjEEEESF_NSB_INSC_IjEEEEPS5_SI_SI_NS9_7greaterIjEEEE10hipError_tPvRmT0_T1_T2_T3_T4_T5_mmT6_P12ihipStream_tbEUlT_E_NS1_11comp_targetILNS1_3genE4ELNS1_11target_archE910ELNS1_3gpuE8ELNS1_3repE0EEENS1_30default_config_static_selectorELNS0_4arch9wavefront6targetE1EEEvSP_,@function
_ZN7rocprim17ROCPRIM_400000_NS6detail17trampoline_kernelINS0_14default_configENS1_21merge_config_selectorIjNS0_10empty_typeEEEZNS1_10merge_implIS3_N6thrust23THRUST_200600_302600_NS6detail15normal_iteratorINS9_10device_ptrIKjEEEESF_NSB_INSC_IjEEEEPS5_SI_SI_NS9_7greaterIjEEEE10hipError_tPvRmT0_T1_T2_T3_T4_T5_mmT6_P12ihipStream_tbEUlT_E_NS1_11comp_targetILNS1_3genE4ELNS1_11target_archE910ELNS1_3gpuE8ELNS1_3repE0EEENS1_30default_config_static_selectorELNS0_4arch9wavefront6targetE1EEEvSP_: ; @_ZN7rocprim17ROCPRIM_400000_NS6detail17trampoline_kernelINS0_14default_configENS1_21merge_config_selectorIjNS0_10empty_typeEEEZNS1_10merge_implIS3_N6thrust23THRUST_200600_302600_NS6detail15normal_iteratorINS9_10device_ptrIKjEEEESF_NSB_INSC_IjEEEEPS5_SI_SI_NS9_7greaterIjEEEE10hipError_tPvRmT0_T1_T2_T3_T4_T5_mmT6_P12ihipStream_tbEUlT_E_NS1_11comp_targetILNS1_3genE4ELNS1_11target_archE910ELNS1_3gpuE8ELNS1_3repE0EEENS1_30default_config_static_selectorELNS0_4arch9wavefront6targetE1EEEvSP_
; %bb.0:
	s_load_dword s7, s[4:5], 0x28
	s_load_dword s0, s[4:5], 0x3c
	s_load_dwordx4 s[8:11], s[4:5], 0x18
	s_waitcnt lgkmcnt(0)
	v_cvt_f32_u32_e32 v1, s7
	s_and_b32 s0, s0, 0xffff
	s_add_u32 s12, s10, s8
	s_addc_u32 s13, s11, s9
	v_rcp_iflag_f32_e32 v1, v1
	s_sub_i32 s1, 0, s7
	s_mul_i32 s6, s6, s0
	s_add_i32 s0, s7, s12
	v_mul_f32_e32 v1, 0x4f7ffffe, v1
	v_cvt_u32_f32_e32 v1, v1
	s_add_i32 s0, s0, -1
	v_add_u32_e32 v0, s6, v0
	v_readfirstlane_b32 s2, v1
	s_mul_i32 s1, s1, s2
	s_mul_hi_u32 s1, s2, s1
	s_add_i32 s2, s2, s1
	s_mul_hi_u32 s1, s0, s2
	s_mul_i32 s2, s1, s7
	s_sub_i32 s0, s0, s2
	s_add_i32 s3, s1, 1
	s_sub_i32 s2, s0, s7
	s_cmp_ge_u32 s0, s7
	s_cselect_b32 s1, s3, s1
	s_cselect_b32 s0, s2, s0
	s_add_i32 s2, s1, 1
	s_cmp_ge_u32 s0, s7
	s_cselect_b32 s0, s2, s1
	v_cmp_ge_u32_e32 vcc, s0, v0
	s_and_saveexec_b64 s[0:1], vcc
	s_cbranch_execz .LBB517_6
; %bb.1:
	v_mul_lo_u32 v2, v0, s7
	v_mov_b32_e32 v3, 0
	v_mov_b32_e32 v1, s13
	v_cmp_gt_u64_e32 vcc, s[12:13], v[2:3]
	v_cndmask_b32_e64 v7, v1, 0, vcc
	v_mov_b32_e32 v1, s12
	v_cndmask_b32_e32 v6, v1, v2, vcc
	v_mov_b32_e32 v1, s11
	v_subrev_co_u32_e32 v2, vcc, s10, v6
	v_subb_co_u32_e32 v3, vcc, v7, v1, vcc
	s_load_dwordx4 s[0:3], s[4:5], 0x0
	v_cmp_gt_u64_e32 vcc, v[2:3], v[6:7]
	v_cndmask_b32_e64 v3, v3, 0, vcc
	v_cndmask_b32_e64 v2, v2, 0, vcc
	v_mov_b32_e32 v1, s9
	v_cmp_gt_u64_e32 vcc, s[8:9], v[6:7]
	v_cndmask_b32_e32 v5, v1, v7, vcc
	v_mov_b32_e32 v1, s8
	v_cndmask_b32_e32 v4, v1, v6, vcc
	v_cmp_lt_u64_e32 vcc, v[2:3], v[4:5]
	s_and_saveexec_b64 s[6:7], vcc
	s_cbranch_execz .LBB517_5
; %bb.2:
	s_load_dwordx2 s[4:5], s[4:5], 0x10
	v_lshlrev_b64 v[6:7], 2, v[6:7]
	s_waitcnt lgkmcnt(0)
	v_mov_b32_e32 v8, s5
	v_add_co_u32_e32 v1, vcc, s4, v6
	v_addc_co_u32_e32 v6, vcc, v8, v7, vcc
	s_mov_b64 s[4:5], 0
	v_mov_b32_e32 v7, s3
.LBB517_3:                              ; =>This Inner Loop Header: Depth=1
	v_add_co_u32_e32 v8, vcc, v4, v2
	v_addc_co_u32_e32 v9, vcc, v5, v3, vcc
	v_lshrrev_b64 v[8:9], 1, v[8:9]
	v_lshlrev_b64 v[12:13], 2, v[8:9]
	v_not_b32_e32 v11, v9
	v_not_b32_e32 v10, v8
	v_add_co_u32_e32 v12, vcc, s2, v12
	v_addc_co_u32_e32 v13, vcc, v7, v13, vcc
	v_lshlrev_b64 v[10:11], 2, v[10:11]
	v_add_co_u32_e32 v10, vcc, v1, v10
	v_addc_co_u32_e32 v11, vcc, v6, v11, vcc
	global_load_dword v12, v[12:13], off
	s_nop 0
	global_load_dword v10, v[10:11], off
	v_add_co_u32_e32 v11, vcc, 1, v8
	v_addc_co_u32_e32 v13, vcc, 0, v9, vcc
	s_waitcnt vmcnt(0)
	v_cmp_gt_u32_e32 vcc, v10, v12
	v_cndmask_b32_e32 v5, v5, v9, vcc
	v_cndmask_b32_e32 v4, v4, v8, vcc
	;; [unrolled: 1-line block ×4, first 2 shown]
	v_cmp_ge_u64_e32 vcc, v[2:3], v[4:5]
	s_or_b64 s[4:5], vcc, s[4:5]
	s_andn2_b64 exec, exec, s[4:5]
	s_cbranch_execnz .LBB517_3
; %bb.4:
	s_or_b64 exec, exec, s[4:5]
.LBB517_5:
	s_or_b64 exec, exec, s[6:7]
	v_mov_b32_e32 v1, 0
	v_lshlrev_b64 v[0:1], 2, v[0:1]
	s_waitcnt lgkmcnt(0)
	v_mov_b32_e32 v3, s1
	v_add_co_u32_e32 v0, vcc, s0, v0
	v_addc_co_u32_e32 v1, vcc, v3, v1, vcc
	global_store_dword v[0:1], v2, off
.LBB517_6:
	s_endpgm
	.section	.rodata,"a",@progbits
	.p2align	6, 0x0
	.amdhsa_kernel _ZN7rocprim17ROCPRIM_400000_NS6detail17trampoline_kernelINS0_14default_configENS1_21merge_config_selectorIjNS0_10empty_typeEEEZNS1_10merge_implIS3_N6thrust23THRUST_200600_302600_NS6detail15normal_iteratorINS9_10device_ptrIKjEEEESF_NSB_INSC_IjEEEEPS5_SI_SI_NS9_7greaterIjEEEE10hipError_tPvRmT0_T1_T2_T3_T4_T5_mmT6_P12ihipStream_tbEUlT_E_NS1_11comp_targetILNS1_3genE4ELNS1_11target_archE910ELNS1_3gpuE8ELNS1_3repE0EEENS1_30default_config_static_selectorELNS0_4arch9wavefront6targetE1EEEvSP_
		.amdhsa_group_segment_fixed_size 0
		.amdhsa_private_segment_fixed_size 0
		.amdhsa_kernarg_size 304
		.amdhsa_user_sgpr_count 6
		.amdhsa_user_sgpr_private_segment_buffer 1
		.amdhsa_user_sgpr_dispatch_ptr 0
		.amdhsa_user_sgpr_queue_ptr 0
		.amdhsa_user_sgpr_kernarg_segment_ptr 1
		.amdhsa_user_sgpr_dispatch_id 0
		.amdhsa_user_sgpr_flat_scratch_init 0
		.amdhsa_user_sgpr_kernarg_preload_length 0
		.amdhsa_user_sgpr_kernarg_preload_offset 0
		.amdhsa_user_sgpr_private_segment_size 0
		.amdhsa_uses_dynamic_stack 0
		.amdhsa_system_sgpr_private_segment_wavefront_offset 0
		.amdhsa_system_sgpr_workgroup_id_x 1
		.amdhsa_system_sgpr_workgroup_id_y 0
		.amdhsa_system_sgpr_workgroup_id_z 0
		.amdhsa_system_sgpr_workgroup_info 0
		.amdhsa_system_vgpr_workitem_id 0
		.amdhsa_next_free_vgpr 14
		.amdhsa_next_free_sgpr 14
		.amdhsa_accum_offset 16
		.amdhsa_reserve_vcc 1
		.amdhsa_reserve_flat_scratch 0
		.amdhsa_float_round_mode_32 0
		.amdhsa_float_round_mode_16_64 0
		.amdhsa_float_denorm_mode_32 3
		.amdhsa_float_denorm_mode_16_64 3
		.amdhsa_dx10_clamp 1
		.amdhsa_ieee_mode 1
		.amdhsa_fp16_overflow 0
		.amdhsa_tg_split 0
		.amdhsa_exception_fp_ieee_invalid_op 0
		.amdhsa_exception_fp_denorm_src 0
		.amdhsa_exception_fp_ieee_div_zero 0
		.amdhsa_exception_fp_ieee_overflow 0
		.amdhsa_exception_fp_ieee_underflow 0
		.amdhsa_exception_fp_ieee_inexact 0
		.amdhsa_exception_int_div_zero 0
	.end_amdhsa_kernel
	.section	.text._ZN7rocprim17ROCPRIM_400000_NS6detail17trampoline_kernelINS0_14default_configENS1_21merge_config_selectorIjNS0_10empty_typeEEEZNS1_10merge_implIS3_N6thrust23THRUST_200600_302600_NS6detail15normal_iteratorINS9_10device_ptrIKjEEEESF_NSB_INSC_IjEEEEPS5_SI_SI_NS9_7greaterIjEEEE10hipError_tPvRmT0_T1_T2_T3_T4_T5_mmT6_P12ihipStream_tbEUlT_E_NS1_11comp_targetILNS1_3genE4ELNS1_11target_archE910ELNS1_3gpuE8ELNS1_3repE0EEENS1_30default_config_static_selectorELNS0_4arch9wavefront6targetE1EEEvSP_,"axG",@progbits,_ZN7rocprim17ROCPRIM_400000_NS6detail17trampoline_kernelINS0_14default_configENS1_21merge_config_selectorIjNS0_10empty_typeEEEZNS1_10merge_implIS3_N6thrust23THRUST_200600_302600_NS6detail15normal_iteratorINS9_10device_ptrIKjEEEESF_NSB_INSC_IjEEEEPS5_SI_SI_NS9_7greaterIjEEEE10hipError_tPvRmT0_T1_T2_T3_T4_T5_mmT6_P12ihipStream_tbEUlT_E_NS1_11comp_targetILNS1_3genE4ELNS1_11target_archE910ELNS1_3gpuE8ELNS1_3repE0EEENS1_30default_config_static_selectorELNS0_4arch9wavefront6targetE1EEEvSP_,comdat
.Lfunc_end517:
	.size	_ZN7rocprim17ROCPRIM_400000_NS6detail17trampoline_kernelINS0_14default_configENS1_21merge_config_selectorIjNS0_10empty_typeEEEZNS1_10merge_implIS3_N6thrust23THRUST_200600_302600_NS6detail15normal_iteratorINS9_10device_ptrIKjEEEESF_NSB_INSC_IjEEEEPS5_SI_SI_NS9_7greaterIjEEEE10hipError_tPvRmT0_T1_T2_T3_T4_T5_mmT6_P12ihipStream_tbEUlT_E_NS1_11comp_targetILNS1_3genE4ELNS1_11target_archE910ELNS1_3gpuE8ELNS1_3repE0EEENS1_30default_config_static_selectorELNS0_4arch9wavefront6targetE1EEEvSP_, .Lfunc_end517-_ZN7rocprim17ROCPRIM_400000_NS6detail17trampoline_kernelINS0_14default_configENS1_21merge_config_selectorIjNS0_10empty_typeEEEZNS1_10merge_implIS3_N6thrust23THRUST_200600_302600_NS6detail15normal_iteratorINS9_10device_ptrIKjEEEESF_NSB_INSC_IjEEEEPS5_SI_SI_NS9_7greaterIjEEEE10hipError_tPvRmT0_T1_T2_T3_T4_T5_mmT6_P12ihipStream_tbEUlT_E_NS1_11comp_targetILNS1_3genE4ELNS1_11target_archE910ELNS1_3gpuE8ELNS1_3repE0EEENS1_30default_config_static_selectorELNS0_4arch9wavefront6targetE1EEEvSP_
                                        ; -- End function
	.section	.AMDGPU.csdata,"",@progbits
; Kernel info:
; codeLenInByte = 476
; NumSgprs: 18
; NumVgprs: 14
; NumAgprs: 0
; TotalNumVgprs: 14
; ScratchSize: 0
; MemoryBound: 0
; FloatMode: 240
; IeeeMode: 1
; LDSByteSize: 0 bytes/workgroup (compile time only)
; SGPRBlocks: 2
; VGPRBlocks: 1
; NumSGPRsForWavesPerEU: 18
; NumVGPRsForWavesPerEU: 14
; AccumOffset: 16
; Occupancy: 8
; WaveLimiterHint : 0
; COMPUTE_PGM_RSRC2:SCRATCH_EN: 0
; COMPUTE_PGM_RSRC2:USER_SGPR: 6
; COMPUTE_PGM_RSRC2:TRAP_HANDLER: 0
; COMPUTE_PGM_RSRC2:TGID_X_EN: 1
; COMPUTE_PGM_RSRC2:TGID_Y_EN: 0
; COMPUTE_PGM_RSRC2:TGID_Z_EN: 0
; COMPUTE_PGM_RSRC2:TIDIG_COMP_CNT: 0
; COMPUTE_PGM_RSRC3_GFX90A:ACCUM_OFFSET: 3
; COMPUTE_PGM_RSRC3_GFX90A:TG_SPLIT: 0
	.section	.text._ZN7rocprim17ROCPRIM_400000_NS6detail17trampoline_kernelINS0_14default_configENS1_21merge_config_selectorIjNS0_10empty_typeEEEZNS1_10merge_implIS3_N6thrust23THRUST_200600_302600_NS6detail15normal_iteratorINS9_10device_ptrIKjEEEESF_NSB_INSC_IjEEEEPS5_SI_SI_NS9_7greaterIjEEEE10hipError_tPvRmT0_T1_T2_T3_T4_T5_mmT6_P12ihipStream_tbEUlT_E_NS1_11comp_targetILNS1_3genE3ELNS1_11target_archE908ELNS1_3gpuE7ELNS1_3repE0EEENS1_30default_config_static_selectorELNS0_4arch9wavefront6targetE1EEEvSP_,"axG",@progbits,_ZN7rocprim17ROCPRIM_400000_NS6detail17trampoline_kernelINS0_14default_configENS1_21merge_config_selectorIjNS0_10empty_typeEEEZNS1_10merge_implIS3_N6thrust23THRUST_200600_302600_NS6detail15normal_iteratorINS9_10device_ptrIKjEEEESF_NSB_INSC_IjEEEEPS5_SI_SI_NS9_7greaterIjEEEE10hipError_tPvRmT0_T1_T2_T3_T4_T5_mmT6_P12ihipStream_tbEUlT_E_NS1_11comp_targetILNS1_3genE3ELNS1_11target_archE908ELNS1_3gpuE7ELNS1_3repE0EEENS1_30default_config_static_selectorELNS0_4arch9wavefront6targetE1EEEvSP_,comdat
	.protected	_ZN7rocprim17ROCPRIM_400000_NS6detail17trampoline_kernelINS0_14default_configENS1_21merge_config_selectorIjNS0_10empty_typeEEEZNS1_10merge_implIS3_N6thrust23THRUST_200600_302600_NS6detail15normal_iteratorINS9_10device_ptrIKjEEEESF_NSB_INSC_IjEEEEPS5_SI_SI_NS9_7greaterIjEEEE10hipError_tPvRmT0_T1_T2_T3_T4_T5_mmT6_P12ihipStream_tbEUlT_E_NS1_11comp_targetILNS1_3genE3ELNS1_11target_archE908ELNS1_3gpuE7ELNS1_3repE0EEENS1_30default_config_static_selectorELNS0_4arch9wavefront6targetE1EEEvSP_ ; -- Begin function _ZN7rocprim17ROCPRIM_400000_NS6detail17trampoline_kernelINS0_14default_configENS1_21merge_config_selectorIjNS0_10empty_typeEEEZNS1_10merge_implIS3_N6thrust23THRUST_200600_302600_NS6detail15normal_iteratorINS9_10device_ptrIKjEEEESF_NSB_INSC_IjEEEEPS5_SI_SI_NS9_7greaterIjEEEE10hipError_tPvRmT0_T1_T2_T3_T4_T5_mmT6_P12ihipStream_tbEUlT_E_NS1_11comp_targetILNS1_3genE3ELNS1_11target_archE908ELNS1_3gpuE7ELNS1_3repE0EEENS1_30default_config_static_selectorELNS0_4arch9wavefront6targetE1EEEvSP_
	.globl	_ZN7rocprim17ROCPRIM_400000_NS6detail17trampoline_kernelINS0_14default_configENS1_21merge_config_selectorIjNS0_10empty_typeEEEZNS1_10merge_implIS3_N6thrust23THRUST_200600_302600_NS6detail15normal_iteratorINS9_10device_ptrIKjEEEESF_NSB_INSC_IjEEEEPS5_SI_SI_NS9_7greaterIjEEEE10hipError_tPvRmT0_T1_T2_T3_T4_T5_mmT6_P12ihipStream_tbEUlT_E_NS1_11comp_targetILNS1_3genE3ELNS1_11target_archE908ELNS1_3gpuE7ELNS1_3repE0EEENS1_30default_config_static_selectorELNS0_4arch9wavefront6targetE1EEEvSP_
	.p2align	8
	.type	_ZN7rocprim17ROCPRIM_400000_NS6detail17trampoline_kernelINS0_14default_configENS1_21merge_config_selectorIjNS0_10empty_typeEEEZNS1_10merge_implIS3_N6thrust23THRUST_200600_302600_NS6detail15normal_iteratorINS9_10device_ptrIKjEEEESF_NSB_INSC_IjEEEEPS5_SI_SI_NS9_7greaterIjEEEE10hipError_tPvRmT0_T1_T2_T3_T4_T5_mmT6_P12ihipStream_tbEUlT_E_NS1_11comp_targetILNS1_3genE3ELNS1_11target_archE908ELNS1_3gpuE7ELNS1_3repE0EEENS1_30default_config_static_selectorELNS0_4arch9wavefront6targetE1EEEvSP_,@function
_ZN7rocprim17ROCPRIM_400000_NS6detail17trampoline_kernelINS0_14default_configENS1_21merge_config_selectorIjNS0_10empty_typeEEEZNS1_10merge_implIS3_N6thrust23THRUST_200600_302600_NS6detail15normal_iteratorINS9_10device_ptrIKjEEEESF_NSB_INSC_IjEEEEPS5_SI_SI_NS9_7greaterIjEEEE10hipError_tPvRmT0_T1_T2_T3_T4_T5_mmT6_P12ihipStream_tbEUlT_E_NS1_11comp_targetILNS1_3genE3ELNS1_11target_archE908ELNS1_3gpuE7ELNS1_3repE0EEENS1_30default_config_static_selectorELNS0_4arch9wavefront6targetE1EEEvSP_: ; @_ZN7rocprim17ROCPRIM_400000_NS6detail17trampoline_kernelINS0_14default_configENS1_21merge_config_selectorIjNS0_10empty_typeEEEZNS1_10merge_implIS3_N6thrust23THRUST_200600_302600_NS6detail15normal_iteratorINS9_10device_ptrIKjEEEESF_NSB_INSC_IjEEEEPS5_SI_SI_NS9_7greaterIjEEEE10hipError_tPvRmT0_T1_T2_T3_T4_T5_mmT6_P12ihipStream_tbEUlT_E_NS1_11comp_targetILNS1_3genE3ELNS1_11target_archE908ELNS1_3gpuE7ELNS1_3repE0EEENS1_30default_config_static_selectorELNS0_4arch9wavefront6targetE1EEEvSP_
; %bb.0:
	.section	.rodata,"a",@progbits
	.p2align	6, 0x0
	.amdhsa_kernel _ZN7rocprim17ROCPRIM_400000_NS6detail17trampoline_kernelINS0_14default_configENS1_21merge_config_selectorIjNS0_10empty_typeEEEZNS1_10merge_implIS3_N6thrust23THRUST_200600_302600_NS6detail15normal_iteratorINS9_10device_ptrIKjEEEESF_NSB_INSC_IjEEEEPS5_SI_SI_NS9_7greaterIjEEEE10hipError_tPvRmT0_T1_T2_T3_T4_T5_mmT6_P12ihipStream_tbEUlT_E_NS1_11comp_targetILNS1_3genE3ELNS1_11target_archE908ELNS1_3gpuE7ELNS1_3repE0EEENS1_30default_config_static_selectorELNS0_4arch9wavefront6targetE1EEEvSP_
		.amdhsa_group_segment_fixed_size 0
		.amdhsa_private_segment_fixed_size 0
		.amdhsa_kernarg_size 48
		.amdhsa_user_sgpr_count 6
		.amdhsa_user_sgpr_private_segment_buffer 1
		.amdhsa_user_sgpr_dispatch_ptr 0
		.amdhsa_user_sgpr_queue_ptr 0
		.amdhsa_user_sgpr_kernarg_segment_ptr 1
		.amdhsa_user_sgpr_dispatch_id 0
		.amdhsa_user_sgpr_flat_scratch_init 0
		.amdhsa_user_sgpr_kernarg_preload_length 0
		.amdhsa_user_sgpr_kernarg_preload_offset 0
		.amdhsa_user_sgpr_private_segment_size 0
		.amdhsa_uses_dynamic_stack 0
		.amdhsa_system_sgpr_private_segment_wavefront_offset 0
		.amdhsa_system_sgpr_workgroup_id_x 1
		.amdhsa_system_sgpr_workgroup_id_y 0
		.amdhsa_system_sgpr_workgroup_id_z 0
		.amdhsa_system_sgpr_workgroup_info 0
		.amdhsa_system_vgpr_workitem_id 0
		.amdhsa_next_free_vgpr 1
		.amdhsa_next_free_sgpr 0
		.amdhsa_accum_offset 4
		.amdhsa_reserve_vcc 0
		.amdhsa_reserve_flat_scratch 0
		.amdhsa_float_round_mode_32 0
		.amdhsa_float_round_mode_16_64 0
		.amdhsa_float_denorm_mode_32 3
		.amdhsa_float_denorm_mode_16_64 3
		.amdhsa_dx10_clamp 1
		.amdhsa_ieee_mode 1
		.amdhsa_fp16_overflow 0
		.amdhsa_tg_split 0
		.amdhsa_exception_fp_ieee_invalid_op 0
		.amdhsa_exception_fp_denorm_src 0
		.amdhsa_exception_fp_ieee_div_zero 0
		.amdhsa_exception_fp_ieee_overflow 0
		.amdhsa_exception_fp_ieee_underflow 0
		.amdhsa_exception_fp_ieee_inexact 0
		.amdhsa_exception_int_div_zero 0
	.end_amdhsa_kernel
	.section	.text._ZN7rocprim17ROCPRIM_400000_NS6detail17trampoline_kernelINS0_14default_configENS1_21merge_config_selectorIjNS0_10empty_typeEEEZNS1_10merge_implIS3_N6thrust23THRUST_200600_302600_NS6detail15normal_iteratorINS9_10device_ptrIKjEEEESF_NSB_INSC_IjEEEEPS5_SI_SI_NS9_7greaterIjEEEE10hipError_tPvRmT0_T1_T2_T3_T4_T5_mmT6_P12ihipStream_tbEUlT_E_NS1_11comp_targetILNS1_3genE3ELNS1_11target_archE908ELNS1_3gpuE7ELNS1_3repE0EEENS1_30default_config_static_selectorELNS0_4arch9wavefront6targetE1EEEvSP_,"axG",@progbits,_ZN7rocprim17ROCPRIM_400000_NS6detail17trampoline_kernelINS0_14default_configENS1_21merge_config_selectorIjNS0_10empty_typeEEEZNS1_10merge_implIS3_N6thrust23THRUST_200600_302600_NS6detail15normal_iteratorINS9_10device_ptrIKjEEEESF_NSB_INSC_IjEEEEPS5_SI_SI_NS9_7greaterIjEEEE10hipError_tPvRmT0_T1_T2_T3_T4_T5_mmT6_P12ihipStream_tbEUlT_E_NS1_11comp_targetILNS1_3genE3ELNS1_11target_archE908ELNS1_3gpuE7ELNS1_3repE0EEENS1_30default_config_static_selectorELNS0_4arch9wavefront6targetE1EEEvSP_,comdat
.Lfunc_end518:
	.size	_ZN7rocprim17ROCPRIM_400000_NS6detail17trampoline_kernelINS0_14default_configENS1_21merge_config_selectorIjNS0_10empty_typeEEEZNS1_10merge_implIS3_N6thrust23THRUST_200600_302600_NS6detail15normal_iteratorINS9_10device_ptrIKjEEEESF_NSB_INSC_IjEEEEPS5_SI_SI_NS9_7greaterIjEEEE10hipError_tPvRmT0_T1_T2_T3_T4_T5_mmT6_P12ihipStream_tbEUlT_E_NS1_11comp_targetILNS1_3genE3ELNS1_11target_archE908ELNS1_3gpuE7ELNS1_3repE0EEENS1_30default_config_static_selectorELNS0_4arch9wavefront6targetE1EEEvSP_, .Lfunc_end518-_ZN7rocprim17ROCPRIM_400000_NS6detail17trampoline_kernelINS0_14default_configENS1_21merge_config_selectorIjNS0_10empty_typeEEEZNS1_10merge_implIS3_N6thrust23THRUST_200600_302600_NS6detail15normal_iteratorINS9_10device_ptrIKjEEEESF_NSB_INSC_IjEEEEPS5_SI_SI_NS9_7greaterIjEEEE10hipError_tPvRmT0_T1_T2_T3_T4_T5_mmT6_P12ihipStream_tbEUlT_E_NS1_11comp_targetILNS1_3genE3ELNS1_11target_archE908ELNS1_3gpuE7ELNS1_3repE0EEENS1_30default_config_static_selectorELNS0_4arch9wavefront6targetE1EEEvSP_
                                        ; -- End function
	.section	.AMDGPU.csdata,"",@progbits
; Kernel info:
; codeLenInByte = 0
; NumSgprs: 4
; NumVgprs: 0
; NumAgprs: 0
; TotalNumVgprs: 0
; ScratchSize: 0
; MemoryBound: 0
; FloatMode: 240
; IeeeMode: 1
; LDSByteSize: 0 bytes/workgroup (compile time only)
; SGPRBlocks: 0
; VGPRBlocks: 0
; NumSGPRsForWavesPerEU: 4
; NumVGPRsForWavesPerEU: 1
; AccumOffset: 4
; Occupancy: 8
; WaveLimiterHint : 0
; COMPUTE_PGM_RSRC2:SCRATCH_EN: 0
; COMPUTE_PGM_RSRC2:USER_SGPR: 6
; COMPUTE_PGM_RSRC2:TRAP_HANDLER: 0
; COMPUTE_PGM_RSRC2:TGID_X_EN: 1
; COMPUTE_PGM_RSRC2:TGID_Y_EN: 0
; COMPUTE_PGM_RSRC2:TGID_Z_EN: 0
; COMPUTE_PGM_RSRC2:TIDIG_COMP_CNT: 0
; COMPUTE_PGM_RSRC3_GFX90A:ACCUM_OFFSET: 0
; COMPUTE_PGM_RSRC3_GFX90A:TG_SPLIT: 0
	.section	.text._ZN7rocprim17ROCPRIM_400000_NS6detail17trampoline_kernelINS0_14default_configENS1_21merge_config_selectorIjNS0_10empty_typeEEEZNS1_10merge_implIS3_N6thrust23THRUST_200600_302600_NS6detail15normal_iteratorINS9_10device_ptrIKjEEEESF_NSB_INSC_IjEEEEPS5_SI_SI_NS9_7greaterIjEEEE10hipError_tPvRmT0_T1_T2_T3_T4_T5_mmT6_P12ihipStream_tbEUlT_E_NS1_11comp_targetILNS1_3genE2ELNS1_11target_archE906ELNS1_3gpuE6ELNS1_3repE0EEENS1_30default_config_static_selectorELNS0_4arch9wavefront6targetE1EEEvSP_,"axG",@progbits,_ZN7rocprim17ROCPRIM_400000_NS6detail17trampoline_kernelINS0_14default_configENS1_21merge_config_selectorIjNS0_10empty_typeEEEZNS1_10merge_implIS3_N6thrust23THRUST_200600_302600_NS6detail15normal_iteratorINS9_10device_ptrIKjEEEESF_NSB_INSC_IjEEEEPS5_SI_SI_NS9_7greaterIjEEEE10hipError_tPvRmT0_T1_T2_T3_T4_T5_mmT6_P12ihipStream_tbEUlT_E_NS1_11comp_targetILNS1_3genE2ELNS1_11target_archE906ELNS1_3gpuE6ELNS1_3repE0EEENS1_30default_config_static_selectorELNS0_4arch9wavefront6targetE1EEEvSP_,comdat
	.protected	_ZN7rocprim17ROCPRIM_400000_NS6detail17trampoline_kernelINS0_14default_configENS1_21merge_config_selectorIjNS0_10empty_typeEEEZNS1_10merge_implIS3_N6thrust23THRUST_200600_302600_NS6detail15normal_iteratorINS9_10device_ptrIKjEEEESF_NSB_INSC_IjEEEEPS5_SI_SI_NS9_7greaterIjEEEE10hipError_tPvRmT0_T1_T2_T3_T4_T5_mmT6_P12ihipStream_tbEUlT_E_NS1_11comp_targetILNS1_3genE2ELNS1_11target_archE906ELNS1_3gpuE6ELNS1_3repE0EEENS1_30default_config_static_selectorELNS0_4arch9wavefront6targetE1EEEvSP_ ; -- Begin function _ZN7rocprim17ROCPRIM_400000_NS6detail17trampoline_kernelINS0_14default_configENS1_21merge_config_selectorIjNS0_10empty_typeEEEZNS1_10merge_implIS3_N6thrust23THRUST_200600_302600_NS6detail15normal_iteratorINS9_10device_ptrIKjEEEESF_NSB_INSC_IjEEEEPS5_SI_SI_NS9_7greaterIjEEEE10hipError_tPvRmT0_T1_T2_T3_T4_T5_mmT6_P12ihipStream_tbEUlT_E_NS1_11comp_targetILNS1_3genE2ELNS1_11target_archE906ELNS1_3gpuE6ELNS1_3repE0EEENS1_30default_config_static_selectorELNS0_4arch9wavefront6targetE1EEEvSP_
	.globl	_ZN7rocprim17ROCPRIM_400000_NS6detail17trampoline_kernelINS0_14default_configENS1_21merge_config_selectorIjNS0_10empty_typeEEEZNS1_10merge_implIS3_N6thrust23THRUST_200600_302600_NS6detail15normal_iteratorINS9_10device_ptrIKjEEEESF_NSB_INSC_IjEEEEPS5_SI_SI_NS9_7greaterIjEEEE10hipError_tPvRmT0_T1_T2_T3_T4_T5_mmT6_P12ihipStream_tbEUlT_E_NS1_11comp_targetILNS1_3genE2ELNS1_11target_archE906ELNS1_3gpuE6ELNS1_3repE0EEENS1_30default_config_static_selectorELNS0_4arch9wavefront6targetE1EEEvSP_
	.p2align	8
	.type	_ZN7rocprim17ROCPRIM_400000_NS6detail17trampoline_kernelINS0_14default_configENS1_21merge_config_selectorIjNS0_10empty_typeEEEZNS1_10merge_implIS3_N6thrust23THRUST_200600_302600_NS6detail15normal_iteratorINS9_10device_ptrIKjEEEESF_NSB_INSC_IjEEEEPS5_SI_SI_NS9_7greaterIjEEEE10hipError_tPvRmT0_T1_T2_T3_T4_T5_mmT6_P12ihipStream_tbEUlT_E_NS1_11comp_targetILNS1_3genE2ELNS1_11target_archE906ELNS1_3gpuE6ELNS1_3repE0EEENS1_30default_config_static_selectorELNS0_4arch9wavefront6targetE1EEEvSP_,@function
_ZN7rocprim17ROCPRIM_400000_NS6detail17trampoline_kernelINS0_14default_configENS1_21merge_config_selectorIjNS0_10empty_typeEEEZNS1_10merge_implIS3_N6thrust23THRUST_200600_302600_NS6detail15normal_iteratorINS9_10device_ptrIKjEEEESF_NSB_INSC_IjEEEEPS5_SI_SI_NS9_7greaterIjEEEE10hipError_tPvRmT0_T1_T2_T3_T4_T5_mmT6_P12ihipStream_tbEUlT_E_NS1_11comp_targetILNS1_3genE2ELNS1_11target_archE906ELNS1_3gpuE6ELNS1_3repE0EEENS1_30default_config_static_selectorELNS0_4arch9wavefront6targetE1EEEvSP_: ; @_ZN7rocprim17ROCPRIM_400000_NS6detail17trampoline_kernelINS0_14default_configENS1_21merge_config_selectorIjNS0_10empty_typeEEEZNS1_10merge_implIS3_N6thrust23THRUST_200600_302600_NS6detail15normal_iteratorINS9_10device_ptrIKjEEEESF_NSB_INSC_IjEEEEPS5_SI_SI_NS9_7greaterIjEEEE10hipError_tPvRmT0_T1_T2_T3_T4_T5_mmT6_P12ihipStream_tbEUlT_E_NS1_11comp_targetILNS1_3genE2ELNS1_11target_archE906ELNS1_3gpuE6ELNS1_3repE0EEENS1_30default_config_static_selectorELNS0_4arch9wavefront6targetE1EEEvSP_
; %bb.0:
	.section	.rodata,"a",@progbits
	.p2align	6, 0x0
	.amdhsa_kernel _ZN7rocprim17ROCPRIM_400000_NS6detail17trampoline_kernelINS0_14default_configENS1_21merge_config_selectorIjNS0_10empty_typeEEEZNS1_10merge_implIS3_N6thrust23THRUST_200600_302600_NS6detail15normal_iteratorINS9_10device_ptrIKjEEEESF_NSB_INSC_IjEEEEPS5_SI_SI_NS9_7greaterIjEEEE10hipError_tPvRmT0_T1_T2_T3_T4_T5_mmT6_P12ihipStream_tbEUlT_E_NS1_11comp_targetILNS1_3genE2ELNS1_11target_archE906ELNS1_3gpuE6ELNS1_3repE0EEENS1_30default_config_static_selectorELNS0_4arch9wavefront6targetE1EEEvSP_
		.amdhsa_group_segment_fixed_size 0
		.amdhsa_private_segment_fixed_size 0
		.amdhsa_kernarg_size 48
		.amdhsa_user_sgpr_count 6
		.amdhsa_user_sgpr_private_segment_buffer 1
		.amdhsa_user_sgpr_dispatch_ptr 0
		.amdhsa_user_sgpr_queue_ptr 0
		.amdhsa_user_sgpr_kernarg_segment_ptr 1
		.amdhsa_user_sgpr_dispatch_id 0
		.amdhsa_user_sgpr_flat_scratch_init 0
		.amdhsa_user_sgpr_kernarg_preload_length 0
		.amdhsa_user_sgpr_kernarg_preload_offset 0
		.amdhsa_user_sgpr_private_segment_size 0
		.amdhsa_uses_dynamic_stack 0
		.amdhsa_system_sgpr_private_segment_wavefront_offset 0
		.amdhsa_system_sgpr_workgroup_id_x 1
		.amdhsa_system_sgpr_workgroup_id_y 0
		.amdhsa_system_sgpr_workgroup_id_z 0
		.amdhsa_system_sgpr_workgroup_info 0
		.amdhsa_system_vgpr_workitem_id 0
		.amdhsa_next_free_vgpr 1
		.amdhsa_next_free_sgpr 0
		.amdhsa_accum_offset 4
		.amdhsa_reserve_vcc 0
		.amdhsa_reserve_flat_scratch 0
		.amdhsa_float_round_mode_32 0
		.amdhsa_float_round_mode_16_64 0
		.amdhsa_float_denorm_mode_32 3
		.amdhsa_float_denorm_mode_16_64 3
		.amdhsa_dx10_clamp 1
		.amdhsa_ieee_mode 1
		.amdhsa_fp16_overflow 0
		.amdhsa_tg_split 0
		.amdhsa_exception_fp_ieee_invalid_op 0
		.amdhsa_exception_fp_denorm_src 0
		.amdhsa_exception_fp_ieee_div_zero 0
		.amdhsa_exception_fp_ieee_overflow 0
		.amdhsa_exception_fp_ieee_underflow 0
		.amdhsa_exception_fp_ieee_inexact 0
		.amdhsa_exception_int_div_zero 0
	.end_amdhsa_kernel
	.section	.text._ZN7rocprim17ROCPRIM_400000_NS6detail17trampoline_kernelINS0_14default_configENS1_21merge_config_selectorIjNS0_10empty_typeEEEZNS1_10merge_implIS3_N6thrust23THRUST_200600_302600_NS6detail15normal_iteratorINS9_10device_ptrIKjEEEESF_NSB_INSC_IjEEEEPS5_SI_SI_NS9_7greaterIjEEEE10hipError_tPvRmT0_T1_T2_T3_T4_T5_mmT6_P12ihipStream_tbEUlT_E_NS1_11comp_targetILNS1_3genE2ELNS1_11target_archE906ELNS1_3gpuE6ELNS1_3repE0EEENS1_30default_config_static_selectorELNS0_4arch9wavefront6targetE1EEEvSP_,"axG",@progbits,_ZN7rocprim17ROCPRIM_400000_NS6detail17trampoline_kernelINS0_14default_configENS1_21merge_config_selectorIjNS0_10empty_typeEEEZNS1_10merge_implIS3_N6thrust23THRUST_200600_302600_NS6detail15normal_iteratorINS9_10device_ptrIKjEEEESF_NSB_INSC_IjEEEEPS5_SI_SI_NS9_7greaterIjEEEE10hipError_tPvRmT0_T1_T2_T3_T4_T5_mmT6_P12ihipStream_tbEUlT_E_NS1_11comp_targetILNS1_3genE2ELNS1_11target_archE906ELNS1_3gpuE6ELNS1_3repE0EEENS1_30default_config_static_selectorELNS0_4arch9wavefront6targetE1EEEvSP_,comdat
.Lfunc_end519:
	.size	_ZN7rocprim17ROCPRIM_400000_NS6detail17trampoline_kernelINS0_14default_configENS1_21merge_config_selectorIjNS0_10empty_typeEEEZNS1_10merge_implIS3_N6thrust23THRUST_200600_302600_NS6detail15normal_iteratorINS9_10device_ptrIKjEEEESF_NSB_INSC_IjEEEEPS5_SI_SI_NS9_7greaterIjEEEE10hipError_tPvRmT0_T1_T2_T3_T4_T5_mmT6_P12ihipStream_tbEUlT_E_NS1_11comp_targetILNS1_3genE2ELNS1_11target_archE906ELNS1_3gpuE6ELNS1_3repE0EEENS1_30default_config_static_selectorELNS0_4arch9wavefront6targetE1EEEvSP_, .Lfunc_end519-_ZN7rocprim17ROCPRIM_400000_NS6detail17trampoline_kernelINS0_14default_configENS1_21merge_config_selectorIjNS0_10empty_typeEEEZNS1_10merge_implIS3_N6thrust23THRUST_200600_302600_NS6detail15normal_iteratorINS9_10device_ptrIKjEEEESF_NSB_INSC_IjEEEEPS5_SI_SI_NS9_7greaterIjEEEE10hipError_tPvRmT0_T1_T2_T3_T4_T5_mmT6_P12ihipStream_tbEUlT_E_NS1_11comp_targetILNS1_3genE2ELNS1_11target_archE906ELNS1_3gpuE6ELNS1_3repE0EEENS1_30default_config_static_selectorELNS0_4arch9wavefront6targetE1EEEvSP_
                                        ; -- End function
	.section	.AMDGPU.csdata,"",@progbits
; Kernel info:
; codeLenInByte = 0
; NumSgprs: 4
; NumVgprs: 0
; NumAgprs: 0
; TotalNumVgprs: 0
; ScratchSize: 0
; MemoryBound: 0
; FloatMode: 240
; IeeeMode: 1
; LDSByteSize: 0 bytes/workgroup (compile time only)
; SGPRBlocks: 0
; VGPRBlocks: 0
; NumSGPRsForWavesPerEU: 4
; NumVGPRsForWavesPerEU: 1
; AccumOffset: 4
; Occupancy: 8
; WaveLimiterHint : 0
; COMPUTE_PGM_RSRC2:SCRATCH_EN: 0
; COMPUTE_PGM_RSRC2:USER_SGPR: 6
; COMPUTE_PGM_RSRC2:TRAP_HANDLER: 0
; COMPUTE_PGM_RSRC2:TGID_X_EN: 1
; COMPUTE_PGM_RSRC2:TGID_Y_EN: 0
; COMPUTE_PGM_RSRC2:TGID_Z_EN: 0
; COMPUTE_PGM_RSRC2:TIDIG_COMP_CNT: 0
; COMPUTE_PGM_RSRC3_GFX90A:ACCUM_OFFSET: 0
; COMPUTE_PGM_RSRC3_GFX90A:TG_SPLIT: 0
	.section	.text._ZN7rocprim17ROCPRIM_400000_NS6detail17trampoline_kernelINS0_14default_configENS1_21merge_config_selectorIjNS0_10empty_typeEEEZNS1_10merge_implIS3_N6thrust23THRUST_200600_302600_NS6detail15normal_iteratorINS9_10device_ptrIKjEEEESF_NSB_INSC_IjEEEEPS5_SI_SI_NS9_7greaterIjEEEE10hipError_tPvRmT0_T1_T2_T3_T4_T5_mmT6_P12ihipStream_tbEUlT_E_NS1_11comp_targetILNS1_3genE10ELNS1_11target_archE1201ELNS1_3gpuE5ELNS1_3repE0EEENS1_30default_config_static_selectorELNS0_4arch9wavefront6targetE1EEEvSP_,"axG",@progbits,_ZN7rocprim17ROCPRIM_400000_NS6detail17trampoline_kernelINS0_14default_configENS1_21merge_config_selectorIjNS0_10empty_typeEEEZNS1_10merge_implIS3_N6thrust23THRUST_200600_302600_NS6detail15normal_iteratorINS9_10device_ptrIKjEEEESF_NSB_INSC_IjEEEEPS5_SI_SI_NS9_7greaterIjEEEE10hipError_tPvRmT0_T1_T2_T3_T4_T5_mmT6_P12ihipStream_tbEUlT_E_NS1_11comp_targetILNS1_3genE10ELNS1_11target_archE1201ELNS1_3gpuE5ELNS1_3repE0EEENS1_30default_config_static_selectorELNS0_4arch9wavefront6targetE1EEEvSP_,comdat
	.protected	_ZN7rocprim17ROCPRIM_400000_NS6detail17trampoline_kernelINS0_14default_configENS1_21merge_config_selectorIjNS0_10empty_typeEEEZNS1_10merge_implIS3_N6thrust23THRUST_200600_302600_NS6detail15normal_iteratorINS9_10device_ptrIKjEEEESF_NSB_INSC_IjEEEEPS5_SI_SI_NS9_7greaterIjEEEE10hipError_tPvRmT0_T1_T2_T3_T4_T5_mmT6_P12ihipStream_tbEUlT_E_NS1_11comp_targetILNS1_3genE10ELNS1_11target_archE1201ELNS1_3gpuE5ELNS1_3repE0EEENS1_30default_config_static_selectorELNS0_4arch9wavefront6targetE1EEEvSP_ ; -- Begin function _ZN7rocprim17ROCPRIM_400000_NS6detail17trampoline_kernelINS0_14default_configENS1_21merge_config_selectorIjNS0_10empty_typeEEEZNS1_10merge_implIS3_N6thrust23THRUST_200600_302600_NS6detail15normal_iteratorINS9_10device_ptrIKjEEEESF_NSB_INSC_IjEEEEPS5_SI_SI_NS9_7greaterIjEEEE10hipError_tPvRmT0_T1_T2_T3_T4_T5_mmT6_P12ihipStream_tbEUlT_E_NS1_11comp_targetILNS1_3genE10ELNS1_11target_archE1201ELNS1_3gpuE5ELNS1_3repE0EEENS1_30default_config_static_selectorELNS0_4arch9wavefront6targetE1EEEvSP_
	.globl	_ZN7rocprim17ROCPRIM_400000_NS6detail17trampoline_kernelINS0_14default_configENS1_21merge_config_selectorIjNS0_10empty_typeEEEZNS1_10merge_implIS3_N6thrust23THRUST_200600_302600_NS6detail15normal_iteratorINS9_10device_ptrIKjEEEESF_NSB_INSC_IjEEEEPS5_SI_SI_NS9_7greaterIjEEEE10hipError_tPvRmT0_T1_T2_T3_T4_T5_mmT6_P12ihipStream_tbEUlT_E_NS1_11comp_targetILNS1_3genE10ELNS1_11target_archE1201ELNS1_3gpuE5ELNS1_3repE0EEENS1_30default_config_static_selectorELNS0_4arch9wavefront6targetE1EEEvSP_
	.p2align	8
	.type	_ZN7rocprim17ROCPRIM_400000_NS6detail17trampoline_kernelINS0_14default_configENS1_21merge_config_selectorIjNS0_10empty_typeEEEZNS1_10merge_implIS3_N6thrust23THRUST_200600_302600_NS6detail15normal_iteratorINS9_10device_ptrIKjEEEESF_NSB_INSC_IjEEEEPS5_SI_SI_NS9_7greaterIjEEEE10hipError_tPvRmT0_T1_T2_T3_T4_T5_mmT6_P12ihipStream_tbEUlT_E_NS1_11comp_targetILNS1_3genE10ELNS1_11target_archE1201ELNS1_3gpuE5ELNS1_3repE0EEENS1_30default_config_static_selectorELNS0_4arch9wavefront6targetE1EEEvSP_,@function
_ZN7rocprim17ROCPRIM_400000_NS6detail17trampoline_kernelINS0_14default_configENS1_21merge_config_selectorIjNS0_10empty_typeEEEZNS1_10merge_implIS3_N6thrust23THRUST_200600_302600_NS6detail15normal_iteratorINS9_10device_ptrIKjEEEESF_NSB_INSC_IjEEEEPS5_SI_SI_NS9_7greaterIjEEEE10hipError_tPvRmT0_T1_T2_T3_T4_T5_mmT6_P12ihipStream_tbEUlT_E_NS1_11comp_targetILNS1_3genE10ELNS1_11target_archE1201ELNS1_3gpuE5ELNS1_3repE0EEENS1_30default_config_static_selectorELNS0_4arch9wavefront6targetE1EEEvSP_: ; @_ZN7rocprim17ROCPRIM_400000_NS6detail17trampoline_kernelINS0_14default_configENS1_21merge_config_selectorIjNS0_10empty_typeEEEZNS1_10merge_implIS3_N6thrust23THRUST_200600_302600_NS6detail15normal_iteratorINS9_10device_ptrIKjEEEESF_NSB_INSC_IjEEEEPS5_SI_SI_NS9_7greaterIjEEEE10hipError_tPvRmT0_T1_T2_T3_T4_T5_mmT6_P12ihipStream_tbEUlT_E_NS1_11comp_targetILNS1_3genE10ELNS1_11target_archE1201ELNS1_3gpuE5ELNS1_3repE0EEENS1_30default_config_static_selectorELNS0_4arch9wavefront6targetE1EEEvSP_
; %bb.0:
	.section	.rodata,"a",@progbits
	.p2align	6, 0x0
	.amdhsa_kernel _ZN7rocprim17ROCPRIM_400000_NS6detail17trampoline_kernelINS0_14default_configENS1_21merge_config_selectorIjNS0_10empty_typeEEEZNS1_10merge_implIS3_N6thrust23THRUST_200600_302600_NS6detail15normal_iteratorINS9_10device_ptrIKjEEEESF_NSB_INSC_IjEEEEPS5_SI_SI_NS9_7greaterIjEEEE10hipError_tPvRmT0_T1_T2_T3_T4_T5_mmT6_P12ihipStream_tbEUlT_E_NS1_11comp_targetILNS1_3genE10ELNS1_11target_archE1201ELNS1_3gpuE5ELNS1_3repE0EEENS1_30default_config_static_selectorELNS0_4arch9wavefront6targetE1EEEvSP_
		.amdhsa_group_segment_fixed_size 0
		.amdhsa_private_segment_fixed_size 0
		.amdhsa_kernarg_size 48
		.amdhsa_user_sgpr_count 6
		.amdhsa_user_sgpr_private_segment_buffer 1
		.amdhsa_user_sgpr_dispatch_ptr 0
		.amdhsa_user_sgpr_queue_ptr 0
		.amdhsa_user_sgpr_kernarg_segment_ptr 1
		.amdhsa_user_sgpr_dispatch_id 0
		.amdhsa_user_sgpr_flat_scratch_init 0
		.amdhsa_user_sgpr_kernarg_preload_length 0
		.amdhsa_user_sgpr_kernarg_preload_offset 0
		.amdhsa_user_sgpr_private_segment_size 0
		.amdhsa_uses_dynamic_stack 0
		.amdhsa_system_sgpr_private_segment_wavefront_offset 0
		.amdhsa_system_sgpr_workgroup_id_x 1
		.amdhsa_system_sgpr_workgroup_id_y 0
		.amdhsa_system_sgpr_workgroup_id_z 0
		.amdhsa_system_sgpr_workgroup_info 0
		.amdhsa_system_vgpr_workitem_id 0
		.amdhsa_next_free_vgpr 1
		.amdhsa_next_free_sgpr 0
		.amdhsa_accum_offset 4
		.amdhsa_reserve_vcc 0
		.amdhsa_reserve_flat_scratch 0
		.amdhsa_float_round_mode_32 0
		.amdhsa_float_round_mode_16_64 0
		.amdhsa_float_denorm_mode_32 3
		.amdhsa_float_denorm_mode_16_64 3
		.amdhsa_dx10_clamp 1
		.amdhsa_ieee_mode 1
		.amdhsa_fp16_overflow 0
		.amdhsa_tg_split 0
		.amdhsa_exception_fp_ieee_invalid_op 0
		.amdhsa_exception_fp_denorm_src 0
		.amdhsa_exception_fp_ieee_div_zero 0
		.amdhsa_exception_fp_ieee_overflow 0
		.amdhsa_exception_fp_ieee_underflow 0
		.amdhsa_exception_fp_ieee_inexact 0
		.amdhsa_exception_int_div_zero 0
	.end_amdhsa_kernel
	.section	.text._ZN7rocprim17ROCPRIM_400000_NS6detail17trampoline_kernelINS0_14default_configENS1_21merge_config_selectorIjNS0_10empty_typeEEEZNS1_10merge_implIS3_N6thrust23THRUST_200600_302600_NS6detail15normal_iteratorINS9_10device_ptrIKjEEEESF_NSB_INSC_IjEEEEPS5_SI_SI_NS9_7greaterIjEEEE10hipError_tPvRmT0_T1_T2_T3_T4_T5_mmT6_P12ihipStream_tbEUlT_E_NS1_11comp_targetILNS1_3genE10ELNS1_11target_archE1201ELNS1_3gpuE5ELNS1_3repE0EEENS1_30default_config_static_selectorELNS0_4arch9wavefront6targetE1EEEvSP_,"axG",@progbits,_ZN7rocprim17ROCPRIM_400000_NS6detail17trampoline_kernelINS0_14default_configENS1_21merge_config_selectorIjNS0_10empty_typeEEEZNS1_10merge_implIS3_N6thrust23THRUST_200600_302600_NS6detail15normal_iteratorINS9_10device_ptrIKjEEEESF_NSB_INSC_IjEEEEPS5_SI_SI_NS9_7greaterIjEEEE10hipError_tPvRmT0_T1_T2_T3_T4_T5_mmT6_P12ihipStream_tbEUlT_E_NS1_11comp_targetILNS1_3genE10ELNS1_11target_archE1201ELNS1_3gpuE5ELNS1_3repE0EEENS1_30default_config_static_selectorELNS0_4arch9wavefront6targetE1EEEvSP_,comdat
.Lfunc_end520:
	.size	_ZN7rocprim17ROCPRIM_400000_NS6detail17trampoline_kernelINS0_14default_configENS1_21merge_config_selectorIjNS0_10empty_typeEEEZNS1_10merge_implIS3_N6thrust23THRUST_200600_302600_NS6detail15normal_iteratorINS9_10device_ptrIKjEEEESF_NSB_INSC_IjEEEEPS5_SI_SI_NS9_7greaterIjEEEE10hipError_tPvRmT0_T1_T2_T3_T4_T5_mmT6_P12ihipStream_tbEUlT_E_NS1_11comp_targetILNS1_3genE10ELNS1_11target_archE1201ELNS1_3gpuE5ELNS1_3repE0EEENS1_30default_config_static_selectorELNS0_4arch9wavefront6targetE1EEEvSP_, .Lfunc_end520-_ZN7rocprim17ROCPRIM_400000_NS6detail17trampoline_kernelINS0_14default_configENS1_21merge_config_selectorIjNS0_10empty_typeEEEZNS1_10merge_implIS3_N6thrust23THRUST_200600_302600_NS6detail15normal_iteratorINS9_10device_ptrIKjEEEESF_NSB_INSC_IjEEEEPS5_SI_SI_NS9_7greaterIjEEEE10hipError_tPvRmT0_T1_T2_T3_T4_T5_mmT6_P12ihipStream_tbEUlT_E_NS1_11comp_targetILNS1_3genE10ELNS1_11target_archE1201ELNS1_3gpuE5ELNS1_3repE0EEENS1_30default_config_static_selectorELNS0_4arch9wavefront6targetE1EEEvSP_
                                        ; -- End function
	.section	.AMDGPU.csdata,"",@progbits
; Kernel info:
; codeLenInByte = 0
; NumSgprs: 4
; NumVgprs: 0
; NumAgprs: 0
; TotalNumVgprs: 0
; ScratchSize: 0
; MemoryBound: 0
; FloatMode: 240
; IeeeMode: 1
; LDSByteSize: 0 bytes/workgroup (compile time only)
; SGPRBlocks: 0
; VGPRBlocks: 0
; NumSGPRsForWavesPerEU: 4
; NumVGPRsForWavesPerEU: 1
; AccumOffset: 4
; Occupancy: 8
; WaveLimiterHint : 0
; COMPUTE_PGM_RSRC2:SCRATCH_EN: 0
; COMPUTE_PGM_RSRC2:USER_SGPR: 6
; COMPUTE_PGM_RSRC2:TRAP_HANDLER: 0
; COMPUTE_PGM_RSRC2:TGID_X_EN: 1
; COMPUTE_PGM_RSRC2:TGID_Y_EN: 0
; COMPUTE_PGM_RSRC2:TGID_Z_EN: 0
; COMPUTE_PGM_RSRC2:TIDIG_COMP_CNT: 0
; COMPUTE_PGM_RSRC3_GFX90A:ACCUM_OFFSET: 0
; COMPUTE_PGM_RSRC3_GFX90A:TG_SPLIT: 0
	.section	.text._ZN7rocprim17ROCPRIM_400000_NS6detail17trampoline_kernelINS0_14default_configENS1_21merge_config_selectorIjNS0_10empty_typeEEEZNS1_10merge_implIS3_N6thrust23THRUST_200600_302600_NS6detail15normal_iteratorINS9_10device_ptrIKjEEEESF_NSB_INSC_IjEEEEPS5_SI_SI_NS9_7greaterIjEEEE10hipError_tPvRmT0_T1_T2_T3_T4_T5_mmT6_P12ihipStream_tbEUlT_E_NS1_11comp_targetILNS1_3genE10ELNS1_11target_archE1200ELNS1_3gpuE4ELNS1_3repE0EEENS1_30default_config_static_selectorELNS0_4arch9wavefront6targetE1EEEvSP_,"axG",@progbits,_ZN7rocprim17ROCPRIM_400000_NS6detail17trampoline_kernelINS0_14default_configENS1_21merge_config_selectorIjNS0_10empty_typeEEEZNS1_10merge_implIS3_N6thrust23THRUST_200600_302600_NS6detail15normal_iteratorINS9_10device_ptrIKjEEEESF_NSB_INSC_IjEEEEPS5_SI_SI_NS9_7greaterIjEEEE10hipError_tPvRmT0_T1_T2_T3_T4_T5_mmT6_P12ihipStream_tbEUlT_E_NS1_11comp_targetILNS1_3genE10ELNS1_11target_archE1200ELNS1_3gpuE4ELNS1_3repE0EEENS1_30default_config_static_selectorELNS0_4arch9wavefront6targetE1EEEvSP_,comdat
	.protected	_ZN7rocprim17ROCPRIM_400000_NS6detail17trampoline_kernelINS0_14default_configENS1_21merge_config_selectorIjNS0_10empty_typeEEEZNS1_10merge_implIS3_N6thrust23THRUST_200600_302600_NS6detail15normal_iteratorINS9_10device_ptrIKjEEEESF_NSB_INSC_IjEEEEPS5_SI_SI_NS9_7greaterIjEEEE10hipError_tPvRmT0_T1_T2_T3_T4_T5_mmT6_P12ihipStream_tbEUlT_E_NS1_11comp_targetILNS1_3genE10ELNS1_11target_archE1200ELNS1_3gpuE4ELNS1_3repE0EEENS1_30default_config_static_selectorELNS0_4arch9wavefront6targetE1EEEvSP_ ; -- Begin function _ZN7rocprim17ROCPRIM_400000_NS6detail17trampoline_kernelINS0_14default_configENS1_21merge_config_selectorIjNS0_10empty_typeEEEZNS1_10merge_implIS3_N6thrust23THRUST_200600_302600_NS6detail15normal_iteratorINS9_10device_ptrIKjEEEESF_NSB_INSC_IjEEEEPS5_SI_SI_NS9_7greaterIjEEEE10hipError_tPvRmT0_T1_T2_T3_T4_T5_mmT6_P12ihipStream_tbEUlT_E_NS1_11comp_targetILNS1_3genE10ELNS1_11target_archE1200ELNS1_3gpuE4ELNS1_3repE0EEENS1_30default_config_static_selectorELNS0_4arch9wavefront6targetE1EEEvSP_
	.globl	_ZN7rocprim17ROCPRIM_400000_NS6detail17trampoline_kernelINS0_14default_configENS1_21merge_config_selectorIjNS0_10empty_typeEEEZNS1_10merge_implIS3_N6thrust23THRUST_200600_302600_NS6detail15normal_iteratorINS9_10device_ptrIKjEEEESF_NSB_INSC_IjEEEEPS5_SI_SI_NS9_7greaterIjEEEE10hipError_tPvRmT0_T1_T2_T3_T4_T5_mmT6_P12ihipStream_tbEUlT_E_NS1_11comp_targetILNS1_3genE10ELNS1_11target_archE1200ELNS1_3gpuE4ELNS1_3repE0EEENS1_30default_config_static_selectorELNS0_4arch9wavefront6targetE1EEEvSP_
	.p2align	8
	.type	_ZN7rocprim17ROCPRIM_400000_NS6detail17trampoline_kernelINS0_14default_configENS1_21merge_config_selectorIjNS0_10empty_typeEEEZNS1_10merge_implIS3_N6thrust23THRUST_200600_302600_NS6detail15normal_iteratorINS9_10device_ptrIKjEEEESF_NSB_INSC_IjEEEEPS5_SI_SI_NS9_7greaterIjEEEE10hipError_tPvRmT0_T1_T2_T3_T4_T5_mmT6_P12ihipStream_tbEUlT_E_NS1_11comp_targetILNS1_3genE10ELNS1_11target_archE1200ELNS1_3gpuE4ELNS1_3repE0EEENS1_30default_config_static_selectorELNS0_4arch9wavefront6targetE1EEEvSP_,@function
_ZN7rocprim17ROCPRIM_400000_NS6detail17trampoline_kernelINS0_14default_configENS1_21merge_config_selectorIjNS0_10empty_typeEEEZNS1_10merge_implIS3_N6thrust23THRUST_200600_302600_NS6detail15normal_iteratorINS9_10device_ptrIKjEEEESF_NSB_INSC_IjEEEEPS5_SI_SI_NS9_7greaterIjEEEE10hipError_tPvRmT0_T1_T2_T3_T4_T5_mmT6_P12ihipStream_tbEUlT_E_NS1_11comp_targetILNS1_3genE10ELNS1_11target_archE1200ELNS1_3gpuE4ELNS1_3repE0EEENS1_30default_config_static_selectorELNS0_4arch9wavefront6targetE1EEEvSP_: ; @_ZN7rocprim17ROCPRIM_400000_NS6detail17trampoline_kernelINS0_14default_configENS1_21merge_config_selectorIjNS0_10empty_typeEEEZNS1_10merge_implIS3_N6thrust23THRUST_200600_302600_NS6detail15normal_iteratorINS9_10device_ptrIKjEEEESF_NSB_INSC_IjEEEEPS5_SI_SI_NS9_7greaterIjEEEE10hipError_tPvRmT0_T1_T2_T3_T4_T5_mmT6_P12ihipStream_tbEUlT_E_NS1_11comp_targetILNS1_3genE10ELNS1_11target_archE1200ELNS1_3gpuE4ELNS1_3repE0EEENS1_30default_config_static_selectorELNS0_4arch9wavefront6targetE1EEEvSP_
; %bb.0:
	.section	.rodata,"a",@progbits
	.p2align	6, 0x0
	.amdhsa_kernel _ZN7rocprim17ROCPRIM_400000_NS6detail17trampoline_kernelINS0_14default_configENS1_21merge_config_selectorIjNS0_10empty_typeEEEZNS1_10merge_implIS3_N6thrust23THRUST_200600_302600_NS6detail15normal_iteratorINS9_10device_ptrIKjEEEESF_NSB_INSC_IjEEEEPS5_SI_SI_NS9_7greaterIjEEEE10hipError_tPvRmT0_T1_T2_T3_T4_T5_mmT6_P12ihipStream_tbEUlT_E_NS1_11comp_targetILNS1_3genE10ELNS1_11target_archE1200ELNS1_3gpuE4ELNS1_3repE0EEENS1_30default_config_static_selectorELNS0_4arch9wavefront6targetE1EEEvSP_
		.amdhsa_group_segment_fixed_size 0
		.amdhsa_private_segment_fixed_size 0
		.amdhsa_kernarg_size 48
		.amdhsa_user_sgpr_count 6
		.amdhsa_user_sgpr_private_segment_buffer 1
		.amdhsa_user_sgpr_dispatch_ptr 0
		.amdhsa_user_sgpr_queue_ptr 0
		.amdhsa_user_sgpr_kernarg_segment_ptr 1
		.amdhsa_user_sgpr_dispatch_id 0
		.amdhsa_user_sgpr_flat_scratch_init 0
		.amdhsa_user_sgpr_kernarg_preload_length 0
		.amdhsa_user_sgpr_kernarg_preload_offset 0
		.amdhsa_user_sgpr_private_segment_size 0
		.amdhsa_uses_dynamic_stack 0
		.amdhsa_system_sgpr_private_segment_wavefront_offset 0
		.amdhsa_system_sgpr_workgroup_id_x 1
		.amdhsa_system_sgpr_workgroup_id_y 0
		.amdhsa_system_sgpr_workgroup_id_z 0
		.amdhsa_system_sgpr_workgroup_info 0
		.amdhsa_system_vgpr_workitem_id 0
		.amdhsa_next_free_vgpr 1
		.amdhsa_next_free_sgpr 0
		.amdhsa_accum_offset 4
		.amdhsa_reserve_vcc 0
		.amdhsa_reserve_flat_scratch 0
		.amdhsa_float_round_mode_32 0
		.amdhsa_float_round_mode_16_64 0
		.amdhsa_float_denorm_mode_32 3
		.amdhsa_float_denorm_mode_16_64 3
		.amdhsa_dx10_clamp 1
		.amdhsa_ieee_mode 1
		.amdhsa_fp16_overflow 0
		.amdhsa_tg_split 0
		.amdhsa_exception_fp_ieee_invalid_op 0
		.amdhsa_exception_fp_denorm_src 0
		.amdhsa_exception_fp_ieee_div_zero 0
		.amdhsa_exception_fp_ieee_overflow 0
		.amdhsa_exception_fp_ieee_underflow 0
		.amdhsa_exception_fp_ieee_inexact 0
		.amdhsa_exception_int_div_zero 0
	.end_amdhsa_kernel
	.section	.text._ZN7rocprim17ROCPRIM_400000_NS6detail17trampoline_kernelINS0_14default_configENS1_21merge_config_selectorIjNS0_10empty_typeEEEZNS1_10merge_implIS3_N6thrust23THRUST_200600_302600_NS6detail15normal_iteratorINS9_10device_ptrIKjEEEESF_NSB_INSC_IjEEEEPS5_SI_SI_NS9_7greaterIjEEEE10hipError_tPvRmT0_T1_T2_T3_T4_T5_mmT6_P12ihipStream_tbEUlT_E_NS1_11comp_targetILNS1_3genE10ELNS1_11target_archE1200ELNS1_3gpuE4ELNS1_3repE0EEENS1_30default_config_static_selectorELNS0_4arch9wavefront6targetE1EEEvSP_,"axG",@progbits,_ZN7rocprim17ROCPRIM_400000_NS6detail17trampoline_kernelINS0_14default_configENS1_21merge_config_selectorIjNS0_10empty_typeEEEZNS1_10merge_implIS3_N6thrust23THRUST_200600_302600_NS6detail15normal_iteratorINS9_10device_ptrIKjEEEESF_NSB_INSC_IjEEEEPS5_SI_SI_NS9_7greaterIjEEEE10hipError_tPvRmT0_T1_T2_T3_T4_T5_mmT6_P12ihipStream_tbEUlT_E_NS1_11comp_targetILNS1_3genE10ELNS1_11target_archE1200ELNS1_3gpuE4ELNS1_3repE0EEENS1_30default_config_static_selectorELNS0_4arch9wavefront6targetE1EEEvSP_,comdat
.Lfunc_end521:
	.size	_ZN7rocprim17ROCPRIM_400000_NS6detail17trampoline_kernelINS0_14default_configENS1_21merge_config_selectorIjNS0_10empty_typeEEEZNS1_10merge_implIS3_N6thrust23THRUST_200600_302600_NS6detail15normal_iteratorINS9_10device_ptrIKjEEEESF_NSB_INSC_IjEEEEPS5_SI_SI_NS9_7greaterIjEEEE10hipError_tPvRmT0_T1_T2_T3_T4_T5_mmT6_P12ihipStream_tbEUlT_E_NS1_11comp_targetILNS1_3genE10ELNS1_11target_archE1200ELNS1_3gpuE4ELNS1_3repE0EEENS1_30default_config_static_selectorELNS0_4arch9wavefront6targetE1EEEvSP_, .Lfunc_end521-_ZN7rocprim17ROCPRIM_400000_NS6detail17trampoline_kernelINS0_14default_configENS1_21merge_config_selectorIjNS0_10empty_typeEEEZNS1_10merge_implIS3_N6thrust23THRUST_200600_302600_NS6detail15normal_iteratorINS9_10device_ptrIKjEEEESF_NSB_INSC_IjEEEEPS5_SI_SI_NS9_7greaterIjEEEE10hipError_tPvRmT0_T1_T2_T3_T4_T5_mmT6_P12ihipStream_tbEUlT_E_NS1_11comp_targetILNS1_3genE10ELNS1_11target_archE1200ELNS1_3gpuE4ELNS1_3repE0EEENS1_30default_config_static_selectorELNS0_4arch9wavefront6targetE1EEEvSP_
                                        ; -- End function
	.section	.AMDGPU.csdata,"",@progbits
; Kernel info:
; codeLenInByte = 0
; NumSgprs: 4
; NumVgprs: 0
; NumAgprs: 0
; TotalNumVgprs: 0
; ScratchSize: 0
; MemoryBound: 0
; FloatMode: 240
; IeeeMode: 1
; LDSByteSize: 0 bytes/workgroup (compile time only)
; SGPRBlocks: 0
; VGPRBlocks: 0
; NumSGPRsForWavesPerEU: 4
; NumVGPRsForWavesPerEU: 1
; AccumOffset: 4
; Occupancy: 8
; WaveLimiterHint : 0
; COMPUTE_PGM_RSRC2:SCRATCH_EN: 0
; COMPUTE_PGM_RSRC2:USER_SGPR: 6
; COMPUTE_PGM_RSRC2:TRAP_HANDLER: 0
; COMPUTE_PGM_RSRC2:TGID_X_EN: 1
; COMPUTE_PGM_RSRC2:TGID_Y_EN: 0
; COMPUTE_PGM_RSRC2:TGID_Z_EN: 0
; COMPUTE_PGM_RSRC2:TIDIG_COMP_CNT: 0
; COMPUTE_PGM_RSRC3_GFX90A:ACCUM_OFFSET: 0
; COMPUTE_PGM_RSRC3_GFX90A:TG_SPLIT: 0
	.section	.text._ZN7rocprim17ROCPRIM_400000_NS6detail17trampoline_kernelINS0_14default_configENS1_21merge_config_selectorIjNS0_10empty_typeEEEZNS1_10merge_implIS3_N6thrust23THRUST_200600_302600_NS6detail15normal_iteratorINS9_10device_ptrIKjEEEESF_NSB_INSC_IjEEEEPS5_SI_SI_NS9_7greaterIjEEEE10hipError_tPvRmT0_T1_T2_T3_T4_T5_mmT6_P12ihipStream_tbEUlT_E_NS1_11comp_targetILNS1_3genE9ELNS1_11target_archE1100ELNS1_3gpuE3ELNS1_3repE0EEENS1_30default_config_static_selectorELNS0_4arch9wavefront6targetE1EEEvSP_,"axG",@progbits,_ZN7rocprim17ROCPRIM_400000_NS6detail17trampoline_kernelINS0_14default_configENS1_21merge_config_selectorIjNS0_10empty_typeEEEZNS1_10merge_implIS3_N6thrust23THRUST_200600_302600_NS6detail15normal_iteratorINS9_10device_ptrIKjEEEESF_NSB_INSC_IjEEEEPS5_SI_SI_NS9_7greaterIjEEEE10hipError_tPvRmT0_T1_T2_T3_T4_T5_mmT6_P12ihipStream_tbEUlT_E_NS1_11comp_targetILNS1_3genE9ELNS1_11target_archE1100ELNS1_3gpuE3ELNS1_3repE0EEENS1_30default_config_static_selectorELNS0_4arch9wavefront6targetE1EEEvSP_,comdat
	.protected	_ZN7rocprim17ROCPRIM_400000_NS6detail17trampoline_kernelINS0_14default_configENS1_21merge_config_selectorIjNS0_10empty_typeEEEZNS1_10merge_implIS3_N6thrust23THRUST_200600_302600_NS6detail15normal_iteratorINS9_10device_ptrIKjEEEESF_NSB_INSC_IjEEEEPS5_SI_SI_NS9_7greaterIjEEEE10hipError_tPvRmT0_T1_T2_T3_T4_T5_mmT6_P12ihipStream_tbEUlT_E_NS1_11comp_targetILNS1_3genE9ELNS1_11target_archE1100ELNS1_3gpuE3ELNS1_3repE0EEENS1_30default_config_static_selectorELNS0_4arch9wavefront6targetE1EEEvSP_ ; -- Begin function _ZN7rocprim17ROCPRIM_400000_NS6detail17trampoline_kernelINS0_14default_configENS1_21merge_config_selectorIjNS0_10empty_typeEEEZNS1_10merge_implIS3_N6thrust23THRUST_200600_302600_NS6detail15normal_iteratorINS9_10device_ptrIKjEEEESF_NSB_INSC_IjEEEEPS5_SI_SI_NS9_7greaterIjEEEE10hipError_tPvRmT0_T1_T2_T3_T4_T5_mmT6_P12ihipStream_tbEUlT_E_NS1_11comp_targetILNS1_3genE9ELNS1_11target_archE1100ELNS1_3gpuE3ELNS1_3repE0EEENS1_30default_config_static_selectorELNS0_4arch9wavefront6targetE1EEEvSP_
	.globl	_ZN7rocprim17ROCPRIM_400000_NS6detail17trampoline_kernelINS0_14default_configENS1_21merge_config_selectorIjNS0_10empty_typeEEEZNS1_10merge_implIS3_N6thrust23THRUST_200600_302600_NS6detail15normal_iteratorINS9_10device_ptrIKjEEEESF_NSB_INSC_IjEEEEPS5_SI_SI_NS9_7greaterIjEEEE10hipError_tPvRmT0_T1_T2_T3_T4_T5_mmT6_P12ihipStream_tbEUlT_E_NS1_11comp_targetILNS1_3genE9ELNS1_11target_archE1100ELNS1_3gpuE3ELNS1_3repE0EEENS1_30default_config_static_selectorELNS0_4arch9wavefront6targetE1EEEvSP_
	.p2align	8
	.type	_ZN7rocprim17ROCPRIM_400000_NS6detail17trampoline_kernelINS0_14default_configENS1_21merge_config_selectorIjNS0_10empty_typeEEEZNS1_10merge_implIS3_N6thrust23THRUST_200600_302600_NS6detail15normal_iteratorINS9_10device_ptrIKjEEEESF_NSB_INSC_IjEEEEPS5_SI_SI_NS9_7greaterIjEEEE10hipError_tPvRmT0_T1_T2_T3_T4_T5_mmT6_P12ihipStream_tbEUlT_E_NS1_11comp_targetILNS1_3genE9ELNS1_11target_archE1100ELNS1_3gpuE3ELNS1_3repE0EEENS1_30default_config_static_selectorELNS0_4arch9wavefront6targetE1EEEvSP_,@function
_ZN7rocprim17ROCPRIM_400000_NS6detail17trampoline_kernelINS0_14default_configENS1_21merge_config_selectorIjNS0_10empty_typeEEEZNS1_10merge_implIS3_N6thrust23THRUST_200600_302600_NS6detail15normal_iteratorINS9_10device_ptrIKjEEEESF_NSB_INSC_IjEEEEPS5_SI_SI_NS9_7greaterIjEEEE10hipError_tPvRmT0_T1_T2_T3_T4_T5_mmT6_P12ihipStream_tbEUlT_E_NS1_11comp_targetILNS1_3genE9ELNS1_11target_archE1100ELNS1_3gpuE3ELNS1_3repE0EEENS1_30default_config_static_selectorELNS0_4arch9wavefront6targetE1EEEvSP_: ; @_ZN7rocprim17ROCPRIM_400000_NS6detail17trampoline_kernelINS0_14default_configENS1_21merge_config_selectorIjNS0_10empty_typeEEEZNS1_10merge_implIS3_N6thrust23THRUST_200600_302600_NS6detail15normal_iteratorINS9_10device_ptrIKjEEEESF_NSB_INSC_IjEEEEPS5_SI_SI_NS9_7greaterIjEEEE10hipError_tPvRmT0_T1_T2_T3_T4_T5_mmT6_P12ihipStream_tbEUlT_E_NS1_11comp_targetILNS1_3genE9ELNS1_11target_archE1100ELNS1_3gpuE3ELNS1_3repE0EEENS1_30default_config_static_selectorELNS0_4arch9wavefront6targetE1EEEvSP_
; %bb.0:
	.section	.rodata,"a",@progbits
	.p2align	6, 0x0
	.amdhsa_kernel _ZN7rocprim17ROCPRIM_400000_NS6detail17trampoline_kernelINS0_14default_configENS1_21merge_config_selectorIjNS0_10empty_typeEEEZNS1_10merge_implIS3_N6thrust23THRUST_200600_302600_NS6detail15normal_iteratorINS9_10device_ptrIKjEEEESF_NSB_INSC_IjEEEEPS5_SI_SI_NS9_7greaterIjEEEE10hipError_tPvRmT0_T1_T2_T3_T4_T5_mmT6_P12ihipStream_tbEUlT_E_NS1_11comp_targetILNS1_3genE9ELNS1_11target_archE1100ELNS1_3gpuE3ELNS1_3repE0EEENS1_30default_config_static_selectorELNS0_4arch9wavefront6targetE1EEEvSP_
		.amdhsa_group_segment_fixed_size 0
		.amdhsa_private_segment_fixed_size 0
		.amdhsa_kernarg_size 48
		.amdhsa_user_sgpr_count 6
		.amdhsa_user_sgpr_private_segment_buffer 1
		.amdhsa_user_sgpr_dispatch_ptr 0
		.amdhsa_user_sgpr_queue_ptr 0
		.amdhsa_user_sgpr_kernarg_segment_ptr 1
		.amdhsa_user_sgpr_dispatch_id 0
		.amdhsa_user_sgpr_flat_scratch_init 0
		.amdhsa_user_sgpr_kernarg_preload_length 0
		.amdhsa_user_sgpr_kernarg_preload_offset 0
		.amdhsa_user_sgpr_private_segment_size 0
		.amdhsa_uses_dynamic_stack 0
		.amdhsa_system_sgpr_private_segment_wavefront_offset 0
		.amdhsa_system_sgpr_workgroup_id_x 1
		.amdhsa_system_sgpr_workgroup_id_y 0
		.amdhsa_system_sgpr_workgroup_id_z 0
		.amdhsa_system_sgpr_workgroup_info 0
		.amdhsa_system_vgpr_workitem_id 0
		.amdhsa_next_free_vgpr 1
		.amdhsa_next_free_sgpr 0
		.amdhsa_accum_offset 4
		.amdhsa_reserve_vcc 0
		.amdhsa_reserve_flat_scratch 0
		.amdhsa_float_round_mode_32 0
		.amdhsa_float_round_mode_16_64 0
		.amdhsa_float_denorm_mode_32 3
		.amdhsa_float_denorm_mode_16_64 3
		.amdhsa_dx10_clamp 1
		.amdhsa_ieee_mode 1
		.amdhsa_fp16_overflow 0
		.amdhsa_tg_split 0
		.amdhsa_exception_fp_ieee_invalid_op 0
		.amdhsa_exception_fp_denorm_src 0
		.amdhsa_exception_fp_ieee_div_zero 0
		.amdhsa_exception_fp_ieee_overflow 0
		.amdhsa_exception_fp_ieee_underflow 0
		.amdhsa_exception_fp_ieee_inexact 0
		.amdhsa_exception_int_div_zero 0
	.end_amdhsa_kernel
	.section	.text._ZN7rocprim17ROCPRIM_400000_NS6detail17trampoline_kernelINS0_14default_configENS1_21merge_config_selectorIjNS0_10empty_typeEEEZNS1_10merge_implIS3_N6thrust23THRUST_200600_302600_NS6detail15normal_iteratorINS9_10device_ptrIKjEEEESF_NSB_INSC_IjEEEEPS5_SI_SI_NS9_7greaterIjEEEE10hipError_tPvRmT0_T1_T2_T3_T4_T5_mmT6_P12ihipStream_tbEUlT_E_NS1_11comp_targetILNS1_3genE9ELNS1_11target_archE1100ELNS1_3gpuE3ELNS1_3repE0EEENS1_30default_config_static_selectorELNS0_4arch9wavefront6targetE1EEEvSP_,"axG",@progbits,_ZN7rocprim17ROCPRIM_400000_NS6detail17trampoline_kernelINS0_14default_configENS1_21merge_config_selectorIjNS0_10empty_typeEEEZNS1_10merge_implIS3_N6thrust23THRUST_200600_302600_NS6detail15normal_iteratorINS9_10device_ptrIKjEEEESF_NSB_INSC_IjEEEEPS5_SI_SI_NS9_7greaterIjEEEE10hipError_tPvRmT0_T1_T2_T3_T4_T5_mmT6_P12ihipStream_tbEUlT_E_NS1_11comp_targetILNS1_3genE9ELNS1_11target_archE1100ELNS1_3gpuE3ELNS1_3repE0EEENS1_30default_config_static_selectorELNS0_4arch9wavefront6targetE1EEEvSP_,comdat
.Lfunc_end522:
	.size	_ZN7rocprim17ROCPRIM_400000_NS6detail17trampoline_kernelINS0_14default_configENS1_21merge_config_selectorIjNS0_10empty_typeEEEZNS1_10merge_implIS3_N6thrust23THRUST_200600_302600_NS6detail15normal_iteratorINS9_10device_ptrIKjEEEESF_NSB_INSC_IjEEEEPS5_SI_SI_NS9_7greaterIjEEEE10hipError_tPvRmT0_T1_T2_T3_T4_T5_mmT6_P12ihipStream_tbEUlT_E_NS1_11comp_targetILNS1_3genE9ELNS1_11target_archE1100ELNS1_3gpuE3ELNS1_3repE0EEENS1_30default_config_static_selectorELNS0_4arch9wavefront6targetE1EEEvSP_, .Lfunc_end522-_ZN7rocprim17ROCPRIM_400000_NS6detail17trampoline_kernelINS0_14default_configENS1_21merge_config_selectorIjNS0_10empty_typeEEEZNS1_10merge_implIS3_N6thrust23THRUST_200600_302600_NS6detail15normal_iteratorINS9_10device_ptrIKjEEEESF_NSB_INSC_IjEEEEPS5_SI_SI_NS9_7greaterIjEEEE10hipError_tPvRmT0_T1_T2_T3_T4_T5_mmT6_P12ihipStream_tbEUlT_E_NS1_11comp_targetILNS1_3genE9ELNS1_11target_archE1100ELNS1_3gpuE3ELNS1_3repE0EEENS1_30default_config_static_selectorELNS0_4arch9wavefront6targetE1EEEvSP_
                                        ; -- End function
	.section	.AMDGPU.csdata,"",@progbits
; Kernel info:
; codeLenInByte = 0
; NumSgprs: 4
; NumVgprs: 0
; NumAgprs: 0
; TotalNumVgprs: 0
; ScratchSize: 0
; MemoryBound: 0
; FloatMode: 240
; IeeeMode: 1
; LDSByteSize: 0 bytes/workgroup (compile time only)
; SGPRBlocks: 0
; VGPRBlocks: 0
; NumSGPRsForWavesPerEU: 4
; NumVGPRsForWavesPerEU: 1
; AccumOffset: 4
; Occupancy: 8
; WaveLimiterHint : 0
; COMPUTE_PGM_RSRC2:SCRATCH_EN: 0
; COMPUTE_PGM_RSRC2:USER_SGPR: 6
; COMPUTE_PGM_RSRC2:TRAP_HANDLER: 0
; COMPUTE_PGM_RSRC2:TGID_X_EN: 1
; COMPUTE_PGM_RSRC2:TGID_Y_EN: 0
; COMPUTE_PGM_RSRC2:TGID_Z_EN: 0
; COMPUTE_PGM_RSRC2:TIDIG_COMP_CNT: 0
; COMPUTE_PGM_RSRC3_GFX90A:ACCUM_OFFSET: 0
; COMPUTE_PGM_RSRC3_GFX90A:TG_SPLIT: 0
	.section	.text._ZN7rocprim17ROCPRIM_400000_NS6detail17trampoline_kernelINS0_14default_configENS1_21merge_config_selectorIjNS0_10empty_typeEEEZNS1_10merge_implIS3_N6thrust23THRUST_200600_302600_NS6detail15normal_iteratorINS9_10device_ptrIKjEEEESF_NSB_INSC_IjEEEEPS5_SI_SI_NS9_7greaterIjEEEE10hipError_tPvRmT0_T1_T2_T3_T4_T5_mmT6_P12ihipStream_tbEUlT_E_NS1_11comp_targetILNS1_3genE8ELNS1_11target_archE1030ELNS1_3gpuE2ELNS1_3repE0EEENS1_30default_config_static_selectorELNS0_4arch9wavefront6targetE1EEEvSP_,"axG",@progbits,_ZN7rocprim17ROCPRIM_400000_NS6detail17trampoline_kernelINS0_14default_configENS1_21merge_config_selectorIjNS0_10empty_typeEEEZNS1_10merge_implIS3_N6thrust23THRUST_200600_302600_NS6detail15normal_iteratorINS9_10device_ptrIKjEEEESF_NSB_INSC_IjEEEEPS5_SI_SI_NS9_7greaterIjEEEE10hipError_tPvRmT0_T1_T2_T3_T4_T5_mmT6_P12ihipStream_tbEUlT_E_NS1_11comp_targetILNS1_3genE8ELNS1_11target_archE1030ELNS1_3gpuE2ELNS1_3repE0EEENS1_30default_config_static_selectorELNS0_4arch9wavefront6targetE1EEEvSP_,comdat
	.protected	_ZN7rocprim17ROCPRIM_400000_NS6detail17trampoline_kernelINS0_14default_configENS1_21merge_config_selectorIjNS0_10empty_typeEEEZNS1_10merge_implIS3_N6thrust23THRUST_200600_302600_NS6detail15normal_iteratorINS9_10device_ptrIKjEEEESF_NSB_INSC_IjEEEEPS5_SI_SI_NS9_7greaterIjEEEE10hipError_tPvRmT0_T1_T2_T3_T4_T5_mmT6_P12ihipStream_tbEUlT_E_NS1_11comp_targetILNS1_3genE8ELNS1_11target_archE1030ELNS1_3gpuE2ELNS1_3repE0EEENS1_30default_config_static_selectorELNS0_4arch9wavefront6targetE1EEEvSP_ ; -- Begin function _ZN7rocprim17ROCPRIM_400000_NS6detail17trampoline_kernelINS0_14default_configENS1_21merge_config_selectorIjNS0_10empty_typeEEEZNS1_10merge_implIS3_N6thrust23THRUST_200600_302600_NS6detail15normal_iteratorINS9_10device_ptrIKjEEEESF_NSB_INSC_IjEEEEPS5_SI_SI_NS9_7greaterIjEEEE10hipError_tPvRmT0_T1_T2_T3_T4_T5_mmT6_P12ihipStream_tbEUlT_E_NS1_11comp_targetILNS1_3genE8ELNS1_11target_archE1030ELNS1_3gpuE2ELNS1_3repE0EEENS1_30default_config_static_selectorELNS0_4arch9wavefront6targetE1EEEvSP_
	.globl	_ZN7rocprim17ROCPRIM_400000_NS6detail17trampoline_kernelINS0_14default_configENS1_21merge_config_selectorIjNS0_10empty_typeEEEZNS1_10merge_implIS3_N6thrust23THRUST_200600_302600_NS6detail15normal_iteratorINS9_10device_ptrIKjEEEESF_NSB_INSC_IjEEEEPS5_SI_SI_NS9_7greaterIjEEEE10hipError_tPvRmT0_T1_T2_T3_T4_T5_mmT6_P12ihipStream_tbEUlT_E_NS1_11comp_targetILNS1_3genE8ELNS1_11target_archE1030ELNS1_3gpuE2ELNS1_3repE0EEENS1_30default_config_static_selectorELNS0_4arch9wavefront6targetE1EEEvSP_
	.p2align	8
	.type	_ZN7rocprim17ROCPRIM_400000_NS6detail17trampoline_kernelINS0_14default_configENS1_21merge_config_selectorIjNS0_10empty_typeEEEZNS1_10merge_implIS3_N6thrust23THRUST_200600_302600_NS6detail15normal_iteratorINS9_10device_ptrIKjEEEESF_NSB_INSC_IjEEEEPS5_SI_SI_NS9_7greaterIjEEEE10hipError_tPvRmT0_T1_T2_T3_T4_T5_mmT6_P12ihipStream_tbEUlT_E_NS1_11comp_targetILNS1_3genE8ELNS1_11target_archE1030ELNS1_3gpuE2ELNS1_3repE0EEENS1_30default_config_static_selectorELNS0_4arch9wavefront6targetE1EEEvSP_,@function
_ZN7rocprim17ROCPRIM_400000_NS6detail17trampoline_kernelINS0_14default_configENS1_21merge_config_selectorIjNS0_10empty_typeEEEZNS1_10merge_implIS3_N6thrust23THRUST_200600_302600_NS6detail15normal_iteratorINS9_10device_ptrIKjEEEESF_NSB_INSC_IjEEEEPS5_SI_SI_NS9_7greaterIjEEEE10hipError_tPvRmT0_T1_T2_T3_T4_T5_mmT6_P12ihipStream_tbEUlT_E_NS1_11comp_targetILNS1_3genE8ELNS1_11target_archE1030ELNS1_3gpuE2ELNS1_3repE0EEENS1_30default_config_static_selectorELNS0_4arch9wavefront6targetE1EEEvSP_: ; @_ZN7rocprim17ROCPRIM_400000_NS6detail17trampoline_kernelINS0_14default_configENS1_21merge_config_selectorIjNS0_10empty_typeEEEZNS1_10merge_implIS3_N6thrust23THRUST_200600_302600_NS6detail15normal_iteratorINS9_10device_ptrIKjEEEESF_NSB_INSC_IjEEEEPS5_SI_SI_NS9_7greaterIjEEEE10hipError_tPvRmT0_T1_T2_T3_T4_T5_mmT6_P12ihipStream_tbEUlT_E_NS1_11comp_targetILNS1_3genE8ELNS1_11target_archE1030ELNS1_3gpuE2ELNS1_3repE0EEENS1_30default_config_static_selectorELNS0_4arch9wavefront6targetE1EEEvSP_
; %bb.0:
	.section	.rodata,"a",@progbits
	.p2align	6, 0x0
	.amdhsa_kernel _ZN7rocprim17ROCPRIM_400000_NS6detail17trampoline_kernelINS0_14default_configENS1_21merge_config_selectorIjNS0_10empty_typeEEEZNS1_10merge_implIS3_N6thrust23THRUST_200600_302600_NS6detail15normal_iteratorINS9_10device_ptrIKjEEEESF_NSB_INSC_IjEEEEPS5_SI_SI_NS9_7greaterIjEEEE10hipError_tPvRmT0_T1_T2_T3_T4_T5_mmT6_P12ihipStream_tbEUlT_E_NS1_11comp_targetILNS1_3genE8ELNS1_11target_archE1030ELNS1_3gpuE2ELNS1_3repE0EEENS1_30default_config_static_selectorELNS0_4arch9wavefront6targetE1EEEvSP_
		.amdhsa_group_segment_fixed_size 0
		.amdhsa_private_segment_fixed_size 0
		.amdhsa_kernarg_size 48
		.amdhsa_user_sgpr_count 6
		.amdhsa_user_sgpr_private_segment_buffer 1
		.amdhsa_user_sgpr_dispatch_ptr 0
		.amdhsa_user_sgpr_queue_ptr 0
		.amdhsa_user_sgpr_kernarg_segment_ptr 1
		.amdhsa_user_sgpr_dispatch_id 0
		.amdhsa_user_sgpr_flat_scratch_init 0
		.amdhsa_user_sgpr_kernarg_preload_length 0
		.amdhsa_user_sgpr_kernarg_preload_offset 0
		.amdhsa_user_sgpr_private_segment_size 0
		.amdhsa_uses_dynamic_stack 0
		.amdhsa_system_sgpr_private_segment_wavefront_offset 0
		.amdhsa_system_sgpr_workgroup_id_x 1
		.amdhsa_system_sgpr_workgroup_id_y 0
		.amdhsa_system_sgpr_workgroup_id_z 0
		.amdhsa_system_sgpr_workgroup_info 0
		.amdhsa_system_vgpr_workitem_id 0
		.amdhsa_next_free_vgpr 1
		.amdhsa_next_free_sgpr 0
		.amdhsa_accum_offset 4
		.amdhsa_reserve_vcc 0
		.amdhsa_reserve_flat_scratch 0
		.amdhsa_float_round_mode_32 0
		.amdhsa_float_round_mode_16_64 0
		.amdhsa_float_denorm_mode_32 3
		.amdhsa_float_denorm_mode_16_64 3
		.amdhsa_dx10_clamp 1
		.amdhsa_ieee_mode 1
		.amdhsa_fp16_overflow 0
		.amdhsa_tg_split 0
		.amdhsa_exception_fp_ieee_invalid_op 0
		.amdhsa_exception_fp_denorm_src 0
		.amdhsa_exception_fp_ieee_div_zero 0
		.amdhsa_exception_fp_ieee_overflow 0
		.amdhsa_exception_fp_ieee_underflow 0
		.amdhsa_exception_fp_ieee_inexact 0
		.amdhsa_exception_int_div_zero 0
	.end_amdhsa_kernel
	.section	.text._ZN7rocprim17ROCPRIM_400000_NS6detail17trampoline_kernelINS0_14default_configENS1_21merge_config_selectorIjNS0_10empty_typeEEEZNS1_10merge_implIS3_N6thrust23THRUST_200600_302600_NS6detail15normal_iteratorINS9_10device_ptrIKjEEEESF_NSB_INSC_IjEEEEPS5_SI_SI_NS9_7greaterIjEEEE10hipError_tPvRmT0_T1_T2_T3_T4_T5_mmT6_P12ihipStream_tbEUlT_E_NS1_11comp_targetILNS1_3genE8ELNS1_11target_archE1030ELNS1_3gpuE2ELNS1_3repE0EEENS1_30default_config_static_selectorELNS0_4arch9wavefront6targetE1EEEvSP_,"axG",@progbits,_ZN7rocprim17ROCPRIM_400000_NS6detail17trampoline_kernelINS0_14default_configENS1_21merge_config_selectorIjNS0_10empty_typeEEEZNS1_10merge_implIS3_N6thrust23THRUST_200600_302600_NS6detail15normal_iteratorINS9_10device_ptrIKjEEEESF_NSB_INSC_IjEEEEPS5_SI_SI_NS9_7greaterIjEEEE10hipError_tPvRmT0_T1_T2_T3_T4_T5_mmT6_P12ihipStream_tbEUlT_E_NS1_11comp_targetILNS1_3genE8ELNS1_11target_archE1030ELNS1_3gpuE2ELNS1_3repE0EEENS1_30default_config_static_selectorELNS0_4arch9wavefront6targetE1EEEvSP_,comdat
.Lfunc_end523:
	.size	_ZN7rocprim17ROCPRIM_400000_NS6detail17trampoline_kernelINS0_14default_configENS1_21merge_config_selectorIjNS0_10empty_typeEEEZNS1_10merge_implIS3_N6thrust23THRUST_200600_302600_NS6detail15normal_iteratorINS9_10device_ptrIKjEEEESF_NSB_INSC_IjEEEEPS5_SI_SI_NS9_7greaterIjEEEE10hipError_tPvRmT0_T1_T2_T3_T4_T5_mmT6_P12ihipStream_tbEUlT_E_NS1_11comp_targetILNS1_3genE8ELNS1_11target_archE1030ELNS1_3gpuE2ELNS1_3repE0EEENS1_30default_config_static_selectorELNS0_4arch9wavefront6targetE1EEEvSP_, .Lfunc_end523-_ZN7rocprim17ROCPRIM_400000_NS6detail17trampoline_kernelINS0_14default_configENS1_21merge_config_selectorIjNS0_10empty_typeEEEZNS1_10merge_implIS3_N6thrust23THRUST_200600_302600_NS6detail15normal_iteratorINS9_10device_ptrIKjEEEESF_NSB_INSC_IjEEEEPS5_SI_SI_NS9_7greaterIjEEEE10hipError_tPvRmT0_T1_T2_T3_T4_T5_mmT6_P12ihipStream_tbEUlT_E_NS1_11comp_targetILNS1_3genE8ELNS1_11target_archE1030ELNS1_3gpuE2ELNS1_3repE0EEENS1_30default_config_static_selectorELNS0_4arch9wavefront6targetE1EEEvSP_
                                        ; -- End function
	.section	.AMDGPU.csdata,"",@progbits
; Kernel info:
; codeLenInByte = 0
; NumSgprs: 4
; NumVgprs: 0
; NumAgprs: 0
; TotalNumVgprs: 0
; ScratchSize: 0
; MemoryBound: 0
; FloatMode: 240
; IeeeMode: 1
; LDSByteSize: 0 bytes/workgroup (compile time only)
; SGPRBlocks: 0
; VGPRBlocks: 0
; NumSGPRsForWavesPerEU: 4
; NumVGPRsForWavesPerEU: 1
; AccumOffset: 4
; Occupancy: 8
; WaveLimiterHint : 0
; COMPUTE_PGM_RSRC2:SCRATCH_EN: 0
; COMPUTE_PGM_RSRC2:USER_SGPR: 6
; COMPUTE_PGM_RSRC2:TRAP_HANDLER: 0
; COMPUTE_PGM_RSRC2:TGID_X_EN: 1
; COMPUTE_PGM_RSRC2:TGID_Y_EN: 0
; COMPUTE_PGM_RSRC2:TGID_Z_EN: 0
; COMPUTE_PGM_RSRC2:TIDIG_COMP_CNT: 0
; COMPUTE_PGM_RSRC3_GFX90A:ACCUM_OFFSET: 0
; COMPUTE_PGM_RSRC3_GFX90A:TG_SPLIT: 0
	.section	.text._ZN7rocprim17ROCPRIM_400000_NS6detail17trampoline_kernelINS0_14default_configENS1_21merge_config_selectorIjNS0_10empty_typeEEEZNS1_10merge_implIS3_N6thrust23THRUST_200600_302600_NS6detail15normal_iteratorINS9_10device_ptrIKjEEEESF_NSB_INSC_IjEEEEPS5_SI_SI_NS9_7greaterIjEEEE10hipError_tPvRmT0_T1_T2_T3_T4_T5_mmT6_P12ihipStream_tbEUlT_E0_NS1_11comp_targetILNS1_3genE0ELNS1_11target_archE4294967295ELNS1_3gpuE0ELNS1_3repE0EEENS1_30default_config_static_selectorELNS0_4arch9wavefront6targetE1EEEvSP_,"axG",@progbits,_ZN7rocprim17ROCPRIM_400000_NS6detail17trampoline_kernelINS0_14default_configENS1_21merge_config_selectorIjNS0_10empty_typeEEEZNS1_10merge_implIS3_N6thrust23THRUST_200600_302600_NS6detail15normal_iteratorINS9_10device_ptrIKjEEEESF_NSB_INSC_IjEEEEPS5_SI_SI_NS9_7greaterIjEEEE10hipError_tPvRmT0_T1_T2_T3_T4_T5_mmT6_P12ihipStream_tbEUlT_E0_NS1_11comp_targetILNS1_3genE0ELNS1_11target_archE4294967295ELNS1_3gpuE0ELNS1_3repE0EEENS1_30default_config_static_selectorELNS0_4arch9wavefront6targetE1EEEvSP_,comdat
	.protected	_ZN7rocprim17ROCPRIM_400000_NS6detail17trampoline_kernelINS0_14default_configENS1_21merge_config_selectorIjNS0_10empty_typeEEEZNS1_10merge_implIS3_N6thrust23THRUST_200600_302600_NS6detail15normal_iteratorINS9_10device_ptrIKjEEEESF_NSB_INSC_IjEEEEPS5_SI_SI_NS9_7greaterIjEEEE10hipError_tPvRmT0_T1_T2_T3_T4_T5_mmT6_P12ihipStream_tbEUlT_E0_NS1_11comp_targetILNS1_3genE0ELNS1_11target_archE4294967295ELNS1_3gpuE0ELNS1_3repE0EEENS1_30default_config_static_selectorELNS0_4arch9wavefront6targetE1EEEvSP_ ; -- Begin function _ZN7rocprim17ROCPRIM_400000_NS6detail17trampoline_kernelINS0_14default_configENS1_21merge_config_selectorIjNS0_10empty_typeEEEZNS1_10merge_implIS3_N6thrust23THRUST_200600_302600_NS6detail15normal_iteratorINS9_10device_ptrIKjEEEESF_NSB_INSC_IjEEEEPS5_SI_SI_NS9_7greaterIjEEEE10hipError_tPvRmT0_T1_T2_T3_T4_T5_mmT6_P12ihipStream_tbEUlT_E0_NS1_11comp_targetILNS1_3genE0ELNS1_11target_archE4294967295ELNS1_3gpuE0ELNS1_3repE0EEENS1_30default_config_static_selectorELNS0_4arch9wavefront6targetE1EEEvSP_
	.globl	_ZN7rocprim17ROCPRIM_400000_NS6detail17trampoline_kernelINS0_14default_configENS1_21merge_config_selectorIjNS0_10empty_typeEEEZNS1_10merge_implIS3_N6thrust23THRUST_200600_302600_NS6detail15normal_iteratorINS9_10device_ptrIKjEEEESF_NSB_INSC_IjEEEEPS5_SI_SI_NS9_7greaterIjEEEE10hipError_tPvRmT0_T1_T2_T3_T4_T5_mmT6_P12ihipStream_tbEUlT_E0_NS1_11comp_targetILNS1_3genE0ELNS1_11target_archE4294967295ELNS1_3gpuE0ELNS1_3repE0EEENS1_30default_config_static_selectorELNS0_4arch9wavefront6targetE1EEEvSP_
	.p2align	8
	.type	_ZN7rocprim17ROCPRIM_400000_NS6detail17trampoline_kernelINS0_14default_configENS1_21merge_config_selectorIjNS0_10empty_typeEEEZNS1_10merge_implIS3_N6thrust23THRUST_200600_302600_NS6detail15normal_iteratorINS9_10device_ptrIKjEEEESF_NSB_INSC_IjEEEEPS5_SI_SI_NS9_7greaterIjEEEE10hipError_tPvRmT0_T1_T2_T3_T4_T5_mmT6_P12ihipStream_tbEUlT_E0_NS1_11comp_targetILNS1_3genE0ELNS1_11target_archE4294967295ELNS1_3gpuE0ELNS1_3repE0EEENS1_30default_config_static_selectorELNS0_4arch9wavefront6targetE1EEEvSP_,@function
_ZN7rocprim17ROCPRIM_400000_NS6detail17trampoline_kernelINS0_14default_configENS1_21merge_config_selectorIjNS0_10empty_typeEEEZNS1_10merge_implIS3_N6thrust23THRUST_200600_302600_NS6detail15normal_iteratorINS9_10device_ptrIKjEEEESF_NSB_INSC_IjEEEEPS5_SI_SI_NS9_7greaterIjEEEE10hipError_tPvRmT0_T1_T2_T3_T4_T5_mmT6_P12ihipStream_tbEUlT_E0_NS1_11comp_targetILNS1_3genE0ELNS1_11target_archE4294967295ELNS1_3gpuE0ELNS1_3repE0EEENS1_30default_config_static_selectorELNS0_4arch9wavefront6targetE1EEEvSP_: ; @_ZN7rocprim17ROCPRIM_400000_NS6detail17trampoline_kernelINS0_14default_configENS1_21merge_config_selectorIjNS0_10empty_typeEEEZNS1_10merge_implIS3_N6thrust23THRUST_200600_302600_NS6detail15normal_iteratorINS9_10device_ptrIKjEEEESF_NSB_INSC_IjEEEEPS5_SI_SI_NS9_7greaterIjEEEE10hipError_tPvRmT0_T1_T2_T3_T4_T5_mmT6_P12ihipStream_tbEUlT_E0_NS1_11comp_targetILNS1_3genE0ELNS1_11target_archE4294967295ELNS1_3gpuE0ELNS1_3repE0EEENS1_30default_config_static_selectorELNS0_4arch9wavefront6targetE1EEEvSP_
; %bb.0:
	.section	.rodata,"a",@progbits
	.p2align	6, 0x0
	.amdhsa_kernel _ZN7rocprim17ROCPRIM_400000_NS6detail17trampoline_kernelINS0_14default_configENS1_21merge_config_selectorIjNS0_10empty_typeEEEZNS1_10merge_implIS3_N6thrust23THRUST_200600_302600_NS6detail15normal_iteratorINS9_10device_ptrIKjEEEESF_NSB_INSC_IjEEEEPS5_SI_SI_NS9_7greaterIjEEEE10hipError_tPvRmT0_T1_T2_T3_T4_T5_mmT6_P12ihipStream_tbEUlT_E0_NS1_11comp_targetILNS1_3genE0ELNS1_11target_archE4294967295ELNS1_3gpuE0ELNS1_3repE0EEENS1_30default_config_static_selectorELNS0_4arch9wavefront6targetE1EEEvSP_
		.amdhsa_group_segment_fixed_size 0
		.amdhsa_private_segment_fixed_size 0
		.amdhsa_kernarg_size 88
		.amdhsa_user_sgpr_count 6
		.amdhsa_user_sgpr_private_segment_buffer 1
		.amdhsa_user_sgpr_dispatch_ptr 0
		.amdhsa_user_sgpr_queue_ptr 0
		.amdhsa_user_sgpr_kernarg_segment_ptr 1
		.amdhsa_user_sgpr_dispatch_id 0
		.amdhsa_user_sgpr_flat_scratch_init 0
		.amdhsa_user_sgpr_kernarg_preload_length 0
		.amdhsa_user_sgpr_kernarg_preload_offset 0
		.amdhsa_user_sgpr_private_segment_size 0
		.amdhsa_uses_dynamic_stack 0
		.amdhsa_system_sgpr_private_segment_wavefront_offset 0
		.amdhsa_system_sgpr_workgroup_id_x 1
		.amdhsa_system_sgpr_workgroup_id_y 0
		.amdhsa_system_sgpr_workgroup_id_z 0
		.amdhsa_system_sgpr_workgroup_info 0
		.amdhsa_system_vgpr_workitem_id 0
		.amdhsa_next_free_vgpr 1
		.amdhsa_next_free_sgpr 0
		.amdhsa_accum_offset 4
		.amdhsa_reserve_vcc 0
		.amdhsa_reserve_flat_scratch 0
		.amdhsa_float_round_mode_32 0
		.amdhsa_float_round_mode_16_64 0
		.amdhsa_float_denorm_mode_32 3
		.amdhsa_float_denorm_mode_16_64 3
		.amdhsa_dx10_clamp 1
		.amdhsa_ieee_mode 1
		.amdhsa_fp16_overflow 0
		.amdhsa_tg_split 0
		.amdhsa_exception_fp_ieee_invalid_op 0
		.amdhsa_exception_fp_denorm_src 0
		.amdhsa_exception_fp_ieee_div_zero 0
		.amdhsa_exception_fp_ieee_overflow 0
		.amdhsa_exception_fp_ieee_underflow 0
		.amdhsa_exception_fp_ieee_inexact 0
		.amdhsa_exception_int_div_zero 0
	.end_amdhsa_kernel
	.section	.text._ZN7rocprim17ROCPRIM_400000_NS6detail17trampoline_kernelINS0_14default_configENS1_21merge_config_selectorIjNS0_10empty_typeEEEZNS1_10merge_implIS3_N6thrust23THRUST_200600_302600_NS6detail15normal_iteratorINS9_10device_ptrIKjEEEESF_NSB_INSC_IjEEEEPS5_SI_SI_NS9_7greaterIjEEEE10hipError_tPvRmT0_T1_T2_T3_T4_T5_mmT6_P12ihipStream_tbEUlT_E0_NS1_11comp_targetILNS1_3genE0ELNS1_11target_archE4294967295ELNS1_3gpuE0ELNS1_3repE0EEENS1_30default_config_static_selectorELNS0_4arch9wavefront6targetE1EEEvSP_,"axG",@progbits,_ZN7rocprim17ROCPRIM_400000_NS6detail17trampoline_kernelINS0_14default_configENS1_21merge_config_selectorIjNS0_10empty_typeEEEZNS1_10merge_implIS3_N6thrust23THRUST_200600_302600_NS6detail15normal_iteratorINS9_10device_ptrIKjEEEESF_NSB_INSC_IjEEEEPS5_SI_SI_NS9_7greaterIjEEEE10hipError_tPvRmT0_T1_T2_T3_T4_T5_mmT6_P12ihipStream_tbEUlT_E0_NS1_11comp_targetILNS1_3genE0ELNS1_11target_archE4294967295ELNS1_3gpuE0ELNS1_3repE0EEENS1_30default_config_static_selectorELNS0_4arch9wavefront6targetE1EEEvSP_,comdat
.Lfunc_end524:
	.size	_ZN7rocprim17ROCPRIM_400000_NS6detail17trampoline_kernelINS0_14default_configENS1_21merge_config_selectorIjNS0_10empty_typeEEEZNS1_10merge_implIS3_N6thrust23THRUST_200600_302600_NS6detail15normal_iteratorINS9_10device_ptrIKjEEEESF_NSB_INSC_IjEEEEPS5_SI_SI_NS9_7greaterIjEEEE10hipError_tPvRmT0_T1_T2_T3_T4_T5_mmT6_P12ihipStream_tbEUlT_E0_NS1_11comp_targetILNS1_3genE0ELNS1_11target_archE4294967295ELNS1_3gpuE0ELNS1_3repE0EEENS1_30default_config_static_selectorELNS0_4arch9wavefront6targetE1EEEvSP_, .Lfunc_end524-_ZN7rocprim17ROCPRIM_400000_NS6detail17trampoline_kernelINS0_14default_configENS1_21merge_config_selectorIjNS0_10empty_typeEEEZNS1_10merge_implIS3_N6thrust23THRUST_200600_302600_NS6detail15normal_iteratorINS9_10device_ptrIKjEEEESF_NSB_INSC_IjEEEEPS5_SI_SI_NS9_7greaterIjEEEE10hipError_tPvRmT0_T1_T2_T3_T4_T5_mmT6_P12ihipStream_tbEUlT_E0_NS1_11comp_targetILNS1_3genE0ELNS1_11target_archE4294967295ELNS1_3gpuE0ELNS1_3repE0EEENS1_30default_config_static_selectorELNS0_4arch9wavefront6targetE1EEEvSP_
                                        ; -- End function
	.section	.AMDGPU.csdata,"",@progbits
; Kernel info:
; codeLenInByte = 0
; NumSgprs: 4
; NumVgprs: 0
; NumAgprs: 0
; TotalNumVgprs: 0
; ScratchSize: 0
; MemoryBound: 0
; FloatMode: 240
; IeeeMode: 1
; LDSByteSize: 0 bytes/workgroup (compile time only)
; SGPRBlocks: 0
; VGPRBlocks: 0
; NumSGPRsForWavesPerEU: 4
; NumVGPRsForWavesPerEU: 1
; AccumOffset: 4
; Occupancy: 8
; WaveLimiterHint : 0
; COMPUTE_PGM_RSRC2:SCRATCH_EN: 0
; COMPUTE_PGM_RSRC2:USER_SGPR: 6
; COMPUTE_PGM_RSRC2:TRAP_HANDLER: 0
; COMPUTE_PGM_RSRC2:TGID_X_EN: 1
; COMPUTE_PGM_RSRC2:TGID_Y_EN: 0
; COMPUTE_PGM_RSRC2:TGID_Z_EN: 0
; COMPUTE_PGM_RSRC2:TIDIG_COMP_CNT: 0
; COMPUTE_PGM_RSRC3_GFX90A:ACCUM_OFFSET: 0
; COMPUTE_PGM_RSRC3_GFX90A:TG_SPLIT: 0
	.section	.text._ZN7rocprim17ROCPRIM_400000_NS6detail17trampoline_kernelINS0_14default_configENS1_21merge_config_selectorIjNS0_10empty_typeEEEZNS1_10merge_implIS3_N6thrust23THRUST_200600_302600_NS6detail15normal_iteratorINS9_10device_ptrIKjEEEESF_NSB_INSC_IjEEEEPS5_SI_SI_NS9_7greaterIjEEEE10hipError_tPvRmT0_T1_T2_T3_T4_T5_mmT6_P12ihipStream_tbEUlT_E0_NS1_11comp_targetILNS1_3genE5ELNS1_11target_archE942ELNS1_3gpuE9ELNS1_3repE0EEENS1_30default_config_static_selectorELNS0_4arch9wavefront6targetE1EEEvSP_,"axG",@progbits,_ZN7rocprim17ROCPRIM_400000_NS6detail17trampoline_kernelINS0_14default_configENS1_21merge_config_selectorIjNS0_10empty_typeEEEZNS1_10merge_implIS3_N6thrust23THRUST_200600_302600_NS6detail15normal_iteratorINS9_10device_ptrIKjEEEESF_NSB_INSC_IjEEEEPS5_SI_SI_NS9_7greaterIjEEEE10hipError_tPvRmT0_T1_T2_T3_T4_T5_mmT6_P12ihipStream_tbEUlT_E0_NS1_11comp_targetILNS1_3genE5ELNS1_11target_archE942ELNS1_3gpuE9ELNS1_3repE0EEENS1_30default_config_static_selectorELNS0_4arch9wavefront6targetE1EEEvSP_,comdat
	.protected	_ZN7rocprim17ROCPRIM_400000_NS6detail17trampoline_kernelINS0_14default_configENS1_21merge_config_selectorIjNS0_10empty_typeEEEZNS1_10merge_implIS3_N6thrust23THRUST_200600_302600_NS6detail15normal_iteratorINS9_10device_ptrIKjEEEESF_NSB_INSC_IjEEEEPS5_SI_SI_NS9_7greaterIjEEEE10hipError_tPvRmT0_T1_T2_T3_T4_T5_mmT6_P12ihipStream_tbEUlT_E0_NS1_11comp_targetILNS1_3genE5ELNS1_11target_archE942ELNS1_3gpuE9ELNS1_3repE0EEENS1_30default_config_static_selectorELNS0_4arch9wavefront6targetE1EEEvSP_ ; -- Begin function _ZN7rocprim17ROCPRIM_400000_NS6detail17trampoline_kernelINS0_14default_configENS1_21merge_config_selectorIjNS0_10empty_typeEEEZNS1_10merge_implIS3_N6thrust23THRUST_200600_302600_NS6detail15normal_iteratorINS9_10device_ptrIKjEEEESF_NSB_INSC_IjEEEEPS5_SI_SI_NS9_7greaterIjEEEE10hipError_tPvRmT0_T1_T2_T3_T4_T5_mmT6_P12ihipStream_tbEUlT_E0_NS1_11comp_targetILNS1_3genE5ELNS1_11target_archE942ELNS1_3gpuE9ELNS1_3repE0EEENS1_30default_config_static_selectorELNS0_4arch9wavefront6targetE1EEEvSP_
	.globl	_ZN7rocprim17ROCPRIM_400000_NS6detail17trampoline_kernelINS0_14default_configENS1_21merge_config_selectorIjNS0_10empty_typeEEEZNS1_10merge_implIS3_N6thrust23THRUST_200600_302600_NS6detail15normal_iteratorINS9_10device_ptrIKjEEEESF_NSB_INSC_IjEEEEPS5_SI_SI_NS9_7greaterIjEEEE10hipError_tPvRmT0_T1_T2_T3_T4_T5_mmT6_P12ihipStream_tbEUlT_E0_NS1_11comp_targetILNS1_3genE5ELNS1_11target_archE942ELNS1_3gpuE9ELNS1_3repE0EEENS1_30default_config_static_selectorELNS0_4arch9wavefront6targetE1EEEvSP_
	.p2align	8
	.type	_ZN7rocprim17ROCPRIM_400000_NS6detail17trampoline_kernelINS0_14default_configENS1_21merge_config_selectorIjNS0_10empty_typeEEEZNS1_10merge_implIS3_N6thrust23THRUST_200600_302600_NS6detail15normal_iteratorINS9_10device_ptrIKjEEEESF_NSB_INSC_IjEEEEPS5_SI_SI_NS9_7greaterIjEEEE10hipError_tPvRmT0_T1_T2_T3_T4_T5_mmT6_P12ihipStream_tbEUlT_E0_NS1_11comp_targetILNS1_3genE5ELNS1_11target_archE942ELNS1_3gpuE9ELNS1_3repE0EEENS1_30default_config_static_selectorELNS0_4arch9wavefront6targetE1EEEvSP_,@function
_ZN7rocprim17ROCPRIM_400000_NS6detail17trampoline_kernelINS0_14default_configENS1_21merge_config_selectorIjNS0_10empty_typeEEEZNS1_10merge_implIS3_N6thrust23THRUST_200600_302600_NS6detail15normal_iteratorINS9_10device_ptrIKjEEEESF_NSB_INSC_IjEEEEPS5_SI_SI_NS9_7greaterIjEEEE10hipError_tPvRmT0_T1_T2_T3_T4_T5_mmT6_P12ihipStream_tbEUlT_E0_NS1_11comp_targetILNS1_3genE5ELNS1_11target_archE942ELNS1_3gpuE9ELNS1_3repE0EEENS1_30default_config_static_selectorELNS0_4arch9wavefront6targetE1EEEvSP_: ; @_ZN7rocprim17ROCPRIM_400000_NS6detail17trampoline_kernelINS0_14default_configENS1_21merge_config_selectorIjNS0_10empty_typeEEEZNS1_10merge_implIS3_N6thrust23THRUST_200600_302600_NS6detail15normal_iteratorINS9_10device_ptrIKjEEEESF_NSB_INSC_IjEEEEPS5_SI_SI_NS9_7greaterIjEEEE10hipError_tPvRmT0_T1_T2_T3_T4_T5_mmT6_P12ihipStream_tbEUlT_E0_NS1_11comp_targetILNS1_3genE5ELNS1_11target_archE942ELNS1_3gpuE9ELNS1_3repE0EEENS1_30default_config_static_selectorELNS0_4arch9wavefront6targetE1EEEvSP_
; %bb.0:
	.section	.rodata,"a",@progbits
	.p2align	6, 0x0
	.amdhsa_kernel _ZN7rocprim17ROCPRIM_400000_NS6detail17trampoline_kernelINS0_14default_configENS1_21merge_config_selectorIjNS0_10empty_typeEEEZNS1_10merge_implIS3_N6thrust23THRUST_200600_302600_NS6detail15normal_iteratorINS9_10device_ptrIKjEEEESF_NSB_INSC_IjEEEEPS5_SI_SI_NS9_7greaterIjEEEE10hipError_tPvRmT0_T1_T2_T3_T4_T5_mmT6_P12ihipStream_tbEUlT_E0_NS1_11comp_targetILNS1_3genE5ELNS1_11target_archE942ELNS1_3gpuE9ELNS1_3repE0EEENS1_30default_config_static_selectorELNS0_4arch9wavefront6targetE1EEEvSP_
		.amdhsa_group_segment_fixed_size 0
		.amdhsa_private_segment_fixed_size 0
		.amdhsa_kernarg_size 88
		.amdhsa_user_sgpr_count 6
		.amdhsa_user_sgpr_private_segment_buffer 1
		.amdhsa_user_sgpr_dispatch_ptr 0
		.amdhsa_user_sgpr_queue_ptr 0
		.amdhsa_user_sgpr_kernarg_segment_ptr 1
		.amdhsa_user_sgpr_dispatch_id 0
		.amdhsa_user_sgpr_flat_scratch_init 0
		.amdhsa_user_sgpr_kernarg_preload_length 0
		.amdhsa_user_sgpr_kernarg_preload_offset 0
		.amdhsa_user_sgpr_private_segment_size 0
		.amdhsa_uses_dynamic_stack 0
		.amdhsa_system_sgpr_private_segment_wavefront_offset 0
		.amdhsa_system_sgpr_workgroup_id_x 1
		.amdhsa_system_sgpr_workgroup_id_y 0
		.amdhsa_system_sgpr_workgroup_id_z 0
		.amdhsa_system_sgpr_workgroup_info 0
		.amdhsa_system_vgpr_workitem_id 0
		.amdhsa_next_free_vgpr 1
		.amdhsa_next_free_sgpr 0
		.amdhsa_accum_offset 4
		.amdhsa_reserve_vcc 0
		.amdhsa_reserve_flat_scratch 0
		.amdhsa_float_round_mode_32 0
		.amdhsa_float_round_mode_16_64 0
		.amdhsa_float_denorm_mode_32 3
		.amdhsa_float_denorm_mode_16_64 3
		.amdhsa_dx10_clamp 1
		.amdhsa_ieee_mode 1
		.amdhsa_fp16_overflow 0
		.amdhsa_tg_split 0
		.amdhsa_exception_fp_ieee_invalid_op 0
		.amdhsa_exception_fp_denorm_src 0
		.amdhsa_exception_fp_ieee_div_zero 0
		.amdhsa_exception_fp_ieee_overflow 0
		.amdhsa_exception_fp_ieee_underflow 0
		.amdhsa_exception_fp_ieee_inexact 0
		.amdhsa_exception_int_div_zero 0
	.end_amdhsa_kernel
	.section	.text._ZN7rocprim17ROCPRIM_400000_NS6detail17trampoline_kernelINS0_14default_configENS1_21merge_config_selectorIjNS0_10empty_typeEEEZNS1_10merge_implIS3_N6thrust23THRUST_200600_302600_NS6detail15normal_iteratorINS9_10device_ptrIKjEEEESF_NSB_INSC_IjEEEEPS5_SI_SI_NS9_7greaterIjEEEE10hipError_tPvRmT0_T1_T2_T3_T4_T5_mmT6_P12ihipStream_tbEUlT_E0_NS1_11comp_targetILNS1_3genE5ELNS1_11target_archE942ELNS1_3gpuE9ELNS1_3repE0EEENS1_30default_config_static_selectorELNS0_4arch9wavefront6targetE1EEEvSP_,"axG",@progbits,_ZN7rocprim17ROCPRIM_400000_NS6detail17trampoline_kernelINS0_14default_configENS1_21merge_config_selectorIjNS0_10empty_typeEEEZNS1_10merge_implIS3_N6thrust23THRUST_200600_302600_NS6detail15normal_iteratorINS9_10device_ptrIKjEEEESF_NSB_INSC_IjEEEEPS5_SI_SI_NS9_7greaterIjEEEE10hipError_tPvRmT0_T1_T2_T3_T4_T5_mmT6_P12ihipStream_tbEUlT_E0_NS1_11comp_targetILNS1_3genE5ELNS1_11target_archE942ELNS1_3gpuE9ELNS1_3repE0EEENS1_30default_config_static_selectorELNS0_4arch9wavefront6targetE1EEEvSP_,comdat
.Lfunc_end525:
	.size	_ZN7rocprim17ROCPRIM_400000_NS6detail17trampoline_kernelINS0_14default_configENS1_21merge_config_selectorIjNS0_10empty_typeEEEZNS1_10merge_implIS3_N6thrust23THRUST_200600_302600_NS6detail15normal_iteratorINS9_10device_ptrIKjEEEESF_NSB_INSC_IjEEEEPS5_SI_SI_NS9_7greaterIjEEEE10hipError_tPvRmT0_T1_T2_T3_T4_T5_mmT6_P12ihipStream_tbEUlT_E0_NS1_11comp_targetILNS1_3genE5ELNS1_11target_archE942ELNS1_3gpuE9ELNS1_3repE0EEENS1_30default_config_static_selectorELNS0_4arch9wavefront6targetE1EEEvSP_, .Lfunc_end525-_ZN7rocprim17ROCPRIM_400000_NS6detail17trampoline_kernelINS0_14default_configENS1_21merge_config_selectorIjNS0_10empty_typeEEEZNS1_10merge_implIS3_N6thrust23THRUST_200600_302600_NS6detail15normal_iteratorINS9_10device_ptrIKjEEEESF_NSB_INSC_IjEEEEPS5_SI_SI_NS9_7greaterIjEEEE10hipError_tPvRmT0_T1_T2_T3_T4_T5_mmT6_P12ihipStream_tbEUlT_E0_NS1_11comp_targetILNS1_3genE5ELNS1_11target_archE942ELNS1_3gpuE9ELNS1_3repE0EEENS1_30default_config_static_selectorELNS0_4arch9wavefront6targetE1EEEvSP_
                                        ; -- End function
	.section	.AMDGPU.csdata,"",@progbits
; Kernel info:
; codeLenInByte = 0
; NumSgprs: 4
; NumVgprs: 0
; NumAgprs: 0
; TotalNumVgprs: 0
; ScratchSize: 0
; MemoryBound: 0
; FloatMode: 240
; IeeeMode: 1
; LDSByteSize: 0 bytes/workgroup (compile time only)
; SGPRBlocks: 0
; VGPRBlocks: 0
; NumSGPRsForWavesPerEU: 4
; NumVGPRsForWavesPerEU: 1
; AccumOffset: 4
; Occupancy: 8
; WaveLimiterHint : 0
; COMPUTE_PGM_RSRC2:SCRATCH_EN: 0
; COMPUTE_PGM_RSRC2:USER_SGPR: 6
; COMPUTE_PGM_RSRC2:TRAP_HANDLER: 0
; COMPUTE_PGM_RSRC2:TGID_X_EN: 1
; COMPUTE_PGM_RSRC2:TGID_Y_EN: 0
; COMPUTE_PGM_RSRC2:TGID_Z_EN: 0
; COMPUTE_PGM_RSRC2:TIDIG_COMP_CNT: 0
; COMPUTE_PGM_RSRC3_GFX90A:ACCUM_OFFSET: 0
; COMPUTE_PGM_RSRC3_GFX90A:TG_SPLIT: 0
	.section	.text._ZN7rocprim17ROCPRIM_400000_NS6detail17trampoline_kernelINS0_14default_configENS1_21merge_config_selectorIjNS0_10empty_typeEEEZNS1_10merge_implIS3_N6thrust23THRUST_200600_302600_NS6detail15normal_iteratorINS9_10device_ptrIKjEEEESF_NSB_INSC_IjEEEEPS5_SI_SI_NS9_7greaterIjEEEE10hipError_tPvRmT0_T1_T2_T3_T4_T5_mmT6_P12ihipStream_tbEUlT_E0_NS1_11comp_targetILNS1_3genE4ELNS1_11target_archE910ELNS1_3gpuE8ELNS1_3repE0EEENS1_30default_config_static_selectorELNS0_4arch9wavefront6targetE1EEEvSP_,"axG",@progbits,_ZN7rocprim17ROCPRIM_400000_NS6detail17trampoline_kernelINS0_14default_configENS1_21merge_config_selectorIjNS0_10empty_typeEEEZNS1_10merge_implIS3_N6thrust23THRUST_200600_302600_NS6detail15normal_iteratorINS9_10device_ptrIKjEEEESF_NSB_INSC_IjEEEEPS5_SI_SI_NS9_7greaterIjEEEE10hipError_tPvRmT0_T1_T2_T3_T4_T5_mmT6_P12ihipStream_tbEUlT_E0_NS1_11comp_targetILNS1_3genE4ELNS1_11target_archE910ELNS1_3gpuE8ELNS1_3repE0EEENS1_30default_config_static_selectorELNS0_4arch9wavefront6targetE1EEEvSP_,comdat
	.protected	_ZN7rocprim17ROCPRIM_400000_NS6detail17trampoline_kernelINS0_14default_configENS1_21merge_config_selectorIjNS0_10empty_typeEEEZNS1_10merge_implIS3_N6thrust23THRUST_200600_302600_NS6detail15normal_iteratorINS9_10device_ptrIKjEEEESF_NSB_INSC_IjEEEEPS5_SI_SI_NS9_7greaterIjEEEE10hipError_tPvRmT0_T1_T2_T3_T4_T5_mmT6_P12ihipStream_tbEUlT_E0_NS1_11comp_targetILNS1_3genE4ELNS1_11target_archE910ELNS1_3gpuE8ELNS1_3repE0EEENS1_30default_config_static_selectorELNS0_4arch9wavefront6targetE1EEEvSP_ ; -- Begin function _ZN7rocprim17ROCPRIM_400000_NS6detail17trampoline_kernelINS0_14default_configENS1_21merge_config_selectorIjNS0_10empty_typeEEEZNS1_10merge_implIS3_N6thrust23THRUST_200600_302600_NS6detail15normal_iteratorINS9_10device_ptrIKjEEEESF_NSB_INSC_IjEEEEPS5_SI_SI_NS9_7greaterIjEEEE10hipError_tPvRmT0_T1_T2_T3_T4_T5_mmT6_P12ihipStream_tbEUlT_E0_NS1_11comp_targetILNS1_3genE4ELNS1_11target_archE910ELNS1_3gpuE8ELNS1_3repE0EEENS1_30default_config_static_selectorELNS0_4arch9wavefront6targetE1EEEvSP_
	.globl	_ZN7rocprim17ROCPRIM_400000_NS6detail17trampoline_kernelINS0_14default_configENS1_21merge_config_selectorIjNS0_10empty_typeEEEZNS1_10merge_implIS3_N6thrust23THRUST_200600_302600_NS6detail15normal_iteratorINS9_10device_ptrIKjEEEESF_NSB_INSC_IjEEEEPS5_SI_SI_NS9_7greaterIjEEEE10hipError_tPvRmT0_T1_T2_T3_T4_T5_mmT6_P12ihipStream_tbEUlT_E0_NS1_11comp_targetILNS1_3genE4ELNS1_11target_archE910ELNS1_3gpuE8ELNS1_3repE0EEENS1_30default_config_static_selectorELNS0_4arch9wavefront6targetE1EEEvSP_
	.p2align	8
	.type	_ZN7rocprim17ROCPRIM_400000_NS6detail17trampoline_kernelINS0_14default_configENS1_21merge_config_selectorIjNS0_10empty_typeEEEZNS1_10merge_implIS3_N6thrust23THRUST_200600_302600_NS6detail15normal_iteratorINS9_10device_ptrIKjEEEESF_NSB_INSC_IjEEEEPS5_SI_SI_NS9_7greaterIjEEEE10hipError_tPvRmT0_T1_T2_T3_T4_T5_mmT6_P12ihipStream_tbEUlT_E0_NS1_11comp_targetILNS1_3genE4ELNS1_11target_archE910ELNS1_3gpuE8ELNS1_3repE0EEENS1_30default_config_static_selectorELNS0_4arch9wavefront6targetE1EEEvSP_,@function
_ZN7rocprim17ROCPRIM_400000_NS6detail17trampoline_kernelINS0_14default_configENS1_21merge_config_selectorIjNS0_10empty_typeEEEZNS1_10merge_implIS3_N6thrust23THRUST_200600_302600_NS6detail15normal_iteratorINS9_10device_ptrIKjEEEESF_NSB_INSC_IjEEEEPS5_SI_SI_NS9_7greaterIjEEEE10hipError_tPvRmT0_T1_T2_T3_T4_T5_mmT6_P12ihipStream_tbEUlT_E0_NS1_11comp_targetILNS1_3genE4ELNS1_11target_archE910ELNS1_3gpuE8ELNS1_3repE0EEENS1_30default_config_static_selectorELNS0_4arch9wavefront6targetE1EEEvSP_: ; @_ZN7rocprim17ROCPRIM_400000_NS6detail17trampoline_kernelINS0_14default_configENS1_21merge_config_selectorIjNS0_10empty_typeEEEZNS1_10merge_implIS3_N6thrust23THRUST_200600_302600_NS6detail15normal_iteratorINS9_10device_ptrIKjEEEESF_NSB_INSC_IjEEEEPS5_SI_SI_NS9_7greaterIjEEEE10hipError_tPvRmT0_T1_T2_T3_T4_T5_mmT6_P12ihipStream_tbEUlT_E0_NS1_11comp_targetILNS1_3genE4ELNS1_11target_archE910ELNS1_3gpuE8ELNS1_3repE0EEENS1_30default_config_static_selectorELNS0_4arch9wavefront6targetE1EEEvSP_
; %bb.0:
	s_load_dwordx4 s[0:3], s[4:5], 0x40
	s_load_dwordx8 s[12:19], s[4:5], 0x8
	s_mul_i32 s20, s6, 0xa00
	s_mov_b32 s23, 0
	s_waitcnt lgkmcnt(0)
	s_mov_b32 s3, s23
	s_add_i32 s21, s2, s0
	s_add_i32 s0, s21, 0x9ff
	s_mul_hi_u32 s0, s0, 0xcccccccd
	s_lshr_b32 s0, s0, 11
	s_min_u32 s1, s6, s0
	s_lshl_b32 s1, s1, 2
	s_load_dword s22, s[12:13], s1 offset:0x0
	s_add_i32 s6, s6, 1
	s_min_u32 s0, s6, s0
	s_lshl_b32 s0, s0, 2
	s_load_dword s6, s[12:13], s0 offset:0x0
	s_add_i32 s0, s20, 0xa00
	s_min_u32 s7, s21, s0
	s_waitcnt lgkmcnt(0)
	s_sub_i32 s2, s20, s22
	s_lshl_b64 s[0:1], s[22:23], 2
	s_add_u32 s0, s14, s0
	s_addc_u32 s1, s15, s1
	s_lshl_b64 s[4:5], s[2:3], 2
	s_add_u32 s9, s16, s4
	s_addc_u32 s10, s17, s5
	s_add_i32 s2, s2, s6
	s_sub_i32 s22, s6, s22
	s_sub_i32 s8, s7, s2
	s_add_u32 s2, s8, s22
	s_addc_u32 s3, 0, 0
	v_mov_b32_e32 v1, 0
	v_cmp_le_u32_e32 vcc, s22, v0
	s_and_saveexec_b64 s[4:5], vcc
	s_xor_b64 s[4:5], exec, s[4:5]
	s_cbranch_execz .LBB526_4
; %bb.1:
	v_cmp_gt_u64_e32 vcc, s[2:3], v[0:1]
	s_and_saveexec_b64 s[6:7], vcc
	s_cbranch_execz .LBB526_3
; %bb.2:
	v_mov_b32_e32 v1, s23
	v_subrev_co_u32_e32 v2, vcc, s22, v0
	v_subb_co_u32_e32 v3, vcc, 0, v1, vcc
	v_lshlrev_b64 v[2:3], 2, v[2:3]
	v_mov_b32_e32 v1, s10
	v_add_co_u32_e32 v2, vcc, s9, v2
	v_addc_co_u32_e32 v3, vcc, v1, v3, vcc
	global_load_dword v1, v[2:3], off
	v_lshlrev_b32_e32 v2, 2, v0
	s_waitcnt vmcnt(0)
	ds_write_b32 v2, v1
.LBB526_3:
	s_or_b64 exec, exec, s[6:7]
.LBB526_4:
	s_or_saveexec_b64 s[4:5], s[4:5]
	v_lshlrev_b32_e32 v1, 2, v0
	s_xor_b64 exec, exec, s[4:5]
	s_cbranch_execz .LBB526_6
; %bb.5:
	global_load_dword v2, v1, s[0:1]
	s_waitcnt vmcnt(0)
	ds_write_b32 v1, v2
.LBB526_6:
	s_or_b64 exec, exec, s[4:5]
	v_or_b32_e32 v10, 0x100, v0
	v_mov_b32_e32 v11, 0
	v_cmp_le_u32_e32 vcc, s22, v10
	s_and_saveexec_b64 s[4:5], vcc
	s_xor_b64 s[4:5], exec, s[4:5]
	s_cbranch_execz .LBB526_10
; %bb.7:
	v_cmp_gt_u64_e32 vcc, s[2:3], v[10:11]
	s_and_saveexec_b64 s[6:7], vcc
	s_cbranch_execz .LBB526_9
; %bb.8:
	v_mov_b32_e32 v3, s23
	v_subrev_co_u32_e32 v2, vcc, s22, v0
	v_subb_co_u32_e32 v3, vcc, 0, v3, vcc
	v_lshlrev_b64 v[2:3], 2, v[2:3]
	v_mov_b32_e32 v4, s10
	v_add_co_u32_e32 v2, vcc, s9, v2
	v_addc_co_u32_e32 v3, vcc, v4, v3, vcc
	global_load_dword v2, v[2:3], off offset:1024
	s_waitcnt vmcnt(0)
	ds_write_b32 v1, v2 offset:1024
.LBB526_9:
	s_or_b64 exec, exec, s[6:7]
.LBB526_10:
	s_andn2_saveexec_b64 s[4:5], s[4:5]
	s_cbranch_execz .LBB526_12
; %bb.11:
	global_load_dword v2, v1, s[0:1] offset:1024
	s_waitcnt vmcnt(0)
	ds_write_b32 v1, v2 offset:1024
.LBB526_12:
	s_or_b64 exec, exec, s[4:5]
	v_or_b32_e32 v12, 0x200, v0
	v_mov_b32_e32 v13, 0
	v_cmp_le_u32_e32 vcc, s22, v12
	s_and_saveexec_b64 s[4:5], vcc
	s_xor_b64 s[4:5], exec, s[4:5]
	s_cbranch_execz .LBB526_16
; %bb.13:
	v_cmp_gt_u64_e32 vcc, s[2:3], v[12:13]
	s_and_saveexec_b64 s[6:7], vcc
	s_cbranch_execz .LBB526_15
; %bb.14:
	v_mov_b32_e32 v3, s23
	v_subrev_co_u32_e32 v2, vcc, s22, v0
	v_subb_co_u32_e32 v3, vcc, 0, v3, vcc
	v_lshlrev_b64 v[2:3], 2, v[2:3]
	v_mov_b32_e32 v4, s10
	v_add_co_u32_e32 v2, vcc, s9, v2
	v_addc_co_u32_e32 v3, vcc, v4, v3, vcc
	global_load_dword v2, v[2:3], off offset:2048
	s_waitcnt vmcnt(0)
	ds_write_b32 v1, v2 offset:2048
.LBB526_15:
	s_or_b64 exec, exec, s[6:7]
.LBB526_16:
	s_andn2_saveexec_b64 s[4:5], s[4:5]
	s_cbranch_execz .LBB526_18
; %bb.17:
	global_load_dword v2, v1, s[0:1] offset:2048
	s_waitcnt vmcnt(0)
	ds_write_b32 v1, v2 offset:2048
.LBB526_18:
	;; [unrolled: 32-line block ×3, first 2 shown]
	s_or_b64 exec, exec, s[4:5]
	v_or_b32_e32 v16, 0x400, v0
	v_mov_b32_e32 v17, 0
	v_cmp_le_u32_e32 vcc, s22, v16
	s_and_saveexec_b64 s[4:5], vcc
	s_xor_b64 s[4:5], exec, s[4:5]
	s_cbranch_execz .LBB526_28
; %bb.25:
	v_cmp_gt_u64_e32 vcc, s[2:3], v[16:17]
	s_and_saveexec_b64 s[6:7], vcc
	s_cbranch_execz .LBB526_27
; %bb.26:
	v_mov_b32_e32 v3, s23
	v_subrev_co_u32_e32 v2, vcc, s22, v16
	v_subb_co_u32_e32 v3, vcc, 0, v3, vcc
	v_lshlrev_b64 v[2:3], 2, v[2:3]
	v_mov_b32_e32 v4, s10
	v_add_co_u32_e32 v2, vcc, s9, v2
	v_addc_co_u32_e32 v3, vcc, v4, v3, vcc
	global_load_dword v2, v[2:3], off
	s_waitcnt vmcnt(0)
	ds_write_b32 v1, v2 offset:4096
.LBB526_27:
	s_or_b64 exec, exec, s[6:7]
.LBB526_28:
	s_andn2_saveexec_b64 s[4:5], s[4:5]
	s_cbranch_execz .LBB526_30
; %bb.29:
	v_lshlrev_b32_e32 v2, 2, v16
	global_load_dword v2, v2, s[0:1]
	s_waitcnt vmcnt(0)
	ds_write_b32 v1, v2 offset:4096
.LBB526_30:
	s_or_b64 exec, exec, s[4:5]
	v_or_b32_e32 v18, 0x500, v0
	v_mov_b32_e32 v19, 0
	v_cmp_le_u32_e32 vcc, s22, v18
	s_and_saveexec_b64 s[4:5], vcc
	s_xor_b64 s[4:5], exec, s[4:5]
	s_cbranch_execz .LBB526_34
; %bb.31:
	v_cmp_gt_u64_e32 vcc, s[2:3], v[18:19]
	s_and_saveexec_b64 s[6:7], vcc
	s_cbranch_execz .LBB526_33
; %bb.32:
	v_mov_b32_e32 v3, s23
	v_subrev_co_u32_e32 v2, vcc, s22, v18
	v_subb_co_u32_e32 v3, vcc, 0, v3, vcc
	v_lshlrev_b64 v[2:3], 2, v[2:3]
	v_mov_b32_e32 v4, s10
	v_add_co_u32_e32 v2, vcc, s9, v2
	v_addc_co_u32_e32 v3, vcc, v4, v3, vcc
	global_load_dword v2, v[2:3], off
	s_waitcnt vmcnt(0)
	ds_write_b32 v1, v2 offset:5120
.LBB526_33:
	s_or_b64 exec, exec, s[6:7]
.LBB526_34:
	s_andn2_saveexec_b64 s[4:5], s[4:5]
	s_cbranch_execz .LBB526_36
; %bb.35:
	v_lshlrev_b32_e32 v2, 2, v18
	global_load_dword v2, v2, s[0:1]
	s_waitcnt vmcnt(0)
	ds_write_b32 v1, v2 offset:5120
.LBB526_36:
	;; [unrolled: 33-line block ×6, first 2 shown]
	s_or_b64 exec, exec, s[2:3]
	v_mul_u32_u24_e32 v2, 10, v0
	v_sub_u32_e64 v13, v2, s8 clamp
	v_min_u32_e32 v3, s22, v2
	v_cmp_lt_u32_e32 vcc, v13, v3
	v_lshlrev_b32_e32 v11, 2, v2
	s_waitcnt lgkmcnt(0)
	s_barrier
	s_and_saveexec_b64 s[0:1], vcc
	s_cbranch_execz .LBB526_64
; %bb.61:
	v_lshl_add_u32 v4, s22, 2, v11
	s_mov_b64 s[2:3], 0
.LBB526_62:                             ; =>This Inner Loop Header: Depth=1
	v_add_u32_e32 v5, v3, v13
	v_lshrrev_b32_e32 v5, 1, v5
	v_not_b32_e32 v6, v5
	v_lshlrev_b32_e32 v7, 2, v5
	v_lshl_add_u32 v6, v6, 2, v4
	ds_read_b32 v7, v7
	ds_read_b32 v6, v6
	v_add_u32_e32 v8, 1, v5
	s_waitcnt lgkmcnt(0)
	v_cmp_gt_u32_e32 vcc, v6, v7
	v_cndmask_b32_e32 v3, v3, v5, vcc
	v_cndmask_b32_e32 v13, v8, v13, vcc
	v_cmp_ge_u32_e32 vcc, v13, v3
	s_or_b64 s[2:3], vcc, s[2:3]
	s_andn2_b64 exec, exec, s[2:3]
	s_cbranch_execnz .LBB526_62
; %bb.63:
	s_or_b64 exec, exec, s[2:3]
.LBB526_64:
	s_or_b64 exec, exec, s[0:1]
	v_add_u32_e32 v2, s22, v2
	s_add_i32 s23, s8, s22
	v_sub_u32_e32 v15, v2, v13
	v_cmp_ge_u32_e32 vcc, s22, v13
	v_cmp_ge_u32_e64 s[0:1], s23, v15
	s_or_b64 s[0:1], vcc, s[0:1]
                                        ; implicit-def: $vgpr31
                                        ; implicit-def: $vgpr33
                                        ; implicit-def: $vgpr29
	s_and_saveexec_b64 s[16:17], s[0:1]
                                        ; implicit-def: $vgpr6_vgpr7_vgpr8_vgpr9
                                        ; implicit-def: $vgpr2_vgpr3_vgpr4_vgpr5
	s_cbranch_execz .LBB526_70
; %bb.65:
	v_cmp_gt_u32_e32 vcc, s22, v13
                                        ; implicit-def: $vgpr2
	s_and_saveexec_b64 s[0:1], vcc
	s_cbranch_execz .LBB526_67
; %bb.66:
	v_lshlrev_b32_e32 v2, 2, v13
	ds_read_b32 v2, v2
.LBB526_67:
	s_or_b64 exec, exec, s[0:1]
	v_cmp_le_u32_e64 s[0:1], s23, v15
	v_cmp_gt_u32_e64 s[2:3], s23, v15
                                        ; implicit-def: $vgpr3
	s_and_saveexec_b64 s[4:5], s[2:3]
	s_cbranch_execz .LBB526_69
; %bb.68:
	v_lshlrev_b32_e32 v3, 2, v15
	ds_read_b32 v3, v3
.LBB526_69:
	s_or_b64 exec, exec, s[4:5]
	s_waitcnt lgkmcnt(0)
	v_cmp_le_u32_e64 s[2:3], v3, v2
	s_and_b64 s[2:3], vcc, s[2:3]
	s_or_b64 vcc, s[0:1], s[2:3]
	v_mov_b32_e32 v5, s23
	v_mov_b32_e32 v7, s22
	v_cndmask_b32_e32 v4, v15, v13, vcc
	v_cndmask_b32_e32 v6, v5, v7, vcc
	v_add_u32_e32 v4, 1, v4
	v_add_u32_e32 v6, -1, v6
	v_min_u32_e32 v6, v4, v6
	v_lshlrev_b32_e32 v6, 2, v6
	ds_read_b32 v6, v6
	v_cndmask_b32_e32 v9, v4, v15, vcc
	v_cndmask_b32_e32 v4, v13, v4, vcc
	v_cmp_gt_u32_e64 s[2:3], s22, v4
	v_cmp_le_u32_e64 s[0:1], s23, v9
	s_waitcnt lgkmcnt(0)
	v_cndmask_b32_e32 v8, v6, v3, vcc
	v_cndmask_b32_e32 v6, v2, v6, vcc
	v_cmp_le_u32_e64 s[4:5], v8, v6
	s_and_b64 s[2:3], s[2:3], s[4:5]
	s_or_b64 s[0:1], s[0:1], s[2:3]
	v_cndmask_b32_e64 v13, v9, v4, s[0:1]
	v_cndmask_b32_e64 v15, v5, v7, s[0:1]
	v_add_u32_e32 v13, 1, v13
	v_add_u32_e32 v15, -1, v15
	v_min_u32_e32 v15, v13, v15
	v_lshlrev_b32_e32 v15, 2, v15
	ds_read_b32 v15, v15
	v_cndmask_b32_e64 v4, v4, v13, s[0:1]
	v_cndmask_b32_e64 v9, v13, v9, s[0:1]
	v_cmp_gt_u32_e64 s[4:5], s22, v4
	v_cmp_le_u32_e64 s[2:3], s23, v9
	s_waitcnt lgkmcnt(0)
	v_cndmask_b32_e64 v17, v15, v8, s[0:1]
	v_cndmask_b32_e64 v15, v6, v15, s[0:1]
	v_cmp_le_u32_e64 s[6:7], v17, v15
	s_and_b64 s[4:5], s[4:5], s[6:7]
	s_or_b64 s[2:3], s[2:3], s[4:5]
	v_cndmask_b32_e64 v13, v9, v4, s[2:3]
	v_cndmask_b32_e64 v19, v5, v7, s[2:3]
	v_add_u32_e32 v13, 1, v13
	v_add_u32_e32 v19, -1, v19
	v_min_u32_e32 v19, v13, v19
	v_lshlrev_b32_e32 v19, 2, v19
	ds_read_b32 v19, v19
	v_cndmask_b32_e64 v4, v4, v13, s[2:3]
	v_cndmask_b32_e64 v9, v13, v9, s[2:3]
	v_cmp_gt_u32_e64 s[6:7], s22, v4
	v_cmp_le_u32_e64 s[4:5], s23, v9
	s_waitcnt lgkmcnt(0)
	v_cndmask_b32_e64 v21, v19, v17, s[2:3]
	v_cndmask_b32_e64 v19, v15, v19, s[2:3]
	;; [unrolled: 17-line block ×5, first 2 shown]
	v_cmp_le_u32_e64 s[14:15], v31, v32
	s_and_b64 s[12:13], s[12:13], s[14:15]
	s_or_b64 s[10:11], s[10:11], s[12:13]
	v_cndmask_b32_e64 v13, v9, v4, s[10:11]
	v_cndmask_b32_e64 v28, v5, v7, s[10:11]
	v_add_u32_e32 v13, 1, v13
	v_add_u32_e32 v28, -1, v28
	v_min_u32_e32 v28, v13, v28
	v_lshlrev_b32_e32 v28, 2, v28
	ds_read_b32 v28, v28
	v_cndmask_b32_e64 v4, v4, v13, s[10:11]
	v_cndmask_b32_e64 v9, v13, v9, s[10:11]
	v_cmp_gt_u32_e64 s[12:13], s22, v4
	v_cndmask_b32_e32 v2, v3, v2, vcc
	s_waitcnt lgkmcnt(0)
	v_cndmask_b32_e64 v33, v28, v31, s[10:11]
	v_cndmask_b32_e64 v34, v32, v28, s[10:11]
	v_cmp_le_u32_e64 s[14:15], v33, v34
	v_cmp_le_u32_e32 vcc, s23, v9
	s_and_b64 s[12:13], s[12:13], s[14:15]
	s_or_b64 vcc, vcc, s[12:13]
	v_cndmask_b32_e32 v3, v9, v4, vcc
	v_cndmask_b32_e32 v13, v5, v7, vcc
	v_add_u32_e32 v35, 1, v3
	v_add_u32_e32 v3, -1, v13
	v_min_u32_e32 v3, v35, v3
	v_lshlrev_b32_e32 v3, 2, v3
	ds_read_b32 v13, v3
	v_cndmask_b32_e64 v3, v8, v6, s[0:1]
	v_cndmask_b32_e32 v4, v4, v35, vcc
	v_cndmask_b32_e64 v28, v17, v15, s[2:3]
	v_cndmask_b32_e64 v29, v21, v19, s[4:5]
	s_waitcnt lgkmcnt(0)
	v_cndmask_b32_e32 v8, v13, v33, vcc
	v_cndmask_b32_e32 v13, v34, v13, vcc
	;; [unrolled: 1-line block ×3, first 2 shown]
	v_cmp_gt_u32_e64 s[2:3], s22, v4
	v_cmp_le_u32_e64 s[4:5], v8, v13
	v_cmp_le_u32_e64 s[0:1], s23, v9
	s_and_b64 s[2:3], s[2:3], s[4:5]
	s_or_b64 s[0:1], s[0:1], s[2:3]
	v_cndmask_b32_e64 v15, v9, v4, s[0:1]
	v_cndmask_b32_e64 v5, v5, v7, s[0:1]
	v_add_u32_e32 v15, 1, v15
	v_add_u32_e32 v5, -1, v5
	v_min_u32_e32 v5, v15, v5
	v_lshlrev_b32_e32 v5, 2, v5
	ds_read_b32 v5, v5
	v_cndmask_b32_e64 v7, v30, v27, s[8:9]
	v_cndmask_b32_e64 v30, v8, v13, s[0:1]
	;; [unrolled: 1-line block ×4, first 2 shown]
	s_waitcnt lgkmcnt(0)
	v_cndmask_b32_e64 v8, v5, v8, s[0:1]
	v_cndmask_b32_e64 v5, v13, v5, s[0:1]
	v_cmp_gt_u32_e64 s[0:1], s22, v4
	v_cmp_le_u32_e64 s[2:3], v8, v5
	v_cndmask_b32_e32 v33, v33, v34, vcc
	v_cmp_le_u32_e32 vcc, s23, v9
	s_and_b64 s[0:1], s[0:1], s[2:3]
	s_or_b64 vcc, vcc, s[0:1]
	v_cndmask_b32_e64 v6, v25, v23, s[6:7]
	v_cndmask_b32_e64 v32, v31, v32, s[10:11]
	v_cndmask_b32_e32 v31, v8, v5, vcc
.LBB526_70:
	s_or_b64 exec, exec, s[16:17]
	s_sub_i32 s6, s21, s20
	s_mov_b32 s21, 0
	s_lshl_b64 s[0:1], s[20:21], 2
	s_add_u32 s0, s18, s0
	s_addc_u32 s1, s19, s1
	s_cmpk_gt_u32 s6, 0x9ff
	s_barrier
	ds_write2_b64 v11, v[2:3], v[28:29] offset1:1
	ds_write2_b64 v11, v[6:7], v[32:33] offset0:2 offset1:3
	ds_write_b64 v11, v[30:31] offset:32
	s_waitcnt lgkmcnt(0)
	s_cbranch_scc0 .LBB526_72
; %bb.71:
	s_movk_i32 s2, 0xffdc
	v_mad_i32_i24 v2, v0, s2, v11
	s_barrier
	ds_read2st64_b32 v[4:5], v2 offset1:4
	ds_read2st64_b32 v[6:7], v2 offset0:8 offset1:12
	ds_read2st64_b32 v[8:9], v2 offset0:16 offset1:20
	ds_read2st64_b32 v[28:29], v2 offset0:24 offset1:28
	ds_read2st64_b32 v[2:3], v2 offset0:32 offset1:36
	v_mov_b32_e32 v13, s1
	v_add_co_u32_e32 v15, vcc, s0, v1
	v_addc_co_u32_e32 v13, vcc, 0, v13, vcc
	s_movk_i32 s2, 0x1000
	s_waitcnt lgkmcnt(4)
	global_store_dword v1, v4, s[0:1]
	global_store_dword v1, v5, s[0:1] offset:1024
	s_waitcnt lgkmcnt(3)
	global_store_dword v1, v6, s[0:1] offset:2048
	global_store_dword v1, v7, s[0:1] offset:3072
	v_add_co_u32_e32 v4, vcc, s2, v15
	v_addc_co_u32_e32 v5, vcc, 0, v13, vcc
	s_waitcnt lgkmcnt(2)
	global_store_dword v[4:5], v8, off
	global_store_dword v[4:5], v9, off offset:1024
	s_waitcnt lgkmcnt(1)
	global_store_dword v[4:5], v28, off offset:2048
	global_store_dword v[4:5], v29, off offset:3072
	v_add_co_u32_e32 v4, vcc, 0x2000, v15
	v_addc_co_u32_e32 v5, vcc, 0, v13, vcc
	s_waitcnt lgkmcnt(0)
	global_store_dword v[4:5], v2, off
	s_mov_b64 s[2:3], -1
	s_cbranch_execz .LBB526_73
	s_branch .LBB526_84
.LBB526_72:
	s_mov_b64 s[2:3], 0
                                        ; implicit-def: $vgpr3
.LBB526_73:
	s_movk_i32 s2, 0xffdc
	v_mad_i32_i24 v2, v0, s2, v11
	s_barrier
	ds_read2st64_b32 v[30:31], v2 offset0:4 offset1:8
	ds_read2st64_b32 v[28:29], v2 offset0:12 offset1:16
	;; [unrolled: 1-line block ×4, first 2 shown]
	ds_read_b32 v3, v2 offset:9216
	v_mov_b32_e32 v2, s1
	v_add_co_u32_e32 v6, vcc, s0, v1
	v_addc_co_u32_e32 v7, vcc, 0, v2, vcc
	v_cmp_gt_u32_e32 vcc, s6, v0
	s_and_saveexec_b64 s[2:3], vcc
	s_cbranch_execnz .LBB526_87
; %bb.74:
	s_or_b64 exec, exec, s[2:3]
	v_cmp_gt_u32_e32 vcc, s6, v10
	s_and_saveexec_b64 s[2:3], vcc
	s_cbranch_execnz .LBB526_88
.LBB526_75:
	s_or_b64 exec, exec, s[2:3]
	v_cmp_gt_u32_e32 vcc, s6, v12
	s_and_saveexec_b64 s[2:3], vcc
	s_cbranch_execnz .LBB526_89
.LBB526_76:
	s_or_b64 exec, exec, s[2:3]
	v_cmp_gt_u32_e32 vcc, s6, v14
	s_and_saveexec_b64 s[2:3], vcc
	s_cbranch_execnz .LBB526_90
.LBB526_77:
	s_or_b64 exec, exec, s[2:3]
	v_cmp_gt_u32_e32 vcc, s6, v16
	s_and_saveexec_b64 s[2:3], vcc
	s_cbranch_execnz .LBB526_91
.LBB526_78:
	s_or_b64 exec, exec, s[2:3]
	v_cmp_gt_u32_e32 vcc, s6, v18
	s_and_saveexec_b64 s[2:3], vcc
	s_cbranch_execnz .LBB526_92
.LBB526_79:
	s_or_b64 exec, exec, s[2:3]
	v_cmp_gt_u32_e32 vcc, s6, v20
	s_and_saveexec_b64 s[2:3], vcc
	s_cbranch_execnz .LBB526_93
.LBB526_80:
	s_or_b64 exec, exec, s[2:3]
	v_cmp_gt_u32_e32 vcc, s6, v22
	s_and_saveexec_b64 s[2:3], vcc
	s_cbranch_execnz .LBB526_94
.LBB526_81:
	s_or_b64 exec, exec, s[2:3]
	v_cmp_gt_u32_e32 vcc, s6, v24
	s_and_saveexec_b64 s[2:3], vcc
	s_cbranch_execz .LBB526_83
.LBB526_82:
	v_add_co_u32_e32 v6, vcc, 0x2000, v6
	v_addc_co_u32_e32 v7, vcc, 0, v7, vcc
	s_waitcnt lgkmcnt(1)
	global_store_dword v[6:7], v5, off
.LBB526_83:
	s_or_b64 exec, exec, s[2:3]
	v_cmp_gt_u32_e64 s[2:3], s6, v26
.LBB526_84:
	s_and_saveexec_b64 s[4:5], s[2:3]
	s_cbranch_execnz .LBB526_86
; %bb.85:
	s_endpgm
.LBB526_86:
	v_mov_b32_e32 v0, s1
	v_add_co_u32_e32 v1, vcc, s0, v1
	v_addc_co_u32_e32 v2, vcc, 0, v0, vcc
	v_add_co_u32_e32 v0, vcc, 0x2000, v1
	v_addc_co_u32_e32 v1, vcc, 0, v2, vcc
	s_waitcnt lgkmcnt(0)
	global_store_dword v[0:1], v3, off offset:1024
	s_endpgm
.LBB526_87:
	v_mul_i32_i24_e32 v0, 0xffffffdc, v0
	v_add_u32_e32 v0, v11, v0
	ds_read_b32 v0, v0
	s_waitcnt lgkmcnt(0)
	global_store_dword v[6:7], v0, off
	s_or_b64 exec, exec, s[2:3]
	v_cmp_gt_u32_e32 vcc, s6, v10
	s_and_saveexec_b64 s[2:3], vcc
	s_cbranch_execz .LBB526_75
.LBB526_88:
	s_waitcnt lgkmcnt(4)
	global_store_dword v[6:7], v30, off offset:1024
	s_or_b64 exec, exec, s[2:3]
	v_cmp_gt_u32_e32 vcc, s6, v12
	s_and_saveexec_b64 s[2:3], vcc
	s_cbranch_execz .LBB526_76
.LBB526_89:
	s_waitcnt lgkmcnt(4)
	global_store_dword v[6:7], v31, off offset:2048
	s_or_b64 exec, exec, s[2:3]
	v_cmp_gt_u32_e32 vcc, s6, v14
	s_and_saveexec_b64 s[2:3], vcc
	s_cbranch_execz .LBB526_77
.LBB526_90:
	s_waitcnt lgkmcnt(3)
	global_store_dword v[6:7], v28, off offset:3072
	s_or_b64 exec, exec, s[2:3]
	v_cmp_gt_u32_e32 vcc, s6, v16
	s_and_saveexec_b64 s[2:3], vcc
	s_cbranch_execz .LBB526_78
.LBB526_91:
	v_add_co_u32_e32 v10, vcc, 0x1000, v6
	v_addc_co_u32_e32 v11, vcc, 0, v7, vcc
	s_waitcnt lgkmcnt(3)
	global_store_dword v[10:11], v29, off
	s_or_b64 exec, exec, s[2:3]
	v_cmp_gt_u32_e32 vcc, s6, v18
	s_and_saveexec_b64 s[2:3], vcc
	s_cbranch_execz .LBB526_79
.LBB526_92:
	v_add_co_u32_e32 v10, vcc, 0x1000, v6
	v_addc_co_u32_e32 v11, vcc, 0, v7, vcc
	s_waitcnt lgkmcnt(2)
	global_store_dword v[10:11], v8, off offset:1024
	s_or_b64 exec, exec, s[2:3]
	v_cmp_gt_u32_e32 vcc, s6, v20
	s_and_saveexec_b64 s[2:3], vcc
	s_cbranch_execz .LBB526_80
.LBB526_93:
	v_add_co_u32_e32 v10, vcc, 0x1000, v6
	v_addc_co_u32_e32 v11, vcc, 0, v7, vcc
	s_waitcnt lgkmcnt(2)
	global_store_dword v[10:11], v9, off offset:2048
	s_or_b64 exec, exec, s[2:3]
	v_cmp_gt_u32_e32 vcc, s6, v22
	s_and_saveexec_b64 s[2:3], vcc
	s_cbranch_execz .LBB526_81
.LBB526_94:
	s_waitcnt lgkmcnt(2)
	v_add_co_u32_e32 v8, vcc, 0x1000, v6
	v_addc_co_u32_e32 v9, vcc, 0, v7, vcc
	s_waitcnt lgkmcnt(1)
	global_store_dword v[8:9], v4, off offset:3072
	s_or_b64 exec, exec, s[2:3]
	v_cmp_gt_u32_e32 vcc, s6, v24
	s_and_saveexec_b64 s[2:3], vcc
	s_cbranch_execnz .LBB526_82
	s_branch .LBB526_83
	.section	.rodata,"a",@progbits
	.p2align	6, 0x0
	.amdhsa_kernel _ZN7rocprim17ROCPRIM_400000_NS6detail17trampoline_kernelINS0_14default_configENS1_21merge_config_selectorIjNS0_10empty_typeEEEZNS1_10merge_implIS3_N6thrust23THRUST_200600_302600_NS6detail15normal_iteratorINS9_10device_ptrIKjEEEESF_NSB_INSC_IjEEEEPS5_SI_SI_NS9_7greaterIjEEEE10hipError_tPvRmT0_T1_T2_T3_T4_T5_mmT6_P12ihipStream_tbEUlT_E0_NS1_11comp_targetILNS1_3genE4ELNS1_11target_archE910ELNS1_3gpuE8ELNS1_3repE0EEENS1_30default_config_static_selectorELNS0_4arch9wavefront6targetE1EEEvSP_
		.amdhsa_group_segment_fixed_size 10256
		.amdhsa_private_segment_fixed_size 0
		.amdhsa_kernarg_size 88
		.amdhsa_user_sgpr_count 6
		.amdhsa_user_sgpr_private_segment_buffer 1
		.amdhsa_user_sgpr_dispatch_ptr 0
		.amdhsa_user_sgpr_queue_ptr 0
		.amdhsa_user_sgpr_kernarg_segment_ptr 1
		.amdhsa_user_sgpr_dispatch_id 0
		.amdhsa_user_sgpr_flat_scratch_init 0
		.amdhsa_user_sgpr_kernarg_preload_length 0
		.amdhsa_user_sgpr_kernarg_preload_offset 0
		.amdhsa_user_sgpr_private_segment_size 0
		.amdhsa_uses_dynamic_stack 0
		.amdhsa_system_sgpr_private_segment_wavefront_offset 0
		.amdhsa_system_sgpr_workgroup_id_x 1
		.amdhsa_system_sgpr_workgroup_id_y 0
		.amdhsa_system_sgpr_workgroup_id_z 0
		.amdhsa_system_sgpr_workgroup_info 0
		.amdhsa_system_vgpr_workitem_id 0
		.amdhsa_next_free_vgpr 36
		.amdhsa_next_free_sgpr 24
		.amdhsa_accum_offset 36
		.amdhsa_reserve_vcc 1
		.amdhsa_reserve_flat_scratch 0
		.amdhsa_float_round_mode_32 0
		.amdhsa_float_round_mode_16_64 0
		.amdhsa_float_denorm_mode_32 3
		.amdhsa_float_denorm_mode_16_64 3
		.amdhsa_dx10_clamp 1
		.amdhsa_ieee_mode 1
		.amdhsa_fp16_overflow 0
		.amdhsa_tg_split 0
		.amdhsa_exception_fp_ieee_invalid_op 0
		.amdhsa_exception_fp_denorm_src 0
		.amdhsa_exception_fp_ieee_div_zero 0
		.amdhsa_exception_fp_ieee_overflow 0
		.amdhsa_exception_fp_ieee_underflow 0
		.amdhsa_exception_fp_ieee_inexact 0
		.amdhsa_exception_int_div_zero 0
	.end_amdhsa_kernel
	.section	.text._ZN7rocprim17ROCPRIM_400000_NS6detail17trampoline_kernelINS0_14default_configENS1_21merge_config_selectorIjNS0_10empty_typeEEEZNS1_10merge_implIS3_N6thrust23THRUST_200600_302600_NS6detail15normal_iteratorINS9_10device_ptrIKjEEEESF_NSB_INSC_IjEEEEPS5_SI_SI_NS9_7greaterIjEEEE10hipError_tPvRmT0_T1_T2_T3_T4_T5_mmT6_P12ihipStream_tbEUlT_E0_NS1_11comp_targetILNS1_3genE4ELNS1_11target_archE910ELNS1_3gpuE8ELNS1_3repE0EEENS1_30default_config_static_selectorELNS0_4arch9wavefront6targetE1EEEvSP_,"axG",@progbits,_ZN7rocprim17ROCPRIM_400000_NS6detail17trampoline_kernelINS0_14default_configENS1_21merge_config_selectorIjNS0_10empty_typeEEEZNS1_10merge_implIS3_N6thrust23THRUST_200600_302600_NS6detail15normal_iteratorINS9_10device_ptrIKjEEEESF_NSB_INSC_IjEEEEPS5_SI_SI_NS9_7greaterIjEEEE10hipError_tPvRmT0_T1_T2_T3_T4_T5_mmT6_P12ihipStream_tbEUlT_E0_NS1_11comp_targetILNS1_3genE4ELNS1_11target_archE910ELNS1_3gpuE8ELNS1_3repE0EEENS1_30default_config_static_selectorELNS0_4arch9wavefront6targetE1EEEvSP_,comdat
.Lfunc_end526:
	.size	_ZN7rocprim17ROCPRIM_400000_NS6detail17trampoline_kernelINS0_14default_configENS1_21merge_config_selectorIjNS0_10empty_typeEEEZNS1_10merge_implIS3_N6thrust23THRUST_200600_302600_NS6detail15normal_iteratorINS9_10device_ptrIKjEEEESF_NSB_INSC_IjEEEEPS5_SI_SI_NS9_7greaterIjEEEE10hipError_tPvRmT0_T1_T2_T3_T4_T5_mmT6_P12ihipStream_tbEUlT_E0_NS1_11comp_targetILNS1_3genE4ELNS1_11target_archE910ELNS1_3gpuE8ELNS1_3repE0EEENS1_30default_config_static_selectorELNS0_4arch9wavefront6targetE1EEEvSP_, .Lfunc_end526-_ZN7rocprim17ROCPRIM_400000_NS6detail17trampoline_kernelINS0_14default_configENS1_21merge_config_selectorIjNS0_10empty_typeEEEZNS1_10merge_implIS3_N6thrust23THRUST_200600_302600_NS6detail15normal_iteratorINS9_10device_ptrIKjEEEESF_NSB_INSC_IjEEEEPS5_SI_SI_NS9_7greaterIjEEEE10hipError_tPvRmT0_T1_T2_T3_T4_T5_mmT6_P12ihipStream_tbEUlT_E0_NS1_11comp_targetILNS1_3genE4ELNS1_11target_archE910ELNS1_3gpuE8ELNS1_3repE0EEENS1_30default_config_static_selectorELNS0_4arch9wavefront6targetE1EEEvSP_
                                        ; -- End function
	.section	.AMDGPU.csdata,"",@progbits
; Kernel info:
; codeLenInByte = 3580
; NumSgprs: 28
; NumVgprs: 36
; NumAgprs: 0
; TotalNumVgprs: 36
; ScratchSize: 0
; MemoryBound: 0
; FloatMode: 240
; IeeeMode: 1
; LDSByteSize: 10256 bytes/workgroup (compile time only)
; SGPRBlocks: 3
; VGPRBlocks: 4
; NumSGPRsForWavesPerEU: 28
; NumVGPRsForWavesPerEU: 36
; AccumOffset: 36
; Occupancy: 6
; WaveLimiterHint : 1
; COMPUTE_PGM_RSRC2:SCRATCH_EN: 0
; COMPUTE_PGM_RSRC2:USER_SGPR: 6
; COMPUTE_PGM_RSRC2:TRAP_HANDLER: 0
; COMPUTE_PGM_RSRC2:TGID_X_EN: 1
; COMPUTE_PGM_RSRC2:TGID_Y_EN: 0
; COMPUTE_PGM_RSRC2:TGID_Z_EN: 0
; COMPUTE_PGM_RSRC2:TIDIG_COMP_CNT: 0
; COMPUTE_PGM_RSRC3_GFX90A:ACCUM_OFFSET: 8
; COMPUTE_PGM_RSRC3_GFX90A:TG_SPLIT: 0
	.section	.text._ZN7rocprim17ROCPRIM_400000_NS6detail17trampoline_kernelINS0_14default_configENS1_21merge_config_selectorIjNS0_10empty_typeEEEZNS1_10merge_implIS3_N6thrust23THRUST_200600_302600_NS6detail15normal_iteratorINS9_10device_ptrIKjEEEESF_NSB_INSC_IjEEEEPS5_SI_SI_NS9_7greaterIjEEEE10hipError_tPvRmT0_T1_T2_T3_T4_T5_mmT6_P12ihipStream_tbEUlT_E0_NS1_11comp_targetILNS1_3genE3ELNS1_11target_archE908ELNS1_3gpuE7ELNS1_3repE0EEENS1_30default_config_static_selectorELNS0_4arch9wavefront6targetE1EEEvSP_,"axG",@progbits,_ZN7rocprim17ROCPRIM_400000_NS6detail17trampoline_kernelINS0_14default_configENS1_21merge_config_selectorIjNS0_10empty_typeEEEZNS1_10merge_implIS3_N6thrust23THRUST_200600_302600_NS6detail15normal_iteratorINS9_10device_ptrIKjEEEESF_NSB_INSC_IjEEEEPS5_SI_SI_NS9_7greaterIjEEEE10hipError_tPvRmT0_T1_T2_T3_T4_T5_mmT6_P12ihipStream_tbEUlT_E0_NS1_11comp_targetILNS1_3genE3ELNS1_11target_archE908ELNS1_3gpuE7ELNS1_3repE0EEENS1_30default_config_static_selectorELNS0_4arch9wavefront6targetE1EEEvSP_,comdat
	.protected	_ZN7rocprim17ROCPRIM_400000_NS6detail17trampoline_kernelINS0_14default_configENS1_21merge_config_selectorIjNS0_10empty_typeEEEZNS1_10merge_implIS3_N6thrust23THRUST_200600_302600_NS6detail15normal_iteratorINS9_10device_ptrIKjEEEESF_NSB_INSC_IjEEEEPS5_SI_SI_NS9_7greaterIjEEEE10hipError_tPvRmT0_T1_T2_T3_T4_T5_mmT6_P12ihipStream_tbEUlT_E0_NS1_11comp_targetILNS1_3genE3ELNS1_11target_archE908ELNS1_3gpuE7ELNS1_3repE0EEENS1_30default_config_static_selectorELNS0_4arch9wavefront6targetE1EEEvSP_ ; -- Begin function _ZN7rocprim17ROCPRIM_400000_NS6detail17trampoline_kernelINS0_14default_configENS1_21merge_config_selectorIjNS0_10empty_typeEEEZNS1_10merge_implIS3_N6thrust23THRUST_200600_302600_NS6detail15normal_iteratorINS9_10device_ptrIKjEEEESF_NSB_INSC_IjEEEEPS5_SI_SI_NS9_7greaterIjEEEE10hipError_tPvRmT0_T1_T2_T3_T4_T5_mmT6_P12ihipStream_tbEUlT_E0_NS1_11comp_targetILNS1_3genE3ELNS1_11target_archE908ELNS1_3gpuE7ELNS1_3repE0EEENS1_30default_config_static_selectorELNS0_4arch9wavefront6targetE1EEEvSP_
	.globl	_ZN7rocprim17ROCPRIM_400000_NS6detail17trampoline_kernelINS0_14default_configENS1_21merge_config_selectorIjNS0_10empty_typeEEEZNS1_10merge_implIS3_N6thrust23THRUST_200600_302600_NS6detail15normal_iteratorINS9_10device_ptrIKjEEEESF_NSB_INSC_IjEEEEPS5_SI_SI_NS9_7greaterIjEEEE10hipError_tPvRmT0_T1_T2_T3_T4_T5_mmT6_P12ihipStream_tbEUlT_E0_NS1_11comp_targetILNS1_3genE3ELNS1_11target_archE908ELNS1_3gpuE7ELNS1_3repE0EEENS1_30default_config_static_selectorELNS0_4arch9wavefront6targetE1EEEvSP_
	.p2align	8
	.type	_ZN7rocprim17ROCPRIM_400000_NS6detail17trampoline_kernelINS0_14default_configENS1_21merge_config_selectorIjNS0_10empty_typeEEEZNS1_10merge_implIS3_N6thrust23THRUST_200600_302600_NS6detail15normal_iteratorINS9_10device_ptrIKjEEEESF_NSB_INSC_IjEEEEPS5_SI_SI_NS9_7greaterIjEEEE10hipError_tPvRmT0_T1_T2_T3_T4_T5_mmT6_P12ihipStream_tbEUlT_E0_NS1_11comp_targetILNS1_3genE3ELNS1_11target_archE908ELNS1_3gpuE7ELNS1_3repE0EEENS1_30default_config_static_selectorELNS0_4arch9wavefront6targetE1EEEvSP_,@function
_ZN7rocprim17ROCPRIM_400000_NS6detail17trampoline_kernelINS0_14default_configENS1_21merge_config_selectorIjNS0_10empty_typeEEEZNS1_10merge_implIS3_N6thrust23THRUST_200600_302600_NS6detail15normal_iteratorINS9_10device_ptrIKjEEEESF_NSB_INSC_IjEEEEPS5_SI_SI_NS9_7greaterIjEEEE10hipError_tPvRmT0_T1_T2_T3_T4_T5_mmT6_P12ihipStream_tbEUlT_E0_NS1_11comp_targetILNS1_3genE3ELNS1_11target_archE908ELNS1_3gpuE7ELNS1_3repE0EEENS1_30default_config_static_selectorELNS0_4arch9wavefront6targetE1EEEvSP_: ; @_ZN7rocprim17ROCPRIM_400000_NS6detail17trampoline_kernelINS0_14default_configENS1_21merge_config_selectorIjNS0_10empty_typeEEEZNS1_10merge_implIS3_N6thrust23THRUST_200600_302600_NS6detail15normal_iteratorINS9_10device_ptrIKjEEEESF_NSB_INSC_IjEEEEPS5_SI_SI_NS9_7greaterIjEEEE10hipError_tPvRmT0_T1_T2_T3_T4_T5_mmT6_P12ihipStream_tbEUlT_E0_NS1_11comp_targetILNS1_3genE3ELNS1_11target_archE908ELNS1_3gpuE7ELNS1_3repE0EEENS1_30default_config_static_selectorELNS0_4arch9wavefront6targetE1EEEvSP_
; %bb.0:
	.section	.rodata,"a",@progbits
	.p2align	6, 0x0
	.amdhsa_kernel _ZN7rocprim17ROCPRIM_400000_NS6detail17trampoline_kernelINS0_14default_configENS1_21merge_config_selectorIjNS0_10empty_typeEEEZNS1_10merge_implIS3_N6thrust23THRUST_200600_302600_NS6detail15normal_iteratorINS9_10device_ptrIKjEEEESF_NSB_INSC_IjEEEEPS5_SI_SI_NS9_7greaterIjEEEE10hipError_tPvRmT0_T1_T2_T3_T4_T5_mmT6_P12ihipStream_tbEUlT_E0_NS1_11comp_targetILNS1_3genE3ELNS1_11target_archE908ELNS1_3gpuE7ELNS1_3repE0EEENS1_30default_config_static_selectorELNS0_4arch9wavefront6targetE1EEEvSP_
		.amdhsa_group_segment_fixed_size 0
		.amdhsa_private_segment_fixed_size 0
		.amdhsa_kernarg_size 88
		.amdhsa_user_sgpr_count 6
		.amdhsa_user_sgpr_private_segment_buffer 1
		.amdhsa_user_sgpr_dispatch_ptr 0
		.amdhsa_user_sgpr_queue_ptr 0
		.amdhsa_user_sgpr_kernarg_segment_ptr 1
		.amdhsa_user_sgpr_dispatch_id 0
		.amdhsa_user_sgpr_flat_scratch_init 0
		.amdhsa_user_sgpr_kernarg_preload_length 0
		.amdhsa_user_sgpr_kernarg_preload_offset 0
		.amdhsa_user_sgpr_private_segment_size 0
		.amdhsa_uses_dynamic_stack 0
		.amdhsa_system_sgpr_private_segment_wavefront_offset 0
		.amdhsa_system_sgpr_workgroup_id_x 1
		.amdhsa_system_sgpr_workgroup_id_y 0
		.amdhsa_system_sgpr_workgroup_id_z 0
		.amdhsa_system_sgpr_workgroup_info 0
		.amdhsa_system_vgpr_workitem_id 0
		.amdhsa_next_free_vgpr 1
		.amdhsa_next_free_sgpr 0
		.amdhsa_accum_offset 4
		.amdhsa_reserve_vcc 0
		.amdhsa_reserve_flat_scratch 0
		.amdhsa_float_round_mode_32 0
		.amdhsa_float_round_mode_16_64 0
		.amdhsa_float_denorm_mode_32 3
		.amdhsa_float_denorm_mode_16_64 3
		.amdhsa_dx10_clamp 1
		.amdhsa_ieee_mode 1
		.amdhsa_fp16_overflow 0
		.amdhsa_tg_split 0
		.amdhsa_exception_fp_ieee_invalid_op 0
		.amdhsa_exception_fp_denorm_src 0
		.amdhsa_exception_fp_ieee_div_zero 0
		.amdhsa_exception_fp_ieee_overflow 0
		.amdhsa_exception_fp_ieee_underflow 0
		.amdhsa_exception_fp_ieee_inexact 0
		.amdhsa_exception_int_div_zero 0
	.end_amdhsa_kernel
	.section	.text._ZN7rocprim17ROCPRIM_400000_NS6detail17trampoline_kernelINS0_14default_configENS1_21merge_config_selectorIjNS0_10empty_typeEEEZNS1_10merge_implIS3_N6thrust23THRUST_200600_302600_NS6detail15normal_iteratorINS9_10device_ptrIKjEEEESF_NSB_INSC_IjEEEEPS5_SI_SI_NS9_7greaterIjEEEE10hipError_tPvRmT0_T1_T2_T3_T4_T5_mmT6_P12ihipStream_tbEUlT_E0_NS1_11comp_targetILNS1_3genE3ELNS1_11target_archE908ELNS1_3gpuE7ELNS1_3repE0EEENS1_30default_config_static_selectorELNS0_4arch9wavefront6targetE1EEEvSP_,"axG",@progbits,_ZN7rocprim17ROCPRIM_400000_NS6detail17trampoline_kernelINS0_14default_configENS1_21merge_config_selectorIjNS0_10empty_typeEEEZNS1_10merge_implIS3_N6thrust23THRUST_200600_302600_NS6detail15normal_iteratorINS9_10device_ptrIKjEEEESF_NSB_INSC_IjEEEEPS5_SI_SI_NS9_7greaterIjEEEE10hipError_tPvRmT0_T1_T2_T3_T4_T5_mmT6_P12ihipStream_tbEUlT_E0_NS1_11comp_targetILNS1_3genE3ELNS1_11target_archE908ELNS1_3gpuE7ELNS1_3repE0EEENS1_30default_config_static_selectorELNS0_4arch9wavefront6targetE1EEEvSP_,comdat
.Lfunc_end527:
	.size	_ZN7rocprim17ROCPRIM_400000_NS6detail17trampoline_kernelINS0_14default_configENS1_21merge_config_selectorIjNS0_10empty_typeEEEZNS1_10merge_implIS3_N6thrust23THRUST_200600_302600_NS6detail15normal_iteratorINS9_10device_ptrIKjEEEESF_NSB_INSC_IjEEEEPS5_SI_SI_NS9_7greaterIjEEEE10hipError_tPvRmT0_T1_T2_T3_T4_T5_mmT6_P12ihipStream_tbEUlT_E0_NS1_11comp_targetILNS1_3genE3ELNS1_11target_archE908ELNS1_3gpuE7ELNS1_3repE0EEENS1_30default_config_static_selectorELNS0_4arch9wavefront6targetE1EEEvSP_, .Lfunc_end527-_ZN7rocprim17ROCPRIM_400000_NS6detail17trampoline_kernelINS0_14default_configENS1_21merge_config_selectorIjNS0_10empty_typeEEEZNS1_10merge_implIS3_N6thrust23THRUST_200600_302600_NS6detail15normal_iteratorINS9_10device_ptrIKjEEEESF_NSB_INSC_IjEEEEPS5_SI_SI_NS9_7greaterIjEEEE10hipError_tPvRmT0_T1_T2_T3_T4_T5_mmT6_P12ihipStream_tbEUlT_E0_NS1_11comp_targetILNS1_3genE3ELNS1_11target_archE908ELNS1_3gpuE7ELNS1_3repE0EEENS1_30default_config_static_selectorELNS0_4arch9wavefront6targetE1EEEvSP_
                                        ; -- End function
	.section	.AMDGPU.csdata,"",@progbits
; Kernel info:
; codeLenInByte = 0
; NumSgprs: 4
; NumVgprs: 0
; NumAgprs: 0
; TotalNumVgprs: 0
; ScratchSize: 0
; MemoryBound: 0
; FloatMode: 240
; IeeeMode: 1
; LDSByteSize: 0 bytes/workgroup (compile time only)
; SGPRBlocks: 0
; VGPRBlocks: 0
; NumSGPRsForWavesPerEU: 4
; NumVGPRsForWavesPerEU: 1
; AccumOffset: 4
; Occupancy: 8
; WaveLimiterHint : 0
; COMPUTE_PGM_RSRC2:SCRATCH_EN: 0
; COMPUTE_PGM_RSRC2:USER_SGPR: 6
; COMPUTE_PGM_RSRC2:TRAP_HANDLER: 0
; COMPUTE_PGM_RSRC2:TGID_X_EN: 1
; COMPUTE_PGM_RSRC2:TGID_Y_EN: 0
; COMPUTE_PGM_RSRC2:TGID_Z_EN: 0
; COMPUTE_PGM_RSRC2:TIDIG_COMP_CNT: 0
; COMPUTE_PGM_RSRC3_GFX90A:ACCUM_OFFSET: 0
; COMPUTE_PGM_RSRC3_GFX90A:TG_SPLIT: 0
	.section	.text._ZN7rocprim17ROCPRIM_400000_NS6detail17trampoline_kernelINS0_14default_configENS1_21merge_config_selectorIjNS0_10empty_typeEEEZNS1_10merge_implIS3_N6thrust23THRUST_200600_302600_NS6detail15normal_iteratorINS9_10device_ptrIKjEEEESF_NSB_INSC_IjEEEEPS5_SI_SI_NS9_7greaterIjEEEE10hipError_tPvRmT0_T1_T2_T3_T4_T5_mmT6_P12ihipStream_tbEUlT_E0_NS1_11comp_targetILNS1_3genE2ELNS1_11target_archE906ELNS1_3gpuE6ELNS1_3repE0EEENS1_30default_config_static_selectorELNS0_4arch9wavefront6targetE1EEEvSP_,"axG",@progbits,_ZN7rocprim17ROCPRIM_400000_NS6detail17trampoline_kernelINS0_14default_configENS1_21merge_config_selectorIjNS0_10empty_typeEEEZNS1_10merge_implIS3_N6thrust23THRUST_200600_302600_NS6detail15normal_iteratorINS9_10device_ptrIKjEEEESF_NSB_INSC_IjEEEEPS5_SI_SI_NS9_7greaterIjEEEE10hipError_tPvRmT0_T1_T2_T3_T4_T5_mmT6_P12ihipStream_tbEUlT_E0_NS1_11comp_targetILNS1_3genE2ELNS1_11target_archE906ELNS1_3gpuE6ELNS1_3repE0EEENS1_30default_config_static_selectorELNS0_4arch9wavefront6targetE1EEEvSP_,comdat
	.protected	_ZN7rocprim17ROCPRIM_400000_NS6detail17trampoline_kernelINS0_14default_configENS1_21merge_config_selectorIjNS0_10empty_typeEEEZNS1_10merge_implIS3_N6thrust23THRUST_200600_302600_NS6detail15normal_iteratorINS9_10device_ptrIKjEEEESF_NSB_INSC_IjEEEEPS5_SI_SI_NS9_7greaterIjEEEE10hipError_tPvRmT0_T1_T2_T3_T4_T5_mmT6_P12ihipStream_tbEUlT_E0_NS1_11comp_targetILNS1_3genE2ELNS1_11target_archE906ELNS1_3gpuE6ELNS1_3repE0EEENS1_30default_config_static_selectorELNS0_4arch9wavefront6targetE1EEEvSP_ ; -- Begin function _ZN7rocprim17ROCPRIM_400000_NS6detail17trampoline_kernelINS0_14default_configENS1_21merge_config_selectorIjNS0_10empty_typeEEEZNS1_10merge_implIS3_N6thrust23THRUST_200600_302600_NS6detail15normal_iteratorINS9_10device_ptrIKjEEEESF_NSB_INSC_IjEEEEPS5_SI_SI_NS9_7greaterIjEEEE10hipError_tPvRmT0_T1_T2_T3_T4_T5_mmT6_P12ihipStream_tbEUlT_E0_NS1_11comp_targetILNS1_3genE2ELNS1_11target_archE906ELNS1_3gpuE6ELNS1_3repE0EEENS1_30default_config_static_selectorELNS0_4arch9wavefront6targetE1EEEvSP_
	.globl	_ZN7rocprim17ROCPRIM_400000_NS6detail17trampoline_kernelINS0_14default_configENS1_21merge_config_selectorIjNS0_10empty_typeEEEZNS1_10merge_implIS3_N6thrust23THRUST_200600_302600_NS6detail15normal_iteratorINS9_10device_ptrIKjEEEESF_NSB_INSC_IjEEEEPS5_SI_SI_NS9_7greaterIjEEEE10hipError_tPvRmT0_T1_T2_T3_T4_T5_mmT6_P12ihipStream_tbEUlT_E0_NS1_11comp_targetILNS1_3genE2ELNS1_11target_archE906ELNS1_3gpuE6ELNS1_3repE0EEENS1_30default_config_static_selectorELNS0_4arch9wavefront6targetE1EEEvSP_
	.p2align	8
	.type	_ZN7rocprim17ROCPRIM_400000_NS6detail17trampoline_kernelINS0_14default_configENS1_21merge_config_selectorIjNS0_10empty_typeEEEZNS1_10merge_implIS3_N6thrust23THRUST_200600_302600_NS6detail15normal_iteratorINS9_10device_ptrIKjEEEESF_NSB_INSC_IjEEEEPS5_SI_SI_NS9_7greaterIjEEEE10hipError_tPvRmT0_T1_T2_T3_T4_T5_mmT6_P12ihipStream_tbEUlT_E0_NS1_11comp_targetILNS1_3genE2ELNS1_11target_archE906ELNS1_3gpuE6ELNS1_3repE0EEENS1_30default_config_static_selectorELNS0_4arch9wavefront6targetE1EEEvSP_,@function
_ZN7rocprim17ROCPRIM_400000_NS6detail17trampoline_kernelINS0_14default_configENS1_21merge_config_selectorIjNS0_10empty_typeEEEZNS1_10merge_implIS3_N6thrust23THRUST_200600_302600_NS6detail15normal_iteratorINS9_10device_ptrIKjEEEESF_NSB_INSC_IjEEEEPS5_SI_SI_NS9_7greaterIjEEEE10hipError_tPvRmT0_T1_T2_T3_T4_T5_mmT6_P12ihipStream_tbEUlT_E0_NS1_11comp_targetILNS1_3genE2ELNS1_11target_archE906ELNS1_3gpuE6ELNS1_3repE0EEENS1_30default_config_static_selectorELNS0_4arch9wavefront6targetE1EEEvSP_: ; @_ZN7rocprim17ROCPRIM_400000_NS6detail17trampoline_kernelINS0_14default_configENS1_21merge_config_selectorIjNS0_10empty_typeEEEZNS1_10merge_implIS3_N6thrust23THRUST_200600_302600_NS6detail15normal_iteratorINS9_10device_ptrIKjEEEESF_NSB_INSC_IjEEEEPS5_SI_SI_NS9_7greaterIjEEEE10hipError_tPvRmT0_T1_T2_T3_T4_T5_mmT6_P12ihipStream_tbEUlT_E0_NS1_11comp_targetILNS1_3genE2ELNS1_11target_archE906ELNS1_3gpuE6ELNS1_3repE0EEENS1_30default_config_static_selectorELNS0_4arch9wavefront6targetE1EEEvSP_
; %bb.0:
	.section	.rodata,"a",@progbits
	.p2align	6, 0x0
	.amdhsa_kernel _ZN7rocprim17ROCPRIM_400000_NS6detail17trampoline_kernelINS0_14default_configENS1_21merge_config_selectorIjNS0_10empty_typeEEEZNS1_10merge_implIS3_N6thrust23THRUST_200600_302600_NS6detail15normal_iteratorINS9_10device_ptrIKjEEEESF_NSB_INSC_IjEEEEPS5_SI_SI_NS9_7greaterIjEEEE10hipError_tPvRmT0_T1_T2_T3_T4_T5_mmT6_P12ihipStream_tbEUlT_E0_NS1_11comp_targetILNS1_3genE2ELNS1_11target_archE906ELNS1_3gpuE6ELNS1_3repE0EEENS1_30default_config_static_selectorELNS0_4arch9wavefront6targetE1EEEvSP_
		.amdhsa_group_segment_fixed_size 0
		.amdhsa_private_segment_fixed_size 0
		.amdhsa_kernarg_size 88
		.amdhsa_user_sgpr_count 6
		.amdhsa_user_sgpr_private_segment_buffer 1
		.amdhsa_user_sgpr_dispatch_ptr 0
		.amdhsa_user_sgpr_queue_ptr 0
		.amdhsa_user_sgpr_kernarg_segment_ptr 1
		.amdhsa_user_sgpr_dispatch_id 0
		.amdhsa_user_sgpr_flat_scratch_init 0
		.amdhsa_user_sgpr_kernarg_preload_length 0
		.amdhsa_user_sgpr_kernarg_preload_offset 0
		.amdhsa_user_sgpr_private_segment_size 0
		.amdhsa_uses_dynamic_stack 0
		.amdhsa_system_sgpr_private_segment_wavefront_offset 0
		.amdhsa_system_sgpr_workgroup_id_x 1
		.amdhsa_system_sgpr_workgroup_id_y 0
		.amdhsa_system_sgpr_workgroup_id_z 0
		.amdhsa_system_sgpr_workgroup_info 0
		.amdhsa_system_vgpr_workitem_id 0
		.amdhsa_next_free_vgpr 1
		.amdhsa_next_free_sgpr 0
		.amdhsa_accum_offset 4
		.amdhsa_reserve_vcc 0
		.amdhsa_reserve_flat_scratch 0
		.amdhsa_float_round_mode_32 0
		.amdhsa_float_round_mode_16_64 0
		.amdhsa_float_denorm_mode_32 3
		.amdhsa_float_denorm_mode_16_64 3
		.amdhsa_dx10_clamp 1
		.amdhsa_ieee_mode 1
		.amdhsa_fp16_overflow 0
		.amdhsa_tg_split 0
		.amdhsa_exception_fp_ieee_invalid_op 0
		.amdhsa_exception_fp_denorm_src 0
		.amdhsa_exception_fp_ieee_div_zero 0
		.amdhsa_exception_fp_ieee_overflow 0
		.amdhsa_exception_fp_ieee_underflow 0
		.amdhsa_exception_fp_ieee_inexact 0
		.amdhsa_exception_int_div_zero 0
	.end_amdhsa_kernel
	.section	.text._ZN7rocprim17ROCPRIM_400000_NS6detail17trampoline_kernelINS0_14default_configENS1_21merge_config_selectorIjNS0_10empty_typeEEEZNS1_10merge_implIS3_N6thrust23THRUST_200600_302600_NS6detail15normal_iteratorINS9_10device_ptrIKjEEEESF_NSB_INSC_IjEEEEPS5_SI_SI_NS9_7greaterIjEEEE10hipError_tPvRmT0_T1_T2_T3_T4_T5_mmT6_P12ihipStream_tbEUlT_E0_NS1_11comp_targetILNS1_3genE2ELNS1_11target_archE906ELNS1_3gpuE6ELNS1_3repE0EEENS1_30default_config_static_selectorELNS0_4arch9wavefront6targetE1EEEvSP_,"axG",@progbits,_ZN7rocprim17ROCPRIM_400000_NS6detail17trampoline_kernelINS0_14default_configENS1_21merge_config_selectorIjNS0_10empty_typeEEEZNS1_10merge_implIS3_N6thrust23THRUST_200600_302600_NS6detail15normal_iteratorINS9_10device_ptrIKjEEEESF_NSB_INSC_IjEEEEPS5_SI_SI_NS9_7greaterIjEEEE10hipError_tPvRmT0_T1_T2_T3_T4_T5_mmT6_P12ihipStream_tbEUlT_E0_NS1_11comp_targetILNS1_3genE2ELNS1_11target_archE906ELNS1_3gpuE6ELNS1_3repE0EEENS1_30default_config_static_selectorELNS0_4arch9wavefront6targetE1EEEvSP_,comdat
.Lfunc_end528:
	.size	_ZN7rocprim17ROCPRIM_400000_NS6detail17trampoline_kernelINS0_14default_configENS1_21merge_config_selectorIjNS0_10empty_typeEEEZNS1_10merge_implIS3_N6thrust23THRUST_200600_302600_NS6detail15normal_iteratorINS9_10device_ptrIKjEEEESF_NSB_INSC_IjEEEEPS5_SI_SI_NS9_7greaterIjEEEE10hipError_tPvRmT0_T1_T2_T3_T4_T5_mmT6_P12ihipStream_tbEUlT_E0_NS1_11comp_targetILNS1_3genE2ELNS1_11target_archE906ELNS1_3gpuE6ELNS1_3repE0EEENS1_30default_config_static_selectorELNS0_4arch9wavefront6targetE1EEEvSP_, .Lfunc_end528-_ZN7rocprim17ROCPRIM_400000_NS6detail17trampoline_kernelINS0_14default_configENS1_21merge_config_selectorIjNS0_10empty_typeEEEZNS1_10merge_implIS3_N6thrust23THRUST_200600_302600_NS6detail15normal_iteratorINS9_10device_ptrIKjEEEESF_NSB_INSC_IjEEEEPS5_SI_SI_NS9_7greaterIjEEEE10hipError_tPvRmT0_T1_T2_T3_T4_T5_mmT6_P12ihipStream_tbEUlT_E0_NS1_11comp_targetILNS1_3genE2ELNS1_11target_archE906ELNS1_3gpuE6ELNS1_3repE0EEENS1_30default_config_static_selectorELNS0_4arch9wavefront6targetE1EEEvSP_
                                        ; -- End function
	.section	.AMDGPU.csdata,"",@progbits
; Kernel info:
; codeLenInByte = 0
; NumSgprs: 4
; NumVgprs: 0
; NumAgprs: 0
; TotalNumVgprs: 0
; ScratchSize: 0
; MemoryBound: 0
; FloatMode: 240
; IeeeMode: 1
; LDSByteSize: 0 bytes/workgroup (compile time only)
; SGPRBlocks: 0
; VGPRBlocks: 0
; NumSGPRsForWavesPerEU: 4
; NumVGPRsForWavesPerEU: 1
; AccumOffset: 4
; Occupancy: 8
; WaveLimiterHint : 0
; COMPUTE_PGM_RSRC2:SCRATCH_EN: 0
; COMPUTE_PGM_RSRC2:USER_SGPR: 6
; COMPUTE_PGM_RSRC2:TRAP_HANDLER: 0
; COMPUTE_PGM_RSRC2:TGID_X_EN: 1
; COMPUTE_PGM_RSRC2:TGID_Y_EN: 0
; COMPUTE_PGM_RSRC2:TGID_Z_EN: 0
; COMPUTE_PGM_RSRC2:TIDIG_COMP_CNT: 0
; COMPUTE_PGM_RSRC3_GFX90A:ACCUM_OFFSET: 0
; COMPUTE_PGM_RSRC3_GFX90A:TG_SPLIT: 0
	.section	.text._ZN7rocprim17ROCPRIM_400000_NS6detail17trampoline_kernelINS0_14default_configENS1_21merge_config_selectorIjNS0_10empty_typeEEEZNS1_10merge_implIS3_N6thrust23THRUST_200600_302600_NS6detail15normal_iteratorINS9_10device_ptrIKjEEEESF_NSB_INSC_IjEEEEPS5_SI_SI_NS9_7greaterIjEEEE10hipError_tPvRmT0_T1_T2_T3_T4_T5_mmT6_P12ihipStream_tbEUlT_E0_NS1_11comp_targetILNS1_3genE10ELNS1_11target_archE1201ELNS1_3gpuE5ELNS1_3repE0EEENS1_30default_config_static_selectorELNS0_4arch9wavefront6targetE1EEEvSP_,"axG",@progbits,_ZN7rocprim17ROCPRIM_400000_NS6detail17trampoline_kernelINS0_14default_configENS1_21merge_config_selectorIjNS0_10empty_typeEEEZNS1_10merge_implIS3_N6thrust23THRUST_200600_302600_NS6detail15normal_iteratorINS9_10device_ptrIKjEEEESF_NSB_INSC_IjEEEEPS5_SI_SI_NS9_7greaterIjEEEE10hipError_tPvRmT0_T1_T2_T3_T4_T5_mmT6_P12ihipStream_tbEUlT_E0_NS1_11comp_targetILNS1_3genE10ELNS1_11target_archE1201ELNS1_3gpuE5ELNS1_3repE0EEENS1_30default_config_static_selectorELNS0_4arch9wavefront6targetE1EEEvSP_,comdat
	.protected	_ZN7rocprim17ROCPRIM_400000_NS6detail17trampoline_kernelINS0_14default_configENS1_21merge_config_selectorIjNS0_10empty_typeEEEZNS1_10merge_implIS3_N6thrust23THRUST_200600_302600_NS6detail15normal_iteratorINS9_10device_ptrIKjEEEESF_NSB_INSC_IjEEEEPS5_SI_SI_NS9_7greaterIjEEEE10hipError_tPvRmT0_T1_T2_T3_T4_T5_mmT6_P12ihipStream_tbEUlT_E0_NS1_11comp_targetILNS1_3genE10ELNS1_11target_archE1201ELNS1_3gpuE5ELNS1_3repE0EEENS1_30default_config_static_selectorELNS0_4arch9wavefront6targetE1EEEvSP_ ; -- Begin function _ZN7rocprim17ROCPRIM_400000_NS6detail17trampoline_kernelINS0_14default_configENS1_21merge_config_selectorIjNS0_10empty_typeEEEZNS1_10merge_implIS3_N6thrust23THRUST_200600_302600_NS6detail15normal_iteratorINS9_10device_ptrIKjEEEESF_NSB_INSC_IjEEEEPS5_SI_SI_NS9_7greaterIjEEEE10hipError_tPvRmT0_T1_T2_T3_T4_T5_mmT6_P12ihipStream_tbEUlT_E0_NS1_11comp_targetILNS1_3genE10ELNS1_11target_archE1201ELNS1_3gpuE5ELNS1_3repE0EEENS1_30default_config_static_selectorELNS0_4arch9wavefront6targetE1EEEvSP_
	.globl	_ZN7rocprim17ROCPRIM_400000_NS6detail17trampoline_kernelINS0_14default_configENS1_21merge_config_selectorIjNS0_10empty_typeEEEZNS1_10merge_implIS3_N6thrust23THRUST_200600_302600_NS6detail15normal_iteratorINS9_10device_ptrIKjEEEESF_NSB_INSC_IjEEEEPS5_SI_SI_NS9_7greaterIjEEEE10hipError_tPvRmT0_T1_T2_T3_T4_T5_mmT6_P12ihipStream_tbEUlT_E0_NS1_11comp_targetILNS1_3genE10ELNS1_11target_archE1201ELNS1_3gpuE5ELNS1_3repE0EEENS1_30default_config_static_selectorELNS0_4arch9wavefront6targetE1EEEvSP_
	.p2align	8
	.type	_ZN7rocprim17ROCPRIM_400000_NS6detail17trampoline_kernelINS0_14default_configENS1_21merge_config_selectorIjNS0_10empty_typeEEEZNS1_10merge_implIS3_N6thrust23THRUST_200600_302600_NS6detail15normal_iteratorINS9_10device_ptrIKjEEEESF_NSB_INSC_IjEEEEPS5_SI_SI_NS9_7greaterIjEEEE10hipError_tPvRmT0_T1_T2_T3_T4_T5_mmT6_P12ihipStream_tbEUlT_E0_NS1_11comp_targetILNS1_3genE10ELNS1_11target_archE1201ELNS1_3gpuE5ELNS1_3repE0EEENS1_30default_config_static_selectorELNS0_4arch9wavefront6targetE1EEEvSP_,@function
_ZN7rocprim17ROCPRIM_400000_NS6detail17trampoline_kernelINS0_14default_configENS1_21merge_config_selectorIjNS0_10empty_typeEEEZNS1_10merge_implIS3_N6thrust23THRUST_200600_302600_NS6detail15normal_iteratorINS9_10device_ptrIKjEEEESF_NSB_INSC_IjEEEEPS5_SI_SI_NS9_7greaterIjEEEE10hipError_tPvRmT0_T1_T2_T3_T4_T5_mmT6_P12ihipStream_tbEUlT_E0_NS1_11comp_targetILNS1_3genE10ELNS1_11target_archE1201ELNS1_3gpuE5ELNS1_3repE0EEENS1_30default_config_static_selectorELNS0_4arch9wavefront6targetE1EEEvSP_: ; @_ZN7rocprim17ROCPRIM_400000_NS6detail17trampoline_kernelINS0_14default_configENS1_21merge_config_selectorIjNS0_10empty_typeEEEZNS1_10merge_implIS3_N6thrust23THRUST_200600_302600_NS6detail15normal_iteratorINS9_10device_ptrIKjEEEESF_NSB_INSC_IjEEEEPS5_SI_SI_NS9_7greaterIjEEEE10hipError_tPvRmT0_T1_T2_T3_T4_T5_mmT6_P12ihipStream_tbEUlT_E0_NS1_11comp_targetILNS1_3genE10ELNS1_11target_archE1201ELNS1_3gpuE5ELNS1_3repE0EEENS1_30default_config_static_selectorELNS0_4arch9wavefront6targetE1EEEvSP_
; %bb.0:
	.section	.rodata,"a",@progbits
	.p2align	6, 0x0
	.amdhsa_kernel _ZN7rocprim17ROCPRIM_400000_NS6detail17trampoline_kernelINS0_14default_configENS1_21merge_config_selectorIjNS0_10empty_typeEEEZNS1_10merge_implIS3_N6thrust23THRUST_200600_302600_NS6detail15normal_iteratorINS9_10device_ptrIKjEEEESF_NSB_INSC_IjEEEEPS5_SI_SI_NS9_7greaterIjEEEE10hipError_tPvRmT0_T1_T2_T3_T4_T5_mmT6_P12ihipStream_tbEUlT_E0_NS1_11comp_targetILNS1_3genE10ELNS1_11target_archE1201ELNS1_3gpuE5ELNS1_3repE0EEENS1_30default_config_static_selectorELNS0_4arch9wavefront6targetE1EEEvSP_
		.amdhsa_group_segment_fixed_size 0
		.amdhsa_private_segment_fixed_size 0
		.amdhsa_kernarg_size 88
		.amdhsa_user_sgpr_count 6
		.amdhsa_user_sgpr_private_segment_buffer 1
		.amdhsa_user_sgpr_dispatch_ptr 0
		.amdhsa_user_sgpr_queue_ptr 0
		.amdhsa_user_sgpr_kernarg_segment_ptr 1
		.amdhsa_user_sgpr_dispatch_id 0
		.amdhsa_user_sgpr_flat_scratch_init 0
		.amdhsa_user_sgpr_kernarg_preload_length 0
		.amdhsa_user_sgpr_kernarg_preload_offset 0
		.amdhsa_user_sgpr_private_segment_size 0
		.amdhsa_uses_dynamic_stack 0
		.amdhsa_system_sgpr_private_segment_wavefront_offset 0
		.amdhsa_system_sgpr_workgroup_id_x 1
		.amdhsa_system_sgpr_workgroup_id_y 0
		.amdhsa_system_sgpr_workgroup_id_z 0
		.amdhsa_system_sgpr_workgroup_info 0
		.amdhsa_system_vgpr_workitem_id 0
		.amdhsa_next_free_vgpr 1
		.amdhsa_next_free_sgpr 0
		.amdhsa_accum_offset 4
		.amdhsa_reserve_vcc 0
		.amdhsa_reserve_flat_scratch 0
		.amdhsa_float_round_mode_32 0
		.amdhsa_float_round_mode_16_64 0
		.amdhsa_float_denorm_mode_32 3
		.amdhsa_float_denorm_mode_16_64 3
		.amdhsa_dx10_clamp 1
		.amdhsa_ieee_mode 1
		.amdhsa_fp16_overflow 0
		.amdhsa_tg_split 0
		.amdhsa_exception_fp_ieee_invalid_op 0
		.amdhsa_exception_fp_denorm_src 0
		.amdhsa_exception_fp_ieee_div_zero 0
		.amdhsa_exception_fp_ieee_overflow 0
		.amdhsa_exception_fp_ieee_underflow 0
		.amdhsa_exception_fp_ieee_inexact 0
		.amdhsa_exception_int_div_zero 0
	.end_amdhsa_kernel
	.section	.text._ZN7rocprim17ROCPRIM_400000_NS6detail17trampoline_kernelINS0_14default_configENS1_21merge_config_selectorIjNS0_10empty_typeEEEZNS1_10merge_implIS3_N6thrust23THRUST_200600_302600_NS6detail15normal_iteratorINS9_10device_ptrIKjEEEESF_NSB_INSC_IjEEEEPS5_SI_SI_NS9_7greaterIjEEEE10hipError_tPvRmT0_T1_T2_T3_T4_T5_mmT6_P12ihipStream_tbEUlT_E0_NS1_11comp_targetILNS1_3genE10ELNS1_11target_archE1201ELNS1_3gpuE5ELNS1_3repE0EEENS1_30default_config_static_selectorELNS0_4arch9wavefront6targetE1EEEvSP_,"axG",@progbits,_ZN7rocprim17ROCPRIM_400000_NS6detail17trampoline_kernelINS0_14default_configENS1_21merge_config_selectorIjNS0_10empty_typeEEEZNS1_10merge_implIS3_N6thrust23THRUST_200600_302600_NS6detail15normal_iteratorINS9_10device_ptrIKjEEEESF_NSB_INSC_IjEEEEPS5_SI_SI_NS9_7greaterIjEEEE10hipError_tPvRmT0_T1_T2_T3_T4_T5_mmT6_P12ihipStream_tbEUlT_E0_NS1_11comp_targetILNS1_3genE10ELNS1_11target_archE1201ELNS1_3gpuE5ELNS1_3repE0EEENS1_30default_config_static_selectorELNS0_4arch9wavefront6targetE1EEEvSP_,comdat
.Lfunc_end529:
	.size	_ZN7rocprim17ROCPRIM_400000_NS6detail17trampoline_kernelINS0_14default_configENS1_21merge_config_selectorIjNS0_10empty_typeEEEZNS1_10merge_implIS3_N6thrust23THRUST_200600_302600_NS6detail15normal_iteratorINS9_10device_ptrIKjEEEESF_NSB_INSC_IjEEEEPS5_SI_SI_NS9_7greaterIjEEEE10hipError_tPvRmT0_T1_T2_T3_T4_T5_mmT6_P12ihipStream_tbEUlT_E0_NS1_11comp_targetILNS1_3genE10ELNS1_11target_archE1201ELNS1_3gpuE5ELNS1_3repE0EEENS1_30default_config_static_selectorELNS0_4arch9wavefront6targetE1EEEvSP_, .Lfunc_end529-_ZN7rocprim17ROCPRIM_400000_NS6detail17trampoline_kernelINS0_14default_configENS1_21merge_config_selectorIjNS0_10empty_typeEEEZNS1_10merge_implIS3_N6thrust23THRUST_200600_302600_NS6detail15normal_iteratorINS9_10device_ptrIKjEEEESF_NSB_INSC_IjEEEEPS5_SI_SI_NS9_7greaterIjEEEE10hipError_tPvRmT0_T1_T2_T3_T4_T5_mmT6_P12ihipStream_tbEUlT_E0_NS1_11comp_targetILNS1_3genE10ELNS1_11target_archE1201ELNS1_3gpuE5ELNS1_3repE0EEENS1_30default_config_static_selectorELNS0_4arch9wavefront6targetE1EEEvSP_
                                        ; -- End function
	.section	.AMDGPU.csdata,"",@progbits
; Kernel info:
; codeLenInByte = 0
; NumSgprs: 4
; NumVgprs: 0
; NumAgprs: 0
; TotalNumVgprs: 0
; ScratchSize: 0
; MemoryBound: 0
; FloatMode: 240
; IeeeMode: 1
; LDSByteSize: 0 bytes/workgroup (compile time only)
; SGPRBlocks: 0
; VGPRBlocks: 0
; NumSGPRsForWavesPerEU: 4
; NumVGPRsForWavesPerEU: 1
; AccumOffset: 4
; Occupancy: 8
; WaveLimiterHint : 0
; COMPUTE_PGM_RSRC2:SCRATCH_EN: 0
; COMPUTE_PGM_RSRC2:USER_SGPR: 6
; COMPUTE_PGM_RSRC2:TRAP_HANDLER: 0
; COMPUTE_PGM_RSRC2:TGID_X_EN: 1
; COMPUTE_PGM_RSRC2:TGID_Y_EN: 0
; COMPUTE_PGM_RSRC2:TGID_Z_EN: 0
; COMPUTE_PGM_RSRC2:TIDIG_COMP_CNT: 0
; COMPUTE_PGM_RSRC3_GFX90A:ACCUM_OFFSET: 0
; COMPUTE_PGM_RSRC3_GFX90A:TG_SPLIT: 0
	.section	.text._ZN7rocprim17ROCPRIM_400000_NS6detail17trampoline_kernelINS0_14default_configENS1_21merge_config_selectorIjNS0_10empty_typeEEEZNS1_10merge_implIS3_N6thrust23THRUST_200600_302600_NS6detail15normal_iteratorINS9_10device_ptrIKjEEEESF_NSB_INSC_IjEEEEPS5_SI_SI_NS9_7greaterIjEEEE10hipError_tPvRmT0_T1_T2_T3_T4_T5_mmT6_P12ihipStream_tbEUlT_E0_NS1_11comp_targetILNS1_3genE10ELNS1_11target_archE1200ELNS1_3gpuE4ELNS1_3repE0EEENS1_30default_config_static_selectorELNS0_4arch9wavefront6targetE1EEEvSP_,"axG",@progbits,_ZN7rocprim17ROCPRIM_400000_NS6detail17trampoline_kernelINS0_14default_configENS1_21merge_config_selectorIjNS0_10empty_typeEEEZNS1_10merge_implIS3_N6thrust23THRUST_200600_302600_NS6detail15normal_iteratorINS9_10device_ptrIKjEEEESF_NSB_INSC_IjEEEEPS5_SI_SI_NS9_7greaterIjEEEE10hipError_tPvRmT0_T1_T2_T3_T4_T5_mmT6_P12ihipStream_tbEUlT_E0_NS1_11comp_targetILNS1_3genE10ELNS1_11target_archE1200ELNS1_3gpuE4ELNS1_3repE0EEENS1_30default_config_static_selectorELNS0_4arch9wavefront6targetE1EEEvSP_,comdat
	.protected	_ZN7rocprim17ROCPRIM_400000_NS6detail17trampoline_kernelINS0_14default_configENS1_21merge_config_selectorIjNS0_10empty_typeEEEZNS1_10merge_implIS3_N6thrust23THRUST_200600_302600_NS6detail15normal_iteratorINS9_10device_ptrIKjEEEESF_NSB_INSC_IjEEEEPS5_SI_SI_NS9_7greaterIjEEEE10hipError_tPvRmT0_T1_T2_T3_T4_T5_mmT6_P12ihipStream_tbEUlT_E0_NS1_11comp_targetILNS1_3genE10ELNS1_11target_archE1200ELNS1_3gpuE4ELNS1_3repE0EEENS1_30default_config_static_selectorELNS0_4arch9wavefront6targetE1EEEvSP_ ; -- Begin function _ZN7rocprim17ROCPRIM_400000_NS6detail17trampoline_kernelINS0_14default_configENS1_21merge_config_selectorIjNS0_10empty_typeEEEZNS1_10merge_implIS3_N6thrust23THRUST_200600_302600_NS6detail15normal_iteratorINS9_10device_ptrIKjEEEESF_NSB_INSC_IjEEEEPS5_SI_SI_NS9_7greaterIjEEEE10hipError_tPvRmT0_T1_T2_T3_T4_T5_mmT6_P12ihipStream_tbEUlT_E0_NS1_11comp_targetILNS1_3genE10ELNS1_11target_archE1200ELNS1_3gpuE4ELNS1_3repE0EEENS1_30default_config_static_selectorELNS0_4arch9wavefront6targetE1EEEvSP_
	.globl	_ZN7rocprim17ROCPRIM_400000_NS6detail17trampoline_kernelINS0_14default_configENS1_21merge_config_selectorIjNS0_10empty_typeEEEZNS1_10merge_implIS3_N6thrust23THRUST_200600_302600_NS6detail15normal_iteratorINS9_10device_ptrIKjEEEESF_NSB_INSC_IjEEEEPS5_SI_SI_NS9_7greaterIjEEEE10hipError_tPvRmT0_T1_T2_T3_T4_T5_mmT6_P12ihipStream_tbEUlT_E0_NS1_11comp_targetILNS1_3genE10ELNS1_11target_archE1200ELNS1_3gpuE4ELNS1_3repE0EEENS1_30default_config_static_selectorELNS0_4arch9wavefront6targetE1EEEvSP_
	.p2align	8
	.type	_ZN7rocprim17ROCPRIM_400000_NS6detail17trampoline_kernelINS0_14default_configENS1_21merge_config_selectorIjNS0_10empty_typeEEEZNS1_10merge_implIS3_N6thrust23THRUST_200600_302600_NS6detail15normal_iteratorINS9_10device_ptrIKjEEEESF_NSB_INSC_IjEEEEPS5_SI_SI_NS9_7greaterIjEEEE10hipError_tPvRmT0_T1_T2_T3_T4_T5_mmT6_P12ihipStream_tbEUlT_E0_NS1_11comp_targetILNS1_3genE10ELNS1_11target_archE1200ELNS1_3gpuE4ELNS1_3repE0EEENS1_30default_config_static_selectorELNS0_4arch9wavefront6targetE1EEEvSP_,@function
_ZN7rocprim17ROCPRIM_400000_NS6detail17trampoline_kernelINS0_14default_configENS1_21merge_config_selectorIjNS0_10empty_typeEEEZNS1_10merge_implIS3_N6thrust23THRUST_200600_302600_NS6detail15normal_iteratorINS9_10device_ptrIKjEEEESF_NSB_INSC_IjEEEEPS5_SI_SI_NS9_7greaterIjEEEE10hipError_tPvRmT0_T1_T2_T3_T4_T5_mmT6_P12ihipStream_tbEUlT_E0_NS1_11comp_targetILNS1_3genE10ELNS1_11target_archE1200ELNS1_3gpuE4ELNS1_3repE0EEENS1_30default_config_static_selectorELNS0_4arch9wavefront6targetE1EEEvSP_: ; @_ZN7rocprim17ROCPRIM_400000_NS6detail17trampoline_kernelINS0_14default_configENS1_21merge_config_selectorIjNS0_10empty_typeEEEZNS1_10merge_implIS3_N6thrust23THRUST_200600_302600_NS6detail15normal_iteratorINS9_10device_ptrIKjEEEESF_NSB_INSC_IjEEEEPS5_SI_SI_NS9_7greaterIjEEEE10hipError_tPvRmT0_T1_T2_T3_T4_T5_mmT6_P12ihipStream_tbEUlT_E0_NS1_11comp_targetILNS1_3genE10ELNS1_11target_archE1200ELNS1_3gpuE4ELNS1_3repE0EEENS1_30default_config_static_selectorELNS0_4arch9wavefront6targetE1EEEvSP_
; %bb.0:
	.section	.rodata,"a",@progbits
	.p2align	6, 0x0
	.amdhsa_kernel _ZN7rocprim17ROCPRIM_400000_NS6detail17trampoline_kernelINS0_14default_configENS1_21merge_config_selectorIjNS0_10empty_typeEEEZNS1_10merge_implIS3_N6thrust23THRUST_200600_302600_NS6detail15normal_iteratorINS9_10device_ptrIKjEEEESF_NSB_INSC_IjEEEEPS5_SI_SI_NS9_7greaterIjEEEE10hipError_tPvRmT0_T1_T2_T3_T4_T5_mmT6_P12ihipStream_tbEUlT_E0_NS1_11comp_targetILNS1_3genE10ELNS1_11target_archE1200ELNS1_3gpuE4ELNS1_3repE0EEENS1_30default_config_static_selectorELNS0_4arch9wavefront6targetE1EEEvSP_
		.amdhsa_group_segment_fixed_size 0
		.amdhsa_private_segment_fixed_size 0
		.amdhsa_kernarg_size 88
		.amdhsa_user_sgpr_count 6
		.amdhsa_user_sgpr_private_segment_buffer 1
		.amdhsa_user_sgpr_dispatch_ptr 0
		.amdhsa_user_sgpr_queue_ptr 0
		.amdhsa_user_sgpr_kernarg_segment_ptr 1
		.amdhsa_user_sgpr_dispatch_id 0
		.amdhsa_user_sgpr_flat_scratch_init 0
		.amdhsa_user_sgpr_kernarg_preload_length 0
		.amdhsa_user_sgpr_kernarg_preload_offset 0
		.amdhsa_user_sgpr_private_segment_size 0
		.amdhsa_uses_dynamic_stack 0
		.amdhsa_system_sgpr_private_segment_wavefront_offset 0
		.amdhsa_system_sgpr_workgroup_id_x 1
		.amdhsa_system_sgpr_workgroup_id_y 0
		.amdhsa_system_sgpr_workgroup_id_z 0
		.amdhsa_system_sgpr_workgroup_info 0
		.amdhsa_system_vgpr_workitem_id 0
		.amdhsa_next_free_vgpr 1
		.amdhsa_next_free_sgpr 0
		.amdhsa_accum_offset 4
		.amdhsa_reserve_vcc 0
		.amdhsa_reserve_flat_scratch 0
		.amdhsa_float_round_mode_32 0
		.amdhsa_float_round_mode_16_64 0
		.amdhsa_float_denorm_mode_32 3
		.amdhsa_float_denorm_mode_16_64 3
		.amdhsa_dx10_clamp 1
		.amdhsa_ieee_mode 1
		.amdhsa_fp16_overflow 0
		.amdhsa_tg_split 0
		.amdhsa_exception_fp_ieee_invalid_op 0
		.amdhsa_exception_fp_denorm_src 0
		.amdhsa_exception_fp_ieee_div_zero 0
		.amdhsa_exception_fp_ieee_overflow 0
		.amdhsa_exception_fp_ieee_underflow 0
		.amdhsa_exception_fp_ieee_inexact 0
		.amdhsa_exception_int_div_zero 0
	.end_amdhsa_kernel
	.section	.text._ZN7rocprim17ROCPRIM_400000_NS6detail17trampoline_kernelINS0_14default_configENS1_21merge_config_selectorIjNS0_10empty_typeEEEZNS1_10merge_implIS3_N6thrust23THRUST_200600_302600_NS6detail15normal_iteratorINS9_10device_ptrIKjEEEESF_NSB_INSC_IjEEEEPS5_SI_SI_NS9_7greaterIjEEEE10hipError_tPvRmT0_T1_T2_T3_T4_T5_mmT6_P12ihipStream_tbEUlT_E0_NS1_11comp_targetILNS1_3genE10ELNS1_11target_archE1200ELNS1_3gpuE4ELNS1_3repE0EEENS1_30default_config_static_selectorELNS0_4arch9wavefront6targetE1EEEvSP_,"axG",@progbits,_ZN7rocprim17ROCPRIM_400000_NS6detail17trampoline_kernelINS0_14default_configENS1_21merge_config_selectorIjNS0_10empty_typeEEEZNS1_10merge_implIS3_N6thrust23THRUST_200600_302600_NS6detail15normal_iteratorINS9_10device_ptrIKjEEEESF_NSB_INSC_IjEEEEPS5_SI_SI_NS9_7greaterIjEEEE10hipError_tPvRmT0_T1_T2_T3_T4_T5_mmT6_P12ihipStream_tbEUlT_E0_NS1_11comp_targetILNS1_3genE10ELNS1_11target_archE1200ELNS1_3gpuE4ELNS1_3repE0EEENS1_30default_config_static_selectorELNS0_4arch9wavefront6targetE1EEEvSP_,comdat
.Lfunc_end530:
	.size	_ZN7rocprim17ROCPRIM_400000_NS6detail17trampoline_kernelINS0_14default_configENS1_21merge_config_selectorIjNS0_10empty_typeEEEZNS1_10merge_implIS3_N6thrust23THRUST_200600_302600_NS6detail15normal_iteratorINS9_10device_ptrIKjEEEESF_NSB_INSC_IjEEEEPS5_SI_SI_NS9_7greaterIjEEEE10hipError_tPvRmT0_T1_T2_T3_T4_T5_mmT6_P12ihipStream_tbEUlT_E0_NS1_11comp_targetILNS1_3genE10ELNS1_11target_archE1200ELNS1_3gpuE4ELNS1_3repE0EEENS1_30default_config_static_selectorELNS0_4arch9wavefront6targetE1EEEvSP_, .Lfunc_end530-_ZN7rocprim17ROCPRIM_400000_NS6detail17trampoline_kernelINS0_14default_configENS1_21merge_config_selectorIjNS0_10empty_typeEEEZNS1_10merge_implIS3_N6thrust23THRUST_200600_302600_NS6detail15normal_iteratorINS9_10device_ptrIKjEEEESF_NSB_INSC_IjEEEEPS5_SI_SI_NS9_7greaterIjEEEE10hipError_tPvRmT0_T1_T2_T3_T4_T5_mmT6_P12ihipStream_tbEUlT_E0_NS1_11comp_targetILNS1_3genE10ELNS1_11target_archE1200ELNS1_3gpuE4ELNS1_3repE0EEENS1_30default_config_static_selectorELNS0_4arch9wavefront6targetE1EEEvSP_
                                        ; -- End function
	.section	.AMDGPU.csdata,"",@progbits
; Kernel info:
; codeLenInByte = 0
; NumSgprs: 4
; NumVgprs: 0
; NumAgprs: 0
; TotalNumVgprs: 0
; ScratchSize: 0
; MemoryBound: 0
; FloatMode: 240
; IeeeMode: 1
; LDSByteSize: 0 bytes/workgroup (compile time only)
; SGPRBlocks: 0
; VGPRBlocks: 0
; NumSGPRsForWavesPerEU: 4
; NumVGPRsForWavesPerEU: 1
; AccumOffset: 4
; Occupancy: 8
; WaveLimiterHint : 0
; COMPUTE_PGM_RSRC2:SCRATCH_EN: 0
; COMPUTE_PGM_RSRC2:USER_SGPR: 6
; COMPUTE_PGM_RSRC2:TRAP_HANDLER: 0
; COMPUTE_PGM_RSRC2:TGID_X_EN: 1
; COMPUTE_PGM_RSRC2:TGID_Y_EN: 0
; COMPUTE_PGM_RSRC2:TGID_Z_EN: 0
; COMPUTE_PGM_RSRC2:TIDIG_COMP_CNT: 0
; COMPUTE_PGM_RSRC3_GFX90A:ACCUM_OFFSET: 0
; COMPUTE_PGM_RSRC3_GFX90A:TG_SPLIT: 0
	.section	.text._ZN7rocprim17ROCPRIM_400000_NS6detail17trampoline_kernelINS0_14default_configENS1_21merge_config_selectorIjNS0_10empty_typeEEEZNS1_10merge_implIS3_N6thrust23THRUST_200600_302600_NS6detail15normal_iteratorINS9_10device_ptrIKjEEEESF_NSB_INSC_IjEEEEPS5_SI_SI_NS9_7greaterIjEEEE10hipError_tPvRmT0_T1_T2_T3_T4_T5_mmT6_P12ihipStream_tbEUlT_E0_NS1_11comp_targetILNS1_3genE9ELNS1_11target_archE1100ELNS1_3gpuE3ELNS1_3repE0EEENS1_30default_config_static_selectorELNS0_4arch9wavefront6targetE1EEEvSP_,"axG",@progbits,_ZN7rocprim17ROCPRIM_400000_NS6detail17trampoline_kernelINS0_14default_configENS1_21merge_config_selectorIjNS0_10empty_typeEEEZNS1_10merge_implIS3_N6thrust23THRUST_200600_302600_NS6detail15normal_iteratorINS9_10device_ptrIKjEEEESF_NSB_INSC_IjEEEEPS5_SI_SI_NS9_7greaterIjEEEE10hipError_tPvRmT0_T1_T2_T3_T4_T5_mmT6_P12ihipStream_tbEUlT_E0_NS1_11comp_targetILNS1_3genE9ELNS1_11target_archE1100ELNS1_3gpuE3ELNS1_3repE0EEENS1_30default_config_static_selectorELNS0_4arch9wavefront6targetE1EEEvSP_,comdat
	.protected	_ZN7rocprim17ROCPRIM_400000_NS6detail17trampoline_kernelINS0_14default_configENS1_21merge_config_selectorIjNS0_10empty_typeEEEZNS1_10merge_implIS3_N6thrust23THRUST_200600_302600_NS6detail15normal_iteratorINS9_10device_ptrIKjEEEESF_NSB_INSC_IjEEEEPS5_SI_SI_NS9_7greaterIjEEEE10hipError_tPvRmT0_T1_T2_T3_T4_T5_mmT6_P12ihipStream_tbEUlT_E0_NS1_11comp_targetILNS1_3genE9ELNS1_11target_archE1100ELNS1_3gpuE3ELNS1_3repE0EEENS1_30default_config_static_selectorELNS0_4arch9wavefront6targetE1EEEvSP_ ; -- Begin function _ZN7rocprim17ROCPRIM_400000_NS6detail17trampoline_kernelINS0_14default_configENS1_21merge_config_selectorIjNS0_10empty_typeEEEZNS1_10merge_implIS3_N6thrust23THRUST_200600_302600_NS6detail15normal_iteratorINS9_10device_ptrIKjEEEESF_NSB_INSC_IjEEEEPS5_SI_SI_NS9_7greaterIjEEEE10hipError_tPvRmT0_T1_T2_T3_T4_T5_mmT6_P12ihipStream_tbEUlT_E0_NS1_11comp_targetILNS1_3genE9ELNS1_11target_archE1100ELNS1_3gpuE3ELNS1_3repE0EEENS1_30default_config_static_selectorELNS0_4arch9wavefront6targetE1EEEvSP_
	.globl	_ZN7rocprim17ROCPRIM_400000_NS6detail17trampoline_kernelINS0_14default_configENS1_21merge_config_selectorIjNS0_10empty_typeEEEZNS1_10merge_implIS3_N6thrust23THRUST_200600_302600_NS6detail15normal_iteratorINS9_10device_ptrIKjEEEESF_NSB_INSC_IjEEEEPS5_SI_SI_NS9_7greaterIjEEEE10hipError_tPvRmT0_T1_T2_T3_T4_T5_mmT6_P12ihipStream_tbEUlT_E0_NS1_11comp_targetILNS1_3genE9ELNS1_11target_archE1100ELNS1_3gpuE3ELNS1_3repE0EEENS1_30default_config_static_selectorELNS0_4arch9wavefront6targetE1EEEvSP_
	.p2align	8
	.type	_ZN7rocprim17ROCPRIM_400000_NS6detail17trampoline_kernelINS0_14default_configENS1_21merge_config_selectorIjNS0_10empty_typeEEEZNS1_10merge_implIS3_N6thrust23THRUST_200600_302600_NS6detail15normal_iteratorINS9_10device_ptrIKjEEEESF_NSB_INSC_IjEEEEPS5_SI_SI_NS9_7greaterIjEEEE10hipError_tPvRmT0_T1_T2_T3_T4_T5_mmT6_P12ihipStream_tbEUlT_E0_NS1_11comp_targetILNS1_3genE9ELNS1_11target_archE1100ELNS1_3gpuE3ELNS1_3repE0EEENS1_30default_config_static_selectorELNS0_4arch9wavefront6targetE1EEEvSP_,@function
_ZN7rocprim17ROCPRIM_400000_NS6detail17trampoline_kernelINS0_14default_configENS1_21merge_config_selectorIjNS0_10empty_typeEEEZNS1_10merge_implIS3_N6thrust23THRUST_200600_302600_NS6detail15normal_iteratorINS9_10device_ptrIKjEEEESF_NSB_INSC_IjEEEEPS5_SI_SI_NS9_7greaterIjEEEE10hipError_tPvRmT0_T1_T2_T3_T4_T5_mmT6_P12ihipStream_tbEUlT_E0_NS1_11comp_targetILNS1_3genE9ELNS1_11target_archE1100ELNS1_3gpuE3ELNS1_3repE0EEENS1_30default_config_static_selectorELNS0_4arch9wavefront6targetE1EEEvSP_: ; @_ZN7rocprim17ROCPRIM_400000_NS6detail17trampoline_kernelINS0_14default_configENS1_21merge_config_selectorIjNS0_10empty_typeEEEZNS1_10merge_implIS3_N6thrust23THRUST_200600_302600_NS6detail15normal_iteratorINS9_10device_ptrIKjEEEESF_NSB_INSC_IjEEEEPS5_SI_SI_NS9_7greaterIjEEEE10hipError_tPvRmT0_T1_T2_T3_T4_T5_mmT6_P12ihipStream_tbEUlT_E0_NS1_11comp_targetILNS1_3genE9ELNS1_11target_archE1100ELNS1_3gpuE3ELNS1_3repE0EEENS1_30default_config_static_selectorELNS0_4arch9wavefront6targetE1EEEvSP_
; %bb.0:
	.section	.rodata,"a",@progbits
	.p2align	6, 0x0
	.amdhsa_kernel _ZN7rocprim17ROCPRIM_400000_NS6detail17trampoline_kernelINS0_14default_configENS1_21merge_config_selectorIjNS0_10empty_typeEEEZNS1_10merge_implIS3_N6thrust23THRUST_200600_302600_NS6detail15normal_iteratorINS9_10device_ptrIKjEEEESF_NSB_INSC_IjEEEEPS5_SI_SI_NS9_7greaterIjEEEE10hipError_tPvRmT0_T1_T2_T3_T4_T5_mmT6_P12ihipStream_tbEUlT_E0_NS1_11comp_targetILNS1_3genE9ELNS1_11target_archE1100ELNS1_3gpuE3ELNS1_3repE0EEENS1_30default_config_static_selectorELNS0_4arch9wavefront6targetE1EEEvSP_
		.amdhsa_group_segment_fixed_size 0
		.amdhsa_private_segment_fixed_size 0
		.amdhsa_kernarg_size 88
		.amdhsa_user_sgpr_count 6
		.amdhsa_user_sgpr_private_segment_buffer 1
		.amdhsa_user_sgpr_dispatch_ptr 0
		.amdhsa_user_sgpr_queue_ptr 0
		.amdhsa_user_sgpr_kernarg_segment_ptr 1
		.amdhsa_user_sgpr_dispatch_id 0
		.amdhsa_user_sgpr_flat_scratch_init 0
		.amdhsa_user_sgpr_kernarg_preload_length 0
		.amdhsa_user_sgpr_kernarg_preload_offset 0
		.amdhsa_user_sgpr_private_segment_size 0
		.amdhsa_uses_dynamic_stack 0
		.amdhsa_system_sgpr_private_segment_wavefront_offset 0
		.amdhsa_system_sgpr_workgroup_id_x 1
		.amdhsa_system_sgpr_workgroup_id_y 0
		.amdhsa_system_sgpr_workgroup_id_z 0
		.amdhsa_system_sgpr_workgroup_info 0
		.amdhsa_system_vgpr_workitem_id 0
		.amdhsa_next_free_vgpr 1
		.amdhsa_next_free_sgpr 0
		.amdhsa_accum_offset 4
		.amdhsa_reserve_vcc 0
		.amdhsa_reserve_flat_scratch 0
		.amdhsa_float_round_mode_32 0
		.amdhsa_float_round_mode_16_64 0
		.amdhsa_float_denorm_mode_32 3
		.amdhsa_float_denorm_mode_16_64 3
		.amdhsa_dx10_clamp 1
		.amdhsa_ieee_mode 1
		.amdhsa_fp16_overflow 0
		.amdhsa_tg_split 0
		.amdhsa_exception_fp_ieee_invalid_op 0
		.amdhsa_exception_fp_denorm_src 0
		.amdhsa_exception_fp_ieee_div_zero 0
		.amdhsa_exception_fp_ieee_overflow 0
		.amdhsa_exception_fp_ieee_underflow 0
		.amdhsa_exception_fp_ieee_inexact 0
		.amdhsa_exception_int_div_zero 0
	.end_amdhsa_kernel
	.section	.text._ZN7rocprim17ROCPRIM_400000_NS6detail17trampoline_kernelINS0_14default_configENS1_21merge_config_selectorIjNS0_10empty_typeEEEZNS1_10merge_implIS3_N6thrust23THRUST_200600_302600_NS6detail15normal_iteratorINS9_10device_ptrIKjEEEESF_NSB_INSC_IjEEEEPS5_SI_SI_NS9_7greaterIjEEEE10hipError_tPvRmT0_T1_T2_T3_T4_T5_mmT6_P12ihipStream_tbEUlT_E0_NS1_11comp_targetILNS1_3genE9ELNS1_11target_archE1100ELNS1_3gpuE3ELNS1_3repE0EEENS1_30default_config_static_selectorELNS0_4arch9wavefront6targetE1EEEvSP_,"axG",@progbits,_ZN7rocprim17ROCPRIM_400000_NS6detail17trampoline_kernelINS0_14default_configENS1_21merge_config_selectorIjNS0_10empty_typeEEEZNS1_10merge_implIS3_N6thrust23THRUST_200600_302600_NS6detail15normal_iteratorINS9_10device_ptrIKjEEEESF_NSB_INSC_IjEEEEPS5_SI_SI_NS9_7greaterIjEEEE10hipError_tPvRmT0_T1_T2_T3_T4_T5_mmT6_P12ihipStream_tbEUlT_E0_NS1_11comp_targetILNS1_3genE9ELNS1_11target_archE1100ELNS1_3gpuE3ELNS1_3repE0EEENS1_30default_config_static_selectorELNS0_4arch9wavefront6targetE1EEEvSP_,comdat
.Lfunc_end531:
	.size	_ZN7rocprim17ROCPRIM_400000_NS6detail17trampoline_kernelINS0_14default_configENS1_21merge_config_selectorIjNS0_10empty_typeEEEZNS1_10merge_implIS3_N6thrust23THRUST_200600_302600_NS6detail15normal_iteratorINS9_10device_ptrIKjEEEESF_NSB_INSC_IjEEEEPS5_SI_SI_NS9_7greaterIjEEEE10hipError_tPvRmT0_T1_T2_T3_T4_T5_mmT6_P12ihipStream_tbEUlT_E0_NS1_11comp_targetILNS1_3genE9ELNS1_11target_archE1100ELNS1_3gpuE3ELNS1_3repE0EEENS1_30default_config_static_selectorELNS0_4arch9wavefront6targetE1EEEvSP_, .Lfunc_end531-_ZN7rocprim17ROCPRIM_400000_NS6detail17trampoline_kernelINS0_14default_configENS1_21merge_config_selectorIjNS0_10empty_typeEEEZNS1_10merge_implIS3_N6thrust23THRUST_200600_302600_NS6detail15normal_iteratorINS9_10device_ptrIKjEEEESF_NSB_INSC_IjEEEEPS5_SI_SI_NS9_7greaterIjEEEE10hipError_tPvRmT0_T1_T2_T3_T4_T5_mmT6_P12ihipStream_tbEUlT_E0_NS1_11comp_targetILNS1_3genE9ELNS1_11target_archE1100ELNS1_3gpuE3ELNS1_3repE0EEENS1_30default_config_static_selectorELNS0_4arch9wavefront6targetE1EEEvSP_
                                        ; -- End function
	.section	.AMDGPU.csdata,"",@progbits
; Kernel info:
; codeLenInByte = 0
; NumSgprs: 4
; NumVgprs: 0
; NumAgprs: 0
; TotalNumVgprs: 0
; ScratchSize: 0
; MemoryBound: 0
; FloatMode: 240
; IeeeMode: 1
; LDSByteSize: 0 bytes/workgroup (compile time only)
; SGPRBlocks: 0
; VGPRBlocks: 0
; NumSGPRsForWavesPerEU: 4
; NumVGPRsForWavesPerEU: 1
; AccumOffset: 4
; Occupancy: 8
; WaveLimiterHint : 0
; COMPUTE_PGM_RSRC2:SCRATCH_EN: 0
; COMPUTE_PGM_RSRC2:USER_SGPR: 6
; COMPUTE_PGM_RSRC2:TRAP_HANDLER: 0
; COMPUTE_PGM_RSRC2:TGID_X_EN: 1
; COMPUTE_PGM_RSRC2:TGID_Y_EN: 0
; COMPUTE_PGM_RSRC2:TGID_Z_EN: 0
; COMPUTE_PGM_RSRC2:TIDIG_COMP_CNT: 0
; COMPUTE_PGM_RSRC3_GFX90A:ACCUM_OFFSET: 0
; COMPUTE_PGM_RSRC3_GFX90A:TG_SPLIT: 0
	.section	.text._ZN7rocprim17ROCPRIM_400000_NS6detail17trampoline_kernelINS0_14default_configENS1_21merge_config_selectorIjNS0_10empty_typeEEEZNS1_10merge_implIS3_N6thrust23THRUST_200600_302600_NS6detail15normal_iteratorINS9_10device_ptrIKjEEEESF_NSB_INSC_IjEEEEPS5_SI_SI_NS9_7greaterIjEEEE10hipError_tPvRmT0_T1_T2_T3_T4_T5_mmT6_P12ihipStream_tbEUlT_E0_NS1_11comp_targetILNS1_3genE8ELNS1_11target_archE1030ELNS1_3gpuE2ELNS1_3repE0EEENS1_30default_config_static_selectorELNS0_4arch9wavefront6targetE1EEEvSP_,"axG",@progbits,_ZN7rocprim17ROCPRIM_400000_NS6detail17trampoline_kernelINS0_14default_configENS1_21merge_config_selectorIjNS0_10empty_typeEEEZNS1_10merge_implIS3_N6thrust23THRUST_200600_302600_NS6detail15normal_iteratorINS9_10device_ptrIKjEEEESF_NSB_INSC_IjEEEEPS5_SI_SI_NS9_7greaterIjEEEE10hipError_tPvRmT0_T1_T2_T3_T4_T5_mmT6_P12ihipStream_tbEUlT_E0_NS1_11comp_targetILNS1_3genE8ELNS1_11target_archE1030ELNS1_3gpuE2ELNS1_3repE0EEENS1_30default_config_static_selectorELNS0_4arch9wavefront6targetE1EEEvSP_,comdat
	.protected	_ZN7rocprim17ROCPRIM_400000_NS6detail17trampoline_kernelINS0_14default_configENS1_21merge_config_selectorIjNS0_10empty_typeEEEZNS1_10merge_implIS3_N6thrust23THRUST_200600_302600_NS6detail15normal_iteratorINS9_10device_ptrIKjEEEESF_NSB_INSC_IjEEEEPS5_SI_SI_NS9_7greaterIjEEEE10hipError_tPvRmT0_T1_T2_T3_T4_T5_mmT6_P12ihipStream_tbEUlT_E0_NS1_11comp_targetILNS1_3genE8ELNS1_11target_archE1030ELNS1_3gpuE2ELNS1_3repE0EEENS1_30default_config_static_selectorELNS0_4arch9wavefront6targetE1EEEvSP_ ; -- Begin function _ZN7rocprim17ROCPRIM_400000_NS6detail17trampoline_kernelINS0_14default_configENS1_21merge_config_selectorIjNS0_10empty_typeEEEZNS1_10merge_implIS3_N6thrust23THRUST_200600_302600_NS6detail15normal_iteratorINS9_10device_ptrIKjEEEESF_NSB_INSC_IjEEEEPS5_SI_SI_NS9_7greaterIjEEEE10hipError_tPvRmT0_T1_T2_T3_T4_T5_mmT6_P12ihipStream_tbEUlT_E0_NS1_11comp_targetILNS1_3genE8ELNS1_11target_archE1030ELNS1_3gpuE2ELNS1_3repE0EEENS1_30default_config_static_selectorELNS0_4arch9wavefront6targetE1EEEvSP_
	.globl	_ZN7rocprim17ROCPRIM_400000_NS6detail17trampoline_kernelINS0_14default_configENS1_21merge_config_selectorIjNS0_10empty_typeEEEZNS1_10merge_implIS3_N6thrust23THRUST_200600_302600_NS6detail15normal_iteratorINS9_10device_ptrIKjEEEESF_NSB_INSC_IjEEEEPS5_SI_SI_NS9_7greaterIjEEEE10hipError_tPvRmT0_T1_T2_T3_T4_T5_mmT6_P12ihipStream_tbEUlT_E0_NS1_11comp_targetILNS1_3genE8ELNS1_11target_archE1030ELNS1_3gpuE2ELNS1_3repE0EEENS1_30default_config_static_selectorELNS0_4arch9wavefront6targetE1EEEvSP_
	.p2align	8
	.type	_ZN7rocprim17ROCPRIM_400000_NS6detail17trampoline_kernelINS0_14default_configENS1_21merge_config_selectorIjNS0_10empty_typeEEEZNS1_10merge_implIS3_N6thrust23THRUST_200600_302600_NS6detail15normal_iteratorINS9_10device_ptrIKjEEEESF_NSB_INSC_IjEEEEPS5_SI_SI_NS9_7greaterIjEEEE10hipError_tPvRmT0_T1_T2_T3_T4_T5_mmT6_P12ihipStream_tbEUlT_E0_NS1_11comp_targetILNS1_3genE8ELNS1_11target_archE1030ELNS1_3gpuE2ELNS1_3repE0EEENS1_30default_config_static_selectorELNS0_4arch9wavefront6targetE1EEEvSP_,@function
_ZN7rocprim17ROCPRIM_400000_NS6detail17trampoline_kernelINS0_14default_configENS1_21merge_config_selectorIjNS0_10empty_typeEEEZNS1_10merge_implIS3_N6thrust23THRUST_200600_302600_NS6detail15normal_iteratorINS9_10device_ptrIKjEEEESF_NSB_INSC_IjEEEEPS5_SI_SI_NS9_7greaterIjEEEE10hipError_tPvRmT0_T1_T2_T3_T4_T5_mmT6_P12ihipStream_tbEUlT_E0_NS1_11comp_targetILNS1_3genE8ELNS1_11target_archE1030ELNS1_3gpuE2ELNS1_3repE0EEENS1_30default_config_static_selectorELNS0_4arch9wavefront6targetE1EEEvSP_: ; @_ZN7rocprim17ROCPRIM_400000_NS6detail17trampoline_kernelINS0_14default_configENS1_21merge_config_selectorIjNS0_10empty_typeEEEZNS1_10merge_implIS3_N6thrust23THRUST_200600_302600_NS6detail15normal_iteratorINS9_10device_ptrIKjEEEESF_NSB_INSC_IjEEEEPS5_SI_SI_NS9_7greaterIjEEEE10hipError_tPvRmT0_T1_T2_T3_T4_T5_mmT6_P12ihipStream_tbEUlT_E0_NS1_11comp_targetILNS1_3genE8ELNS1_11target_archE1030ELNS1_3gpuE2ELNS1_3repE0EEENS1_30default_config_static_selectorELNS0_4arch9wavefront6targetE1EEEvSP_
; %bb.0:
	.section	.rodata,"a",@progbits
	.p2align	6, 0x0
	.amdhsa_kernel _ZN7rocprim17ROCPRIM_400000_NS6detail17trampoline_kernelINS0_14default_configENS1_21merge_config_selectorIjNS0_10empty_typeEEEZNS1_10merge_implIS3_N6thrust23THRUST_200600_302600_NS6detail15normal_iteratorINS9_10device_ptrIKjEEEESF_NSB_INSC_IjEEEEPS5_SI_SI_NS9_7greaterIjEEEE10hipError_tPvRmT0_T1_T2_T3_T4_T5_mmT6_P12ihipStream_tbEUlT_E0_NS1_11comp_targetILNS1_3genE8ELNS1_11target_archE1030ELNS1_3gpuE2ELNS1_3repE0EEENS1_30default_config_static_selectorELNS0_4arch9wavefront6targetE1EEEvSP_
		.amdhsa_group_segment_fixed_size 0
		.amdhsa_private_segment_fixed_size 0
		.amdhsa_kernarg_size 88
		.amdhsa_user_sgpr_count 6
		.amdhsa_user_sgpr_private_segment_buffer 1
		.amdhsa_user_sgpr_dispatch_ptr 0
		.amdhsa_user_sgpr_queue_ptr 0
		.amdhsa_user_sgpr_kernarg_segment_ptr 1
		.amdhsa_user_sgpr_dispatch_id 0
		.amdhsa_user_sgpr_flat_scratch_init 0
		.amdhsa_user_sgpr_kernarg_preload_length 0
		.amdhsa_user_sgpr_kernarg_preload_offset 0
		.amdhsa_user_sgpr_private_segment_size 0
		.amdhsa_uses_dynamic_stack 0
		.amdhsa_system_sgpr_private_segment_wavefront_offset 0
		.amdhsa_system_sgpr_workgroup_id_x 1
		.amdhsa_system_sgpr_workgroup_id_y 0
		.amdhsa_system_sgpr_workgroup_id_z 0
		.amdhsa_system_sgpr_workgroup_info 0
		.amdhsa_system_vgpr_workitem_id 0
		.amdhsa_next_free_vgpr 1
		.amdhsa_next_free_sgpr 0
		.amdhsa_accum_offset 4
		.amdhsa_reserve_vcc 0
		.amdhsa_reserve_flat_scratch 0
		.amdhsa_float_round_mode_32 0
		.amdhsa_float_round_mode_16_64 0
		.amdhsa_float_denorm_mode_32 3
		.amdhsa_float_denorm_mode_16_64 3
		.amdhsa_dx10_clamp 1
		.amdhsa_ieee_mode 1
		.amdhsa_fp16_overflow 0
		.amdhsa_tg_split 0
		.amdhsa_exception_fp_ieee_invalid_op 0
		.amdhsa_exception_fp_denorm_src 0
		.amdhsa_exception_fp_ieee_div_zero 0
		.amdhsa_exception_fp_ieee_overflow 0
		.amdhsa_exception_fp_ieee_underflow 0
		.amdhsa_exception_fp_ieee_inexact 0
		.amdhsa_exception_int_div_zero 0
	.end_amdhsa_kernel
	.section	.text._ZN7rocprim17ROCPRIM_400000_NS6detail17trampoline_kernelINS0_14default_configENS1_21merge_config_selectorIjNS0_10empty_typeEEEZNS1_10merge_implIS3_N6thrust23THRUST_200600_302600_NS6detail15normal_iteratorINS9_10device_ptrIKjEEEESF_NSB_INSC_IjEEEEPS5_SI_SI_NS9_7greaterIjEEEE10hipError_tPvRmT0_T1_T2_T3_T4_T5_mmT6_P12ihipStream_tbEUlT_E0_NS1_11comp_targetILNS1_3genE8ELNS1_11target_archE1030ELNS1_3gpuE2ELNS1_3repE0EEENS1_30default_config_static_selectorELNS0_4arch9wavefront6targetE1EEEvSP_,"axG",@progbits,_ZN7rocprim17ROCPRIM_400000_NS6detail17trampoline_kernelINS0_14default_configENS1_21merge_config_selectorIjNS0_10empty_typeEEEZNS1_10merge_implIS3_N6thrust23THRUST_200600_302600_NS6detail15normal_iteratorINS9_10device_ptrIKjEEEESF_NSB_INSC_IjEEEEPS5_SI_SI_NS9_7greaterIjEEEE10hipError_tPvRmT0_T1_T2_T3_T4_T5_mmT6_P12ihipStream_tbEUlT_E0_NS1_11comp_targetILNS1_3genE8ELNS1_11target_archE1030ELNS1_3gpuE2ELNS1_3repE0EEENS1_30default_config_static_selectorELNS0_4arch9wavefront6targetE1EEEvSP_,comdat
.Lfunc_end532:
	.size	_ZN7rocprim17ROCPRIM_400000_NS6detail17trampoline_kernelINS0_14default_configENS1_21merge_config_selectorIjNS0_10empty_typeEEEZNS1_10merge_implIS3_N6thrust23THRUST_200600_302600_NS6detail15normal_iteratorINS9_10device_ptrIKjEEEESF_NSB_INSC_IjEEEEPS5_SI_SI_NS9_7greaterIjEEEE10hipError_tPvRmT0_T1_T2_T3_T4_T5_mmT6_P12ihipStream_tbEUlT_E0_NS1_11comp_targetILNS1_3genE8ELNS1_11target_archE1030ELNS1_3gpuE2ELNS1_3repE0EEENS1_30default_config_static_selectorELNS0_4arch9wavefront6targetE1EEEvSP_, .Lfunc_end532-_ZN7rocprim17ROCPRIM_400000_NS6detail17trampoline_kernelINS0_14default_configENS1_21merge_config_selectorIjNS0_10empty_typeEEEZNS1_10merge_implIS3_N6thrust23THRUST_200600_302600_NS6detail15normal_iteratorINS9_10device_ptrIKjEEEESF_NSB_INSC_IjEEEEPS5_SI_SI_NS9_7greaterIjEEEE10hipError_tPvRmT0_T1_T2_T3_T4_T5_mmT6_P12ihipStream_tbEUlT_E0_NS1_11comp_targetILNS1_3genE8ELNS1_11target_archE1030ELNS1_3gpuE2ELNS1_3repE0EEENS1_30default_config_static_selectorELNS0_4arch9wavefront6targetE1EEEvSP_
                                        ; -- End function
	.section	.AMDGPU.csdata,"",@progbits
; Kernel info:
; codeLenInByte = 0
; NumSgprs: 4
; NumVgprs: 0
; NumAgprs: 0
; TotalNumVgprs: 0
; ScratchSize: 0
; MemoryBound: 0
; FloatMode: 240
; IeeeMode: 1
; LDSByteSize: 0 bytes/workgroup (compile time only)
; SGPRBlocks: 0
; VGPRBlocks: 0
; NumSGPRsForWavesPerEU: 4
; NumVGPRsForWavesPerEU: 1
; AccumOffset: 4
; Occupancy: 8
; WaveLimiterHint : 0
; COMPUTE_PGM_RSRC2:SCRATCH_EN: 0
; COMPUTE_PGM_RSRC2:USER_SGPR: 6
; COMPUTE_PGM_RSRC2:TRAP_HANDLER: 0
; COMPUTE_PGM_RSRC2:TGID_X_EN: 1
; COMPUTE_PGM_RSRC2:TGID_Y_EN: 0
; COMPUTE_PGM_RSRC2:TGID_Z_EN: 0
; COMPUTE_PGM_RSRC2:TIDIG_COMP_CNT: 0
; COMPUTE_PGM_RSRC3_GFX90A:ACCUM_OFFSET: 0
; COMPUTE_PGM_RSRC3_GFX90A:TG_SPLIT: 0
	.section	.text._ZN7rocprim17ROCPRIM_400000_NS6detail17trampoline_kernelINS0_14default_configENS1_21merge_config_selectorItNS0_10empty_typeEEEZNS1_10merge_implIS3_N6thrust23THRUST_200600_302600_NS6detail15normal_iteratorINS9_10device_ptrIKtEEEESF_NSB_INSC_ItEEEEPS5_SI_SI_NS9_7greaterItEEEE10hipError_tPvRmT0_T1_T2_T3_T4_T5_mmT6_P12ihipStream_tbEUlT_E_NS1_11comp_targetILNS1_3genE0ELNS1_11target_archE4294967295ELNS1_3gpuE0ELNS1_3repE0EEENS1_30default_config_static_selectorELNS0_4arch9wavefront6targetE1EEEvSP_,"axG",@progbits,_ZN7rocprim17ROCPRIM_400000_NS6detail17trampoline_kernelINS0_14default_configENS1_21merge_config_selectorItNS0_10empty_typeEEEZNS1_10merge_implIS3_N6thrust23THRUST_200600_302600_NS6detail15normal_iteratorINS9_10device_ptrIKtEEEESF_NSB_INSC_ItEEEEPS5_SI_SI_NS9_7greaterItEEEE10hipError_tPvRmT0_T1_T2_T3_T4_T5_mmT6_P12ihipStream_tbEUlT_E_NS1_11comp_targetILNS1_3genE0ELNS1_11target_archE4294967295ELNS1_3gpuE0ELNS1_3repE0EEENS1_30default_config_static_selectorELNS0_4arch9wavefront6targetE1EEEvSP_,comdat
	.protected	_ZN7rocprim17ROCPRIM_400000_NS6detail17trampoline_kernelINS0_14default_configENS1_21merge_config_selectorItNS0_10empty_typeEEEZNS1_10merge_implIS3_N6thrust23THRUST_200600_302600_NS6detail15normal_iteratorINS9_10device_ptrIKtEEEESF_NSB_INSC_ItEEEEPS5_SI_SI_NS9_7greaterItEEEE10hipError_tPvRmT0_T1_T2_T3_T4_T5_mmT6_P12ihipStream_tbEUlT_E_NS1_11comp_targetILNS1_3genE0ELNS1_11target_archE4294967295ELNS1_3gpuE0ELNS1_3repE0EEENS1_30default_config_static_selectorELNS0_4arch9wavefront6targetE1EEEvSP_ ; -- Begin function _ZN7rocprim17ROCPRIM_400000_NS6detail17trampoline_kernelINS0_14default_configENS1_21merge_config_selectorItNS0_10empty_typeEEEZNS1_10merge_implIS3_N6thrust23THRUST_200600_302600_NS6detail15normal_iteratorINS9_10device_ptrIKtEEEESF_NSB_INSC_ItEEEEPS5_SI_SI_NS9_7greaterItEEEE10hipError_tPvRmT0_T1_T2_T3_T4_T5_mmT6_P12ihipStream_tbEUlT_E_NS1_11comp_targetILNS1_3genE0ELNS1_11target_archE4294967295ELNS1_3gpuE0ELNS1_3repE0EEENS1_30default_config_static_selectorELNS0_4arch9wavefront6targetE1EEEvSP_
	.globl	_ZN7rocprim17ROCPRIM_400000_NS6detail17trampoline_kernelINS0_14default_configENS1_21merge_config_selectorItNS0_10empty_typeEEEZNS1_10merge_implIS3_N6thrust23THRUST_200600_302600_NS6detail15normal_iteratorINS9_10device_ptrIKtEEEESF_NSB_INSC_ItEEEEPS5_SI_SI_NS9_7greaterItEEEE10hipError_tPvRmT0_T1_T2_T3_T4_T5_mmT6_P12ihipStream_tbEUlT_E_NS1_11comp_targetILNS1_3genE0ELNS1_11target_archE4294967295ELNS1_3gpuE0ELNS1_3repE0EEENS1_30default_config_static_selectorELNS0_4arch9wavefront6targetE1EEEvSP_
	.p2align	8
	.type	_ZN7rocprim17ROCPRIM_400000_NS6detail17trampoline_kernelINS0_14default_configENS1_21merge_config_selectorItNS0_10empty_typeEEEZNS1_10merge_implIS3_N6thrust23THRUST_200600_302600_NS6detail15normal_iteratorINS9_10device_ptrIKtEEEESF_NSB_INSC_ItEEEEPS5_SI_SI_NS9_7greaterItEEEE10hipError_tPvRmT0_T1_T2_T3_T4_T5_mmT6_P12ihipStream_tbEUlT_E_NS1_11comp_targetILNS1_3genE0ELNS1_11target_archE4294967295ELNS1_3gpuE0ELNS1_3repE0EEENS1_30default_config_static_selectorELNS0_4arch9wavefront6targetE1EEEvSP_,@function
_ZN7rocprim17ROCPRIM_400000_NS6detail17trampoline_kernelINS0_14default_configENS1_21merge_config_selectorItNS0_10empty_typeEEEZNS1_10merge_implIS3_N6thrust23THRUST_200600_302600_NS6detail15normal_iteratorINS9_10device_ptrIKtEEEESF_NSB_INSC_ItEEEEPS5_SI_SI_NS9_7greaterItEEEE10hipError_tPvRmT0_T1_T2_T3_T4_T5_mmT6_P12ihipStream_tbEUlT_E_NS1_11comp_targetILNS1_3genE0ELNS1_11target_archE4294967295ELNS1_3gpuE0ELNS1_3repE0EEENS1_30default_config_static_selectorELNS0_4arch9wavefront6targetE1EEEvSP_: ; @_ZN7rocprim17ROCPRIM_400000_NS6detail17trampoline_kernelINS0_14default_configENS1_21merge_config_selectorItNS0_10empty_typeEEEZNS1_10merge_implIS3_N6thrust23THRUST_200600_302600_NS6detail15normal_iteratorINS9_10device_ptrIKtEEEESF_NSB_INSC_ItEEEEPS5_SI_SI_NS9_7greaterItEEEE10hipError_tPvRmT0_T1_T2_T3_T4_T5_mmT6_P12ihipStream_tbEUlT_E_NS1_11comp_targetILNS1_3genE0ELNS1_11target_archE4294967295ELNS1_3gpuE0ELNS1_3repE0EEENS1_30default_config_static_selectorELNS0_4arch9wavefront6targetE1EEEvSP_
; %bb.0:
	.section	.rodata,"a",@progbits
	.p2align	6, 0x0
	.amdhsa_kernel _ZN7rocprim17ROCPRIM_400000_NS6detail17trampoline_kernelINS0_14default_configENS1_21merge_config_selectorItNS0_10empty_typeEEEZNS1_10merge_implIS3_N6thrust23THRUST_200600_302600_NS6detail15normal_iteratorINS9_10device_ptrIKtEEEESF_NSB_INSC_ItEEEEPS5_SI_SI_NS9_7greaterItEEEE10hipError_tPvRmT0_T1_T2_T3_T4_T5_mmT6_P12ihipStream_tbEUlT_E_NS1_11comp_targetILNS1_3genE0ELNS1_11target_archE4294967295ELNS1_3gpuE0ELNS1_3repE0EEENS1_30default_config_static_selectorELNS0_4arch9wavefront6targetE1EEEvSP_
		.amdhsa_group_segment_fixed_size 0
		.amdhsa_private_segment_fixed_size 0
		.amdhsa_kernarg_size 48
		.amdhsa_user_sgpr_count 6
		.amdhsa_user_sgpr_private_segment_buffer 1
		.amdhsa_user_sgpr_dispatch_ptr 0
		.amdhsa_user_sgpr_queue_ptr 0
		.amdhsa_user_sgpr_kernarg_segment_ptr 1
		.amdhsa_user_sgpr_dispatch_id 0
		.amdhsa_user_sgpr_flat_scratch_init 0
		.amdhsa_user_sgpr_kernarg_preload_length 0
		.amdhsa_user_sgpr_kernarg_preload_offset 0
		.amdhsa_user_sgpr_private_segment_size 0
		.amdhsa_uses_dynamic_stack 0
		.amdhsa_system_sgpr_private_segment_wavefront_offset 0
		.amdhsa_system_sgpr_workgroup_id_x 1
		.amdhsa_system_sgpr_workgroup_id_y 0
		.amdhsa_system_sgpr_workgroup_id_z 0
		.amdhsa_system_sgpr_workgroup_info 0
		.amdhsa_system_vgpr_workitem_id 0
		.amdhsa_next_free_vgpr 1
		.amdhsa_next_free_sgpr 0
		.amdhsa_accum_offset 4
		.amdhsa_reserve_vcc 0
		.amdhsa_reserve_flat_scratch 0
		.amdhsa_float_round_mode_32 0
		.amdhsa_float_round_mode_16_64 0
		.amdhsa_float_denorm_mode_32 3
		.amdhsa_float_denorm_mode_16_64 3
		.amdhsa_dx10_clamp 1
		.amdhsa_ieee_mode 1
		.amdhsa_fp16_overflow 0
		.amdhsa_tg_split 0
		.amdhsa_exception_fp_ieee_invalid_op 0
		.amdhsa_exception_fp_denorm_src 0
		.amdhsa_exception_fp_ieee_div_zero 0
		.amdhsa_exception_fp_ieee_overflow 0
		.amdhsa_exception_fp_ieee_underflow 0
		.amdhsa_exception_fp_ieee_inexact 0
		.amdhsa_exception_int_div_zero 0
	.end_amdhsa_kernel
	.section	.text._ZN7rocprim17ROCPRIM_400000_NS6detail17trampoline_kernelINS0_14default_configENS1_21merge_config_selectorItNS0_10empty_typeEEEZNS1_10merge_implIS3_N6thrust23THRUST_200600_302600_NS6detail15normal_iteratorINS9_10device_ptrIKtEEEESF_NSB_INSC_ItEEEEPS5_SI_SI_NS9_7greaterItEEEE10hipError_tPvRmT0_T1_T2_T3_T4_T5_mmT6_P12ihipStream_tbEUlT_E_NS1_11comp_targetILNS1_3genE0ELNS1_11target_archE4294967295ELNS1_3gpuE0ELNS1_3repE0EEENS1_30default_config_static_selectorELNS0_4arch9wavefront6targetE1EEEvSP_,"axG",@progbits,_ZN7rocprim17ROCPRIM_400000_NS6detail17trampoline_kernelINS0_14default_configENS1_21merge_config_selectorItNS0_10empty_typeEEEZNS1_10merge_implIS3_N6thrust23THRUST_200600_302600_NS6detail15normal_iteratorINS9_10device_ptrIKtEEEESF_NSB_INSC_ItEEEEPS5_SI_SI_NS9_7greaterItEEEE10hipError_tPvRmT0_T1_T2_T3_T4_T5_mmT6_P12ihipStream_tbEUlT_E_NS1_11comp_targetILNS1_3genE0ELNS1_11target_archE4294967295ELNS1_3gpuE0ELNS1_3repE0EEENS1_30default_config_static_selectorELNS0_4arch9wavefront6targetE1EEEvSP_,comdat
.Lfunc_end533:
	.size	_ZN7rocprim17ROCPRIM_400000_NS6detail17trampoline_kernelINS0_14default_configENS1_21merge_config_selectorItNS0_10empty_typeEEEZNS1_10merge_implIS3_N6thrust23THRUST_200600_302600_NS6detail15normal_iteratorINS9_10device_ptrIKtEEEESF_NSB_INSC_ItEEEEPS5_SI_SI_NS9_7greaterItEEEE10hipError_tPvRmT0_T1_T2_T3_T4_T5_mmT6_P12ihipStream_tbEUlT_E_NS1_11comp_targetILNS1_3genE0ELNS1_11target_archE4294967295ELNS1_3gpuE0ELNS1_3repE0EEENS1_30default_config_static_selectorELNS0_4arch9wavefront6targetE1EEEvSP_, .Lfunc_end533-_ZN7rocprim17ROCPRIM_400000_NS6detail17trampoline_kernelINS0_14default_configENS1_21merge_config_selectorItNS0_10empty_typeEEEZNS1_10merge_implIS3_N6thrust23THRUST_200600_302600_NS6detail15normal_iteratorINS9_10device_ptrIKtEEEESF_NSB_INSC_ItEEEEPS5_SI_SI_NS9_7greaterItEEEE10hipError_tPvRmT0_T1_T2_T3_T4_T5_mmT6_P12ihipStream_tbEUlT_E_NS1_11comp_targetILNS1_3genE0ELNS1_11target_archE4294967295ELNS1_3gpuE0ELNS1_3repE0EEENS1_30default_config_static_selectorELNS0_4arch9wavefront6targetE1EEEvSP_
                                        ; -- End function
	.section	.AMDGPU.csdata,"",@progbits
; Kernel info:
; codeLenInByte = 0
; NumSgprs: 4
; NumVgprs: 0
; NumAgprs: 0
; TotalNumVgprs: 0
; ScratchSize: 0
; MemoryBound: 0
; FloatMode: 240
; IeeeMode: 1
; LDSByteSize: 0 bytes/workgroup (compile time only)
; SGPRBlocks: 0
; VGPRBlocks: 0
; NumSGPRsForWavesPerEU: 4
; NumVGPRsForWavesPerEU: 1
; AccumOffset: 4
; Occupancy: 8
; WaveLimiterHint : 0
; COMPUTE_PGM_RSRC2:SCRATCH_EN: 0
; COMPUTE_PGM_RSRC2:USER_SGPR: 6
; COMPUTE_PGM_RSRC2:TRAP_HANDLER: 0
; COMPUTE_PGM_RSRC2:TGID_X_EN: 1
; COMPUTE_PGM_RSRC2:TGID_Y_EN: 0
; COMPUTE_PGM_RSRC2:TGID_Z_EN: 0
; COMPUTE_PGM_RSRC2:TIDIG_COMP_CNT: 0
; COMPUTE_PGM_RSRC3_GFX90A:ACCUM_OFFSET: 0
; COMPUTE_PGM_RSRC3_GFX90A:TG_SPLIT: 0
	.section	.text._ZN7rocprim17ROCPRIM_400000_NS6detail17trampoline_kernelINS0_14default_configENS1_21merge_config_selectorItNS0_10empty_typeEEEZNS1_10merge_implIS3_N6thrust23THRUST_200600_302600_NS6detail15normal_iteratorINS9_10device_ptrIKtEEEESF_NSB_INSC_ItEEEEPS5_SI_SI_NS9_7greaterItEEEE10hipError_tPvRmT0_T1_T2_T3_T4_T5_mmT6_P12ihipStream_tbEUlT_E_NS1_11comp_targetILNS1_3genE5ELNS1_11target_archE942ELNS1_3gpuE9ELNS1_3repE0EEENS1_30default_config_static_selectorELNS0_4arch9wavefront6targetE1EEEvSP_,"axG",@progbits,_ZN7rocprim17ROCPRIM_400000_NS6detail17trampoline_kernelINS0_14default_configENS1_21merge_config_selectorItNS0_10empty_typeEEEZNS1_10merge_implIS3_N6thrust23THRUST_200600_302600_NS6detail15normal_iteratorINS9_10device_ptrIKtEEEESF_NSB_INSC_ItEEEEPS5_SI_SI_NS9_7greaterItEEEE10hipError_tPvRmT0_T1_T2_T3_T4_T5_mmT6_P12ihipStream_tbEUlT_E_NS1_11comp_targetILNS1_3genE5ELNS1_11target_archE942ELNS1_3gpuE9ELNS1_3repE0EEENS1_30default_config_static_selectorELNS0_4arch9wavefront6targetE1EEEvSP_,comdat
	.protected	_ZN7rocprim17ROCPRIM_400000_NS6detail17trampoline_kernelINS0_14default_configENS1_21merge_config_selectorItNS0_10empty_typeEEEZNS1_10merge_implIS3_N6thrust23THRUST_200600_302600_NS6detail15normal_iteratorINS9_10device_ptrIKtEEEESF_NSB_INSC_ItEEEEPS5_SI_SI_NS9_7greaterItEEEE10hipError_tPvRmT0_T1_T2_T3_T4_T5_mmT6_P12ihipStream_tbEUlT_E_NS1_11comp_targetILNS1_3genE5ELNS1_11target_archE942ELNS1_3gpuE9ELNS1_3repE0EEENS1_30default_config_static_selectorELNS0_4arch9wavefront6targetE1EEEvSP_ ; -- Begin function _ZN7rocprim17ROCPRIM_400000_NS6detail17trampoline_kernelINS0_14default_configENS1_21merge_config_selectorItNS0_10empty_typeEEEZNS1_10merge_implIS3_N6thrust23THRUST_200600_302600_NS6detail15normal_iteratorINS9_10device_ptrIKtEEEESF_NSB_INSC_ItEEEEPS5_SI_SI_NS9_7greaterItEEEE10hipError_tPvRmT0_T1_T2_T3_T4_T5_mmT6_P12ihipStream_tbEUlT_E_NS1_11comp_targetILNS1_3genE5ELNS1_11target_archE942ELNS1_3gpuE9ELNS1_3repE0EEENS1_30default_config_static_selectorELNS0_4arch9wavefront6targetE1EEEvSP_
	.globl	_ZN7rocprim17ROCPRIM_400000_NS6detail17trampoline_kernelINS0_14default_configENS1_21merge_config_selectorItNS0_10empty_typeEEEZNS1_10merge_implIS3_N6thrust23THRUST_200600_302600_NS6detail15normal_iteratorINS9_10device_ptrIKtEEEESF_NSB_INSC_ItEEEEPS5_SI_SI_NS9_7greaterItEEEE10hipError_tPvRmT0_T1_T2_T3_T4_T5_mmT6_P12ihipStream_tbEUlT_E_NS1_11comp_targetILNS1_3genE5ELNS1_11target_archE942ELNS1_3gpuE9ELNS1_3repE0EEENS1_30default_config_static_selectorELNS0_4arch9wavefront6targetE1EEEvSP_
	.p2align	8
	.type	_ZN7rocprim17ROCPRIM_400000_NS6detail17trampoline_kernelINS0_14default_configENS1_21merge_config_selectorItNS0_10empty_typeEEEZNS1_10merge_implIS3_N6thrust23THRUST_200600_302600_NS6detail15normal_iteratorINS9_10device_ptrIKtEEEESF_NSB_INSC_ItEEEEPS5_SI_SI_NS9_7greaterItEEEE10hipError_tPvRmT0_T1_T2_T3_T4_T5_mmT6_P12ihipStream_tbEUlT_E_NS1_11comp_targetILNS1_3genE5ELNS1_11target_archE942ELNS1_3gpuE9ELNS1_3repE0EEENS1_30default_config_static_selectorELNS0_4arch9wavefront6targetE1EEEvSP_,@function
_ZN7rocprim17ROCPRIM_400000_NS6detail17trampoline_kernelINS0_14default_configENS1_21merge_config_selectorItNS0_10empty_typeEEEZNS1_10merge_implIS3_N6thrust23THRUST_200600_302600_NS6detail15normal_iteratorINS9_10device_ptrIKtEEEESF_NSB_INSC_ItEEEEPS5_SI_SI_NS9_7greaterItEEEE10hipError_tPvRmT0_T1_T2_T3_T4_T5_mmT6_P12ihipStream_tbEUlT_E_NS1_11comp_targetILNS1_3genE5ELNS1_11target_archE942ELNS1_3gpuE9ELNS1_3repE0EEENS1_30default_config_static_selectorELNS0_4arch9wavefront6targetE1EEEvSP_: ; @_ZN7rocprim17ROCPRIM_400000_NS6detail17trampoline_kernelINS0_14default_configENS1_21merge_config_selectorItNS0_10empty_typeEEEZNS1_10merge_implIS3_N6thrust23THRUST_200600_302600_NS6detail15normal_iteratorINS9_10device_ptrIKtEEEESF_NSB_INSC_ItEEEEPS5_SI_SI_NS9_7greaterItEEEE10hipError_tPvRmT0_T1_T2_T3_T4_T5_mmT6_P12ihipStream_tbEUlT_E_NS1_11comp_targetILNS1_3genE5ELNS1_11target_archE942ELNS1_3gpuE9ELNS1_3repE0EEENS1_30default_config_static_selectorELNS0_4arch9wavefront6targetE1EEEvSP_
; %bb.0:
	.section	.rodata,"a",@progbits
	.p2align	6, 0x0
	.amdhsa_kernel _ZN7rocprim17ROCPRIM_400000_NS6detail17trampoline_kernelINS0_14default_configENS1_21merge_config_selectorItNS0_10empty_typeEEEZNS1_10merge_implIS3_N6thrust23THRUST_200600_302600_NS6detail15normal_iteratorINS9_10device_ptrIKtEEEESF_NSB_INSC_ItEEEEPS5_SI_SI_NS9_7greaterItEEEE10hipError_tPvRmT0_T1_T2_T3_T4_T5_mmT6_P12ihipStream_tbEUlT_E_NS1_11comp_targetILNS1_3genE5ELNS1_11target_archE942ELNS1_3gpuE9ELNS1_3repE0EEENS1_30default_config_static_selectorELNS0_4arch9wavefront6targetE1EEEvSP_
		.amdhsa_group_segment_fixed_size 0
		.amdhsa_private_segment_fixed_size 0
		.amdhsa_kernarg_size 48
		.amdhsa_user_sgpr_count 6
		.amdhsa_user_sgpr_private_segment_buffer 1
		.amdhsa_user_sgpr_dispatch_ptr 0
		.amdhsa_user_sgpr_queue_ptr 0
		.amdhsa_user_sgpr_kernarg_segment_ptr 1
		.amdhsa_user_sgpr_dispatch_id 0
		.amdhsa_user_sgpr_flat_scratch_init 0
		.amdhsa_user_sgpr_kernarg_preload_length 0
		.amdhsa_user_sgpr_kernarg_preload_offset 0
		.amdhsa_user_sgpr_private_segment_size 0
		.amdhsa_uses_dynamic_stack 0
		.amdhsa_system_sgpr_private_segment_wavefront_offset 0
		.amdhsa_system_sgpr_workgroup_id_x 1
		.amdhsa_system_sgpr_workgroup_id_y 0
		.amdhsa_system_sgpr_workgroup_id_z 0
		.amdhsa_system_sgpr_workgroup_info 0
		.amdhsa_system_vgpr_workitem_id 0
		.amdhsa_next_free_vgpr 1
		.amdhsa_next_free_sgpr 0
		.amdhsa_accum_offset 4
		.amdhsa_reserve_vcc 0
		.amdhsa_reserve_flat_scratch 0
		.amdhsa_float_round_mode_32 0
		.amdhsa_float_round_mode_16_64 0
		.amdhsa_float_denorm_mode_32 3
		.amdhsa_float_denorm_mode_16_64 3
		.amdhsa_dx10_clamp 1
		.amdhsa_ieee_mode 1
		.amdhsa_fp16_overflow 0
		.amdhsa_tg_split 0
		.amdhsa_exception_fp_ieee_invalid_op 0
		.amdhsa_exception_fp_denorm_src 0
		.amdhsa_exception_fp_ieee_div_zero 0
		.amdhsa_exception_fp_ieee_overflow 0
		.amdhsa_exception_fp_ieee_underflow 0
		.amdhsa_exception_fp_ieee_inexact 0
		.amdhsa_exception_int_div_zero 0
	.end_amdhsa_kernel
	.section	.text._ZN7rocprim17ROCPRIM_400000_NS6detail17trampoline_kernelINS0_14default_configENS1_21merge_config_selectorItNS0_10empty_typeEEEZNS1_10merge_implIS3_N6thrust23THRUST_200600_302600_NS6detail15normal_iteratorINS9_10device_ptrIKtEEEESF_NSB_INSC_ItEEEEPS5_SI_SI_NS9_7greaterItEEEE10hipError_tPvRmT0_T1_T2_T3_T4_T5_mmT6_P12ihipStream_tbEUlT_E_NS1_11comp_targetILNS1_3genE5ELNS1_11target_archE942ELNS1_3gpuE9ELNS1_3repE0EEENS1_30default_config_static_selectorELNS0_4arch9wavefront6targetE1EEEvSP_,"axG",@progbits,_ZN7rocprim17ROCPRIM_400000_NS6detail17trampoline_kernelINS0_14default_configENS1_21merge_config_selectorItNS0_10empty_typeEEEZNS1_10merge_implIS3_N6thrust23THRUST_200600_302600_NS6detail15normal_iteratorINS9_10device_ptrIKtEEEESF_NSB_INSC_ItEEEEPS5_SI_SI_NS9_7greaterItEEEE10hipError_tPvRmT0_T1_T2_T3_T4_T5_mmT6_P12ihipStream_tbEUlT_E_NS1_11comp_targetILNS1_3genE5ELNS1_11target_archE942ELNS1_3gpuE9ELNS1_3repE0EEENS1_30default_config_static_selectorELNS0_4arch9wavefront6targetE1EEEvSP_,comdat
.Lfunc_end534:
	.size	_ZN7rocprim17ROCPRIM_400000_NS6detail17trampoline_kernelINS0_14default_configENS1_21merge_config_selectorItNS0_10empty_typeEEEZNS1_10merge_implIS3_N6thrust23THRUST_200600_302600_NS6detail15normal_iteratorINS9_10device_ptrIKtEEEESF_NSB_INSC_ItEEEEPS5_SI_SI_NS9_7greaterItEEEE10hipError_tPvRmT0_T1_T2_T3_T4_T5_mmT6_P12ihipStream_tbEUlT_E_NS1_11comp_targetILNS1_3genE5ELNS1_11target_archE942ELNS1_3gpuE9ELNS1_3repE0EEENS1_30default_config_static_selectorELNS0_4arch9wavefront6targetE1EEEvSP_, .Lfunc_end534-_ZN7rocprim17ROCPRIM_400000_NS6detail17trampoline_kernelINS0_14default_configENS1_21merge_config_selectorItNS0_10empty_typeEEEZNS1_10merge_implIS3_N6thrust23THRUST_200600_302600_NS6detail15normal_iteratorINS9_10device_ptrIKtEEEESF_NSB_INSC_ItEEEEPS5_SI_SI_NS9_7greaterItEEEE10hipError_tPvRmT0_T1_T2_T3_T4_T5_mmT6_P12ihipStream_tbEUlT_E_NS1_11comp_targetILNS1_3genE5ELNS1_11target_archE942ELNS1_3gpuE9ELNS1_3repE0EEENS1_30default_config_static_selectorELNS0_4arch9wavefront6targetE1EEEvSP_
                                        ; -- End function
	.section	.AMDGPU.csdata,"",@progbits
; Kernel info:
; codeLenInByte = 0
; NumSgprs: 4
; NumVgprs: 0
; NumAgprs: 0
; TotalNumVgprs: 0
; ScratchSize: 0
; MemoryBound: 0
; FloatMode: 240
; IeeeMode: 1
; LDSByteSize: 0 bytes/workgroup (compile time only)
; SGPRBlocks: 0
; VGPRBlocks: 0
; NumSGPRsForWavesPerEU: 4
; NumVGPRsForWavesPerEU: 1
; AccumOffset: 4
; Occupancy: 8
; WaveLimiterHint : 0
; COMPUTE_PGM_RSRC2:SCRATCH_EN: 0
; COMPUTE_PGM_RSRC2:USER_SGPR: 6
; COMPUTE_PGM_RSRC2:TRAP_HANDLER: 0
; COMPUTE_PGM_RSRC2:TGID_X_EN: 1
; COMPUTE_PGM_RSRC2:TGID_Y_EN: 0
; COMPUTE_PGM_RSRC2:TGID_Z_EN: 0
; COMPUTE_PGM_RSRC2:TIDIG_COMP_CNT: 0
; COMPUTE_PGM_RSRC3_GFX90A:ACCUM_OFFSET: 0
; COMPUTE_PGM_RSRC3_GFX90A:TG_SPLIT: 0
	.section	.text._ZN7rocprim17ROCPRIM_400000_NS6detail17trampoline_kernelINS0_14default_configENS1_21merge_config_selectorItNS0_10empty_typeEEEZNS1_10merge_implIS3_N6thrust23THRUST_200600_302600_NS6detail15normal_iteratorINS9_10device_ptrIKtEEEESF_NSB_INSC_ItEEEEPS5_SI_SI_NS9_7greaterItEEEE10hipError_tPvRmT0_T1_T2_T3_T4_T5_mmT6_P12ihipStream_tbEUlT_E_NS1_11comp_targetILNS1_3genE4ELNS1_11target_archE910ELNS1_3gpuE8ELNS1_3repE0EEENS1_30default_config_static_selectorELNS0_4arch9wavefront6targetE1EEEvSP_,"axG",@progbits,_ZN7rocprim17ROCPRIM_400000_NS6detail17trampoline_kernelINS0_14default_configENS1_21merge_config_selectorItNS0_10empty_typeEEEZNS1_10merge_implIS3_N6thrust23THRUST_200600_302600_NS6detail15normal_iteratorINS9_10device_ptrIKtEEEESF_NSB_INSC_ItEEEEPS5_SI_SI_NS9_7greaterItEEEE10hipError_tPvRmT0_T1_T2_T3_T4_T5_mmT6_P12ihipStream_tbEUlT_E_NS1_11comp_targetILNS1_3genE4ELNS1_11target_archE910ELNS1_3gpuE8ELNS1_3repE0EEENS1_30default_config_static_selectorELNS0_4arch9wavefront6targetE1EEEvSP_,comdat
	.protected	_ZN7rocprim17ROCPRIM_400000_NS6detail17trampoline_kernelINS0_14default_configENS1_21merge_config_selectorItNS0_10empty_typeEEEZNS1_10merge_implIS3_N6thrust23THRUST_200600_302600_NS6detail15normal_iteratorINS9_10device_ptrIKtEEEESF_NSB_INSC_ItEEEEPS5_SI_SI_NS9_7greaterItEEEE10hipError_tPvRmT0_T1_T2_T3_T4_T5_mmT6_P12ihipStream_tbEUlT_E_NS1_11comp_targetILNS1_3genE4ELNS1_11target_archE910ELNS1_3gpuE8ELNS1_3repE0EEENS1_30default_config_static_selectorELNS0_4arch9wavefront6targetE1EEEvSP_ ; -- Begin function _ZN7rocprim17ROCPRIM_400000_NS6detail17trampoline_kernelINS0_14default_configENS1_21merge_config_selectorItNS0_10empty_typeEEEZNS1_10merge_implIS3_N6thrust23THRUST_200600_302600_NS6detail15normal_iteratorINS9_10device_ptrIKtEEEESF_NSB_INSC_ItEEEEPS5_SI_SI_NS9_7greaterItEEEE10hipError_tPvRmT0_T1_T2_T3_T4_T5_mmT6_P12ihipStream_tbEUlT_E_NS1_11comp_targetILNS1_3genE4ELNS1_11target_archE910ELNS1_3gpuE8ELNS1_3repE0EEENS1_30default_config_static_selectorELNS0_4arch9wavefront6targetE1EEEvSP_
	.globl	_ZN7rocprim17ROCPRIM_400000_NS6detail17trampoline_kernelINS0_14default_configENS1_21merge_config_selectorItNS0_10empty_typeEEEZNS1_10merge_implIS3_N6thrust23THRUST_200600_302600_NS6detail15normal_iteratorINS9_10device_ptrIKtEEEESF_NSB_INSC_ItEEEEPS5_SI_SI_NS9_7greaterItEEEE10hipError_tPvRmT0_T1_T2_T3_T4_T5_mmT6_P12ihipStream_tbEUlT_E_NS1_11comp_targetILNS1_3genE4ELNS1_11target_archE910ELNS1_3gpuE8ELNS1_3repE0EEENS1_30default_config_static_selectorELNS0_4arch9wavefront6targetE1EEEvSP_
	.p2align	8
	.type	_ZN7rocprim17ROCPRIM_400000_NS6detail17trampoline_kernelINS0_14default_configENS1_21merge_config_selectorItNS0_10empty_typeEEEZNS1_10merge_implIS3_N6thrust23THRUST_200600_302600_NS6detail15normal_iteratorINS9_10device_ptrIKtEEEESF_NSB_INSC_ItEEEEPS5_SI_SI_NS9_7greaterItEEEE10hipError_tPvRmT0_T1_T2_T3_T4_T5_mmT6_P12ihipStream_tbEUlT_E_NS1_11comp_targetILNS1_3genE4ELNS1_11target_archE910ELNS1_3gpuE8ELNS1_3repE0EEENS1_30default_config_static_selectorELNS0_4arch9wavefront6targetE1EEEvSP_,@function
_ZN7rocprim17ROCPRIM_400000_NS6detail17trampoline_kernelINS0_14default_configENS1_21merge_config_selectorItNS0_10empty_typeEEEZNS1_10merge_implIS3_N6thrust23THRUST_200600_302600_NS6detail15normal_iteratorINS9_10device_ptrIKtEEEESF_NSB_INSC_ItEEEEPS5_SI_SI_NS9_7greaterItEEEE10hipError_tPvRmT0_T1_T2_T3_T4_T5_mmT6_P12ihipStream_tbEUlT_E_NS1_11comp_targetILNS1_3genE4ELNS1_11target_archE910ELNS1_3gpuE8ELNS1_3repE0EEENS1_30default_config_static_selectorELNS0_4arch9wavefront6targetE1EEEvSP_: ; @_ZN7rocprim17ROCPRIM_400000_NS6detail17trampoline_kernelINS0_14default_configENS1_21merge_config_selectorItNS0_10empty_typeEEEZNS1_10merge_implIS3_N6thrust23THRUST_200600_302600_NS6detail15normal_iteratorINS9_10device_ptrIKtEEEESF_NSB_INSC_ItEEEEPS5_SI_SI_NS9_7greaterItEEEE10hipError_tPvRmT0_T1_T2_T3_T4_T5_mmT6_P12ihipStream_tbEUlT_E_NS1_11comp_targetILNS1_3genE4ELNS1_11target_archE910ELNS1_3gpuE8ELNS1_3repE0EEENS1_30default_config_static_selectorELNS0_4arch9wavefront6targetE1EEEvSP_
; %bb.0:
	s_load_dword s7, s[4:5], 0x28
	s_load_dword s0, s[4:5], 0x3c
	s_load_dwordx4 s[8:11], s[4:5], 0x18
	s_waitcnt lgkmcnt(0)
	v_cvt_f32_u32_e32 v1, s7
	s_and_b32 s0, s0, 0xffff
	s_add_u32 s12, s10, s8
	s_addc_u32 s13, s11, s9
	v_rcp_iflag_f32_e32 v1, v1
	s_sub_i32 s1, 0, s7
	s_mul_i32 s6, s6, s0
	s_add_i32 s0, s7, s12
	v_mul_f32_e32 v1, 0x4f7ffffe, v1
	v_cvt_u32_f32_e32 v1, v1
	s_add_i32 s0, s0, -1
	v_add_u32_e32 v0, s6, v0
	v_readfirstlane_b32 s2, v1
	s_mul_i32 s1, s1, s2
	s_mul_hi_u32 s1, s2, s1
	s_add_i32 s2, s2, s1
	s_mul_hi_u32 s1, s0, s2
	s_mul_i32 s2, s1, s7
	s_sub_i32 s0, s0, s2
	s_add_i32 s3, s1, 1
	s_sub_i32 s2, s0, s7
	s_cmp_ge_u32 s0, s7
	s_cselect_b32 s1, s3, s1
	s_cselect_b32 s0, s2, s0
	s_add_i32 s2, s1, 1
	s_cmp_ge_u32 s0, s7
	s_cselect_b32 s0, s2, s1
	v_cmp_ge_u32_e32 vcc, s0, v0
	s_and_saveexec_b64 s[0:1], vcc
	s_cbranch_execz .LBB535_6
; %bb.1:
	v_mul_lo_u32 v2, v0, s7
	v_mov_b32_e32 v3, 0
	v_mov_b32_e32 v1, s13
	v_cmp_gt_u64_e32 vcc, s[12:13], v[2:3]
	v_cndmask_b32_e64 v7, v1, 0, vcc
	v_mov_b32_e32 v1, s12
	v_cndmask_b32_e32 v6, v1, v2, vcc
	v_mov_b32_e32 v1, s11
	v_subrev_co_u32_e32 v2, vcc, s10, v6
	v_subb_co_u32_e32 v3, vcc, v7, v1, vcc
	s_load_dwordx4 s[0:3], s[4:5], 0x0
	v_cmp_gt_u64_e32 vcc, v[2:3], v[6:7]
	v_cndmask_b32_e64 v3, v3, 0, vcc
	v_cndmask_b32_e64 v2, v2, 0, vcc
	v_mov_b32_e32 v1, s9
	v_cmp_gt_u64_e32 vcc, s[8:9], v[6:7]
	v_cndmask_b32_e32 v5, v1, v7, vcc
	v_mov_b32_e32 v1, s8
	v_cndmask_b32_e32 v4, v1, v6, vcc
	v_cmp_lt_u64_e32 vcc, v[2:3], v[4:5]
	s_and_saveexec_b64 s[6:7], vcc
	s_cbranch_execz .LBB535_5
; %bb.2:
	s_load_dwordx2 s[4:5], s[4:5], 0x10
	v_lshlrev_b64 v[6:7], 1, v[6:7]
	s_waitcnt lgkmcnt(0)
	v_mov_b32_e32 v8, s5
	v_add_co_u32_e32 v1, vcc, s4, v6
	v_addc_co_u32_e32 v6, vcc, v8, v7, vcc
	s_mov_b64 s[4:5], 0
	v_mov_b32_e32 v7, s3
.LBB535_3:                              ; =>This Inner Loop Header: Depth=1
	v_add_co_u32_e32 v8, vcc, v4, v2
	v_addc_co_u32_e32 v9, vcc, v5, v3, vcc
	v_lshrrev_b64 v[10:11], 1, v[8:9]
	v_and_b32_e32 v8, -2, v8
	v_add_co_u32_e32 v8, vcc, s2, v8
	v_not_b32_e32 v13, v11
	v_not_b32_e32 v12, v10
	v_addc_co_u32_e32 v9, vcc, v7, v9, vcc
	global_load_ushort v14, v[8:9], off
	v_lshlrev_b64 v[8:9], 1, v[12:13]
	v_add_co_u32_e32 v8, vcc, v1, v8
	v_addc_co_u32_e32 v9, vcc, v6, v9, vcc
	global_load_ushort v8, v[8:9], off
	v_add_co_u32_e32 v9, vcc, 1, v10
	v_addc_co_u32_e32 v12, vcc, 0, v11, vcc
	s_waitcnt vmcnt(0)
	v_cmp_gt_u16_e32 vcc, v8, v14
	v_cndmask_b32_e32 v5, v5, v11, vcc
	v_cndmask_b32_e32 v4, v4, v10, vcc
	;; [unrolled: 1-line block ×4, first 2 shown]
	v_cmp_ge_u64_e32 vcc, v[2:3], v[4:5]
	s_or_b64 s[4:5], vcc, s[4:5]
	s_andn2_b64 exec, exec, s[4:5]
	s_cbranch_execnz .LBB535_3
; %bb.4:
	s_or_b64 exec, exec, s[4:5]
.LBB535_5:
	s_or_b64 exec, exec, s[6:7]
	v_mov_b32_e32 v1, 0
	v_lshlrev_b64 v[0:1], 2, v[0:1]
	s_waitcnt lgkmcnt(0)
	v_mov_b32_e32 v3, s1
	v_add_co_u32_e32 v0, vcc, s0, v0
	v_addc_co_u32_e32 v1, vcc, v3, v1, vcc
	global_store_dword v[0:1], v2, off
.LBB535_6:
	s_endpgm
	.section	.rodata,"a",@progbits
	.p2align	6, 0x0
	.amdhsa_kernel _ZN7rocprim17ROCPRIM_400000_NS6detail17trampoline_kernelINS0_14default_configENS1_21merge_config_selectorItNS0_10empty_typeEEEZNS1_10merge_implIS3_N6thrust23THRUST_200600_302600_NS6detail15normal_iteratorINS9_10device_ptrIKtEEEESF_NSB_INSC_ItEEEEPS5_SI_SI_NS9_7greaterItEEEE10hipError_tPvRmT0_T1_T2_T3_T4_T5_mmT6_P12ihipStream_tbEUlT_E_NS1_11comp_targetILNS1_3genE4ELNS1_11target_archE910ELNS1_3gpuE8ELNS1_3repE0EEENS1_30default_config_static_selectorELNS0_4arch9wavefront6targetE1EEEvSP_
		.amdhsa_group_segment_fixed_size 0
		.amdhsa_private_segment_fixed_size 0
		.amdhsa_kernarg_size 304
		.amdhsa_user_sgpr_count 6
		.amdhsa_user_sgpr_private_segment_buffer 1
		.amdhsa_user_sgpr_dispatch_ptr 0
		.amdhsa_user_sgpr_queue_ptr 0
		.amdhsa_user_sgpr_kernarg_segment_ptr 1
		.amdhsa_user_sgpr_dispatch_id 0
		.amdhsa_user_sgpr_flat_scratch_init 0
		.amdhsa_user_sgpr_kernarg_preload_length 0
		.amdhsa_user_sgpr_kernarg_preload_offset 0
		.amdhsa_user_sgpr_private_segment_size 0
		.amdhsa_uses_dynamic_stack 0
		.amdhsa_system_sgpr_private_segment_wavefront_offset 0
		.amdhsa_system_sgpr_workgroup_id_x 1
		.amdhsa_system_sgpr_workgroup_id_y 0
		.amdhsa_system_sgpr_workgroup_id_z 0
		.amdhsa_system_sgpr_workgroup_info 0
		.amdhsa_system_vgpr_workitem_id 0
		.amdhsa_next_free_vgpr 15
		.amdhsa_next_free_sgpr 14
		.amdhsa_accum_offset 16
		.amdhsa_reserve_vcc 1
		.amdhsa_reserve_flat_scratch 0
		.amdhsa_float_round_mode_32 0
		.amdhsa_float_round_mode_16_64 0
		.amdhsa_float_denorm_mode_32 3
		.amdhsa_float_denorm_mode_16_64 3
		.amdhsa_dx10_clamp 1
		.amdhsa_ieee_mode 1
		.amdhsa_fp16_overflow 0
		.amdhsa_tg_split 0
		.amdhsa_exception_fp_ieee_invalid_op 0
		.amdhsa_exception_fp_denorm_src 0
		.amdhsa_exception_fp_ieee_div_zero 0
		.amdhsa_exception_fp_ieee_overflow 0
		.amdhsa_exception_fp_ieee_underflow 0
		.amdhsa_exception_fp_ieee_inexact 0
		.amdhsa_exception_int_div_zero 0
	.end_amdhsa_kernel
	.section	.text._ZN7rocprim17ROCPRIM_400000_NS6detail17trampoline_kernelINS0_14default_configENS1_21merge_config_selectorItNS0_10empty_typeEEEZNS1_10merge_implIS3_N6thrust23THRUST_200600_302600_NS6detail15normal_iteratorINS9_10device_ptrIKtEEEESF_NSB_INSC_ItEEEEPS5_SI_SI_NS9_7greaterItEEEE10hipError_tPvRmT0_T1_T2_T3_T4_T5_mmT6_P12ihipStream_tbEUlT_E_NS1_11comp_targetILNS1_3genE4ELNS1_11target_archE910ELNS1_3gpuE8ELNS1_3repE0EEENS1_30default_config_static_selectorELNS0_4arch9wavefront6targetE1EEEvSP_,"axG",@progbits,_ZN7rocprim17ROCPRIM_400000_NS6detail17trampoline_kernelINS0_14default_configENS1_21merge_config_selectorItNS0_10empty_typeEEEZNS1_10merge_implIS3_N6thrust23THRUST_200600_302600_NS6detail15normal_iteratorINS9_10device_ptrIKtEEEESF_NSB_INSC_ItEEEEPS5_SI_SI_NS9_7greaterItEEEE10hipError_tPvRmT0_T1_T2_T3_T4_T5_mmT6_P12ihipStream_tbEUlT_E_NS1_11comp_targetILNS1_3genE4ELNS1_11target_archE910ELNS1_3gpuE8ELNS1_3repE0EEENS1_30default_config_static_selectorELNS0_4arch9wavefront6targetE1EEEvSP_,comdat
.Lfunc_end535:
	.size	_ZN7rocprim17ROCPRIM_400000_NS6detail17trampoline_kernelINS0_14default_configENS1_21merge_config_selectorItNS0_10empty_typeEEEZNS1_10merge_implIS3_N6thrust23THRUST_200600_302600_NS6detail15normal_iteratorINS9_10device_ptrIKtEEEESF_NSB_INSC_ItEEEEPS5_SI_SI_NS9_7greaterItEEEE10hipError_tPvRmT0_T1_T2_T3_T4_T5_mmT6_P12ihipStream_tbEUlT_E_NS1_11comp_targetILNS1_3genE4ELNS1_11target_archE910ELNS1_3gpuE8ELNS1_3repE0EEENS1_30default_config_static_selectorELNS0_4arch9wavefront6targetE1EEEvSP_, .Lfunc_end535-_ZN7rocprim17ROCPRIM_400000_NS6detail17trampoline_kernelINS0_14default_configENS1_21merge_config_selectorItNS0_10empty_typeEEEZNS1_10merge_implIS3_N6thrust23THRUST_200600_302600_NS6detail15normal_iteratorINS9_10device_ptrIKtEEEESF_NSB_INSC_ItEEEEPS5_SI_SI_NS9_7greaterItEEEE10hipError_tPvRmT0_T1_T2_T3_T4_T5_mmT6_P12ihipStream_tbEUlT_E_NS1_11comp_targetILNS1_3genE4ELNS1_11target_archE910ELNS1_3gpuE8ELNS1_3repE0EEENS1_30default_config_static_selectorELNS0_4arch9wavefront6targetE1EEEvSP_
                                        ; -- End function
	.section	.AMDGPU.csdata,"",@progbits
; Kernel info:
; codeLenInByte = 468
; NumSgprs: 18
; NumVgprs: 15
; NumAgprs: 0
; TotalNumVgprs: 15
; ScratchSize: 0
; MemoryBound: 0
; FloatMode: 240
; IeeeMode: 1
; LDSByteSize: 0 bytes/workgroup (compile time only)
; SGPRBlocks: 2
; VGPRBlocks: 1
; NumSGPRsForWavesPerEU: 18
; NumVGPRsForWavesPerEU: 15
; AccumOffset: 16
; Occupancy: 8
; WaveLimiterHint : 0
; COMPUTE_PGM_RSRC2:SCRATCH_EN: 0
; COMPUTE_PGM_RSRC2:USER_SGPR: 6
; COMPUTE_PGM_RSRC2:TRAP_HANDLER: 0
; COMPUTE_PGM_RSRC2:TGID_X_EN: 1
; COMPUTE_PGM_RSRC2:TGID_Y_EN: 0
; COMPUTE_PGM_RSRC2:TGID_Z_EN: 0
; COMPUTE_PGM_RSRC2:TIDIG_COMP_CNT: 0
; COMPUTE_PGM_RSRC3_GFX90A:ACCUM_OFFSET: 3
; COMPUTE_PGM_RSRC3_GFX90A:TG_SPLIT: 0
	.section	.text._ZN7rocprim17ROCPRIM_400000_NS6detail17trampoline_kernelINS0_14default_configENS1_21merge_config_selectorItNS0_10empty_typeEEEZNS1_10merge_implIS3_N6thrust23THRUST_200600_302600_NS6detail15normal_iteratorINS9_10device_ptrIKtEEEESF_NSB_INSC_ItEEEEPS5_SI_SI_NS9_7greaterItEEEE10hipError_tPvRmT0_T1_T2_T3_T4_T5_mmT6_P12ihipStream_tbEUlT_E_NS1_11comp_targetILNS1_3genE3ELNS1_11target_archE908ELNS1_3gpuE7ELNS1_3repE0EEENS1_30default_config_static_selectorELNS0_4arch9wavefront6targetE1EEEvSP_,"axG",@progbits,_ZN7rocprim17ROCPRIM_400000_NS6detail17trampoline_kernelINS0_14default_configENS1_21merge_config_selectorItNS0_10empty_typeEEEZNS1_10merge_implIS3_N6thrust23THRUST_200600_302600_NS6detail15normal_iteratorINS9_10device_ptrIKtEEEESF_NSB_INSC_ItEEEEPS5_SI_SI_NS9_7greaterItEEEE10hipError_tPvRmT0_T1_T2_T3_T4_T5_mmT6_P12ihipStream_tbEUlT_E_NS1_11comp_targetILNS1_3genE3ELNS1_11target_archE908ELNS1_3gpuE7ELNS1_3repE0EEENS1_30default_config_static_selectorELNS0_4arch9wavefront6targetE1EEEvSP_,comdat
	.protected	_ZN7rocprim17ROCPRIM_400000_NS6detail17trampoline_kernelINS0_14default_configENS1_21merge_config_selectorItNS0_10empty_typeEEEZNS1_10merge_implIS3_N6thrust23THRUST_200600_302600_NS6detail15normal_iteratorINS9_10device_ptrIKtEEEESF_NSB_INSC_ItEEEEPS5_SI_SI_NS9_7greaterItEEEE10hipError_tPvRmT0_T1_T2_T3_T4_T5_mmT6_P12ihipStream_tbEUlT_E_NS1_11comp_targetILNS1_3genE3ELNS1_11target_archE908ELNS1_3gpuE7ELNS1_3repE0EEENS1_30default_config_static_selectorELNS0_4arch9wavefront6targetE1EEEvSP_ ; -- Begin function _ZN7rocprim17ROCPRIM_400000_NS6detail17trampoline_kernelINS0_14default_configENS1_21merge_config_selectorItNS0_10empty_typeEEEZNS1_10merge_implIS3_N6thrust23THRUST_200600_302600_NS6detail15normal_iteratorINS9_10device_ptrIKtEEEESF_NSB_INSC_ItEEEEPS5_SI_SI_NS9_7greaterItEEEE10hipError_tPvRmT0_T1_T2_T3_T4_T5_mmT6_P12ihipStream_tbEUlT_E_NS1_11comp_targetILNS1_3genE3ELNS1_11target_archE908ELNS1_3gpuE7ELNS1_3repE0EEENS1_30default_config_static_selectorELNS0_4arch9wavefront6targetE1EEEvSP_
	.globl	_ZN7rocprim17ROCPRIM_400000_NS6detail17trampoline_kernelINS0_14default_configENS1_21merge_config_selectorItNS0_10empty_typeEEEZNS1_10merge_implIS3_N6thrust23THRUST_200600_302600_NS6detail15normal_iteratorINS9_10device_ptrIKtEEEESF_NSB_INSC_ItEEEEPS5_SI_SI_NS9_7greaterItEEEE10hipError_tPvRmT0_T1_T2_T3_T4_T5_mmT6_P12ihipStream_tbEUlT_E_NS1_11comp_targetILNS1_3genE3ELNS1_11target_archE908ELNS1_3gpuE7ELNS1_3repE0EEENS1_30default_config_static_selectorELNS0_4arch9wavefront6targetE1EEEvSP_
	.p2align	8
	.type	_ZN7rocprim17ROCPRIM_400000_NS6detail17trampoline_kernelINS0_14default_configENS1_21merge_config_selectorItNS0_10empty_typeEEEZNS1_10merge_implIS3_N6thrust23THRUST_200600_302600_NS6detail15normal_iteratorINS9_10device_ptrIKtEEEESF_NSB_INSC_ItEEEEPS5_SI_SI_NS9_7greaterItEEEE10hipError_tPvRmT0_T1_T2_T3_T4_T5_mmT6_P12ihipStream_tbEUlT_E_NS1_11comp_targetILNS1_3genE3ELNS1_11target_archE908ELNS1_3gpuE7ELNS1_3repE0EEENS1_30default_config_static_selectorELNS0_4arch9wavefront6targetE1EEEvSP_,@function
_ZN7rocprim17ROCPRIM_400000_NS6detail17trampoline_kernelINS0_14default_configENS1_21merge_config_selectorItNS0_10empty_typeEEEZNS1_10merge_implIS3_N6thrust23THRUST_200600_302600_NS6detail15normal_iteratorINS9_10device_ptrIKtEEEESF_NSB_INSC_ItEEEEPS5_SI_SI_NS9_7greaterItEEEE10hipError_tPvRmT0_T1_T2_T3_T4_T5_mmT6_P12ihipStream_tbEUlT_E_NS1_11comp_targetILNS1_3genE3ELNS1_11target_archE908ELNS1_3gpuE7ELNS1_3repE0EEENS1_30default_config_static_selectorELNS0_4arch9wavefront6targetE1EEEvSP_: ; @_ZN7rocprim17ROCPRIM_400000_NS6detail17trampoline_kernelINS0_14default_configENS1_21merge_config_selectorItNS0_10empty_typeEEEZNS1_10merge_implIS3_N6thrust23THRUST_200600_302600_NS6detail15normal_iteratorINS9_10device_ptrIKtEEEESF_NSB_INSC_ItEEEEPS5_SI_SI_NS9_7greaterItEEEE10hipError_tPvRmT0_T1_T2_T3_T4_T5_mmT6_P12ihipStream_tbEUlT_E_NS1_11comp_targetILNS1_3genE3ELNS1_11target_archE908ELNS1_3gpuE7ELNS1_3repE0EEENS1_30default_config_static_selectorELNS0_4arch9wavefront6targetE1EEEvSP_
; %bb.0:
	.section	.rodata,"a",@progbits
	.p2align	6, 0x0
	.amdhsa_kernel _ZN7rocprim17ROCPRIM_400000_NS6detail17trampoline_kernelINS0_14default_configENS1_21merge_config_selectorItNS0_10empty_typeEEEZNS1_10merge_implIS3_N6thrust23THRUST_200600_302600_NS6detail15normal_iteratorINS9_10device_ptrIKtEEEESF_NSB_INSC_ItEEEEPS5_SI_SI_NS9_7greaterItEEEE10hipError_tPvRmT0_T1_T2_T3_T4_T5_mmT6_P12ihipStream_tbEUlT_E_NS1_11comp_targetILNS1_3genE3ELNS1_11target_archE908ELNS1_3gpuE7ELNS1_3repE0EEENS1_30default_config_static_selectorELNS0_4arch9wavefront6targetE1EEEvSP_
		.amdhsa_group_segment_fixed_size 0
		.amdhsa_private_segment_fixed_size 0
		.amdhsa_kernarg_size 48
		.amdhsa_user_sgpr_count 6
		.amdhsa_user_sgpr_private_segment_buffer 1
		.amdhsa_user_sgpr_dispatch_ptr 0
		.amdhsa_user_sgpr_queue_ptr 0
		.amdhsa_user_sgpr_kernarg_segment_ptr 1
		.amdhsa_user_sgpr_dispatch_id 0
		.amdhsa_user_sgpr_flat_scratch_init 0
		.amdhsa_user_sgpr_kernarg_preload_length 0
		.amdhsa_user_sgpr_kernarg_preload_offset 0
		.amdhsa_user_sgpr_private_segment_size 0
		.amdhsa_uses_dynamic_stack 0
		.amdhsa_system_sgpr_private_segment_wavefront_offset 0
		.amdhsa_system_sgpr_workgroup_id_x 1
		.amdhsa_system_sgpr_workgroup_id_y 0
		.amdhsa_system_sgpr_workgroup_id_z 0
		.amdhsa_system_sgpr_workgroup_info 0
		.amdhsa_system_vgpr_workitem_id 0
		.amdhsa_next_free_vgpr 1
		.amdhsa_next_free_sgpr 0
		.amdhsa_accum_offset 4
		.amdhsa_reserve_vcc 0
		.amdhsa_reserve_flat_scratch 0
		.amdhsa_float_round_mode_32 0
		.amdhsa_float_round_mode_16_64 0
		.amdhsa_float_denorm_mode_32 3
		.amdhsa_float_denorm_mode_16_64 3
		.amdhsa_dx10_clamp 1
		.amdhsa_ieee_mode 1
		.amdhsa_fp16_overflow 0
		.amdhsa_tg_split 0
		.amdhsa_exception_fp_ieee_invalid_op 0
		.amdhsa_exception_fp_denorm_src 0
		.amdhsa_exception_fp_ieee_div_zero 0
		.amdhsa_exception_fp_ieee_overflow 0
		.amdhsa_exception_fp_ieee_underflow 0
		.amdhsa_exception_fp_ieee_inexact 0
		.amdhsa_exception_int_div_zero 0
	.end_amdhsa_kernel
	.section	.text._ZN7rocprim17ROCPRIM_400000_NS6detail17trampoline_kernelINS0_14default_configENS1_21merge_config_selectorItNS0_10empty_typeEEEZNS1_10merge_implIS3_N6thrust23THRUST_200600_302600_NS6detail15normal_iteratorINS9_10device_ptrIKtEEEESF_NSB_INSC_ItEEEEPS5_SI_SI_NS9_7greaterItEEEE10hipError_tPvRmT0_T1_T2_T3_T4_T5_mmT6_P12ihipStream_tbEUlT_E_NS1_11comp_targetILNS1_3genE3ELNS1_11target_archE908ELNS1_3gpuE7ELNS1_3repE0EEENS1_30default_config_static_selectorELNS0_4arch9wavefront6targetE1EEEvSP_,"axG",@progbits,_ZN7rocprim17ROCPRIM_400000_NS6detail17trampoline_kernelINS0_14default_configENS1_21merge_config_selectorItNS0_10empty_typeEEEZNS1_10merge_implIS3_N6thrust23THRUST_200600_302600_NS6detail15normal_iteratorINS9_10device_ptrIKtEEEESF_NSB_INSC_ItEEEEPS5_SI_SI_NS9_7greaterItEEEE10hipError_tPvRmT0_T1_T2_T3_T4_T5_mmT6_P12ihipStream_tbEUlT_E_NS1_11comp_targetILNS1_3genE3ELNS1_11target_archE908ELNS1_3gpuE7ELNS1_3repE0EEENS1_30default_config_static_selectorELNS0_4arch9wavefront6targetE1EEEvSP_,comdat
.Lfunc_end536:
	.size	_ZN7rocprim17ROCPRIM_400000_NS6detail17trampoline_kernelINS0_14default_configENS1_21merge_config_selectorItNS0_10empty_typeEEEZNS1_10merge_implIS3_N6thrust23THRUST_200600_302600_NS6detail15normal_iteratorINS9_10device_ptrIKtEEEESF_NSB_INSC_ItEEEEPS5_SI_SI_NS9_7greaterItEEEE10hipError_tPvRmT0_T1_T2_T3_T4_T5_mmT6_P12ihipStream_tbEUlT_E_NS1_11comp_targetILNS1_3genE3ELNS1_11target_archE908ELNS1_3gpuE7ELNS1_3repE0EEENS1_30default_config_static_selectorELNS0_4arch9wavefront6targetE1EEEvSP_, .Lfunc_end536-_ZN7rocprim17ROCPRIM_400000_NS6detail17trampoline_kernelINS0_14default_configENS1_21merge_config_selectorItNS0_10empty_typeEEEZNS1_10merge_implIS3_N6thrust23THRUST_200600_302600_NS6detail15normal_iteratorINS9_10device_ptrIKtEEEESF_NSB_INSC_ItEEEEPS5_SI_SI_NS9_7greaterItEEEE10hipError_tPvRmT0_T1_T2_T3_T4_T5_mmT6_P12ihipStream_tbEUlT_E_NS1_11comp_targetILNS1_3genE3ELNS1_11target_archE908ELNS1_3gpuE7ELNS1_3repE0EEENS1_30default_config_static_selectorELNS0_4arch9wavefront6targetE1EEEvSP_
                                        ; -- End function
	.section	.AMDGPU.csdata,"",@progbits
; Kernel info:
; codeLenInByte = 0
; NumSgprs: 4
; NumVgprs: 0
; NumAgprs: 0
; TotalNumVgprs: 0
; ScratchSize: 0
; MemoryBound: 0
; FloatMode: 240
; IeeeMode: 1
; LDSByteSize: 0 bytes/workgroup (compile time only)
; SGPRBlocks: 0
; VGPRBlocks: 0
; NumSGPRsForWavesPerEU: 4
; NumVGPRsForWavesPerEU: 1
; AccumOffset: 4
; Occupancy: 8
; WaveLimiterHint : 0
; COMPUTE_PGM_RSRC2:SCRATCH_EN: 0
; COMPUTE_PGM_RSRC2:USER_SGPR: 6
; COMPUTE_PGM_RSRC2:TRAP_HANDLER: 0
; COMPUTE_PGM_RSRC2:TGID_X_EN: 1
; COMPUTE_PGM_RSRC2:TGID_Y_EN: 0
; COMPUTE_PGM_RSRC2:TGID_Z_EN: 0
; COMPUTE_PGM_RSRC2:TIDIG_COMP_CNT: 0
; COMPUTE_PGM_RSRC3_GFX90A:ACCUM_OFFSET: 0
; COMPUTE_PGM_RSRC3_GFX90A:TG_SPLIT: 0
	.section	.text._ZN7rocprim17ROCPRIM_400000_NS6detail17trampoline_kernelINS0_14default_configENS1_21merge_config_selectorItNS0_10empty_typeEEEZNS1_10merge_implIS3_N6thrust23THRUST_200600_302600_NS6detail15normal_iteratorINS9_10device_ptrIKtEEEESF_NSB_INSC_ItEEEEPS5_SI_SI_NS9_7greaterItEEEE10hipError_tPvRmT0_T1_T2_T3_T4_T5_mmT6_P12ihipStream_tbEUlT_E_NS1_11comp_targetILNS1_3genE2ELNS1_11target_archE906ELNS1_3gpuE6ELNS1_3repE0EEENS1_30default_config_static_selectorELNS0_4arch9wavefront6targetE1EEEvSP_,"axG",@progbits,_ZN7rocprim17ROCPRIM_400000_NS6detail17trampoline_kernelINS0_14default_configENS1_21merge_config_selectorItNS0_10empty_typeEEEZNS1_10merge_implIS3_N6thrust23THRUST_200600_302600_NS6detail15normal_iteratorINS9_10device_ptrIKtEEEESF_NSB_INSC_ItEEEEPS5_SI_SI_NS9_7greaterItEEEE10hipError_tPvRmT0_T1_T2_T3_T4_T5_mmT6_P12ihipStream_tbEUlT_E_NS1_11comp_targetILNS1_3genE2ELNS1_11target_archE906ELNS1_3gpuE6ELNS1_3repE0EEENS1_30default_config_static_selectorELNS0_4arch9wavefront6targetE1EEEvSP_,comdat
	.protected	_ZN7rocprim17ROCPRIM_400000_NS6detail17trampoline_kernelINS0_14default_configENS1_21merge_config_selectorItNS0_10empty_typeEEEZNS1_10merge_implIS3_N6thrust23THRUST_200600_302600_NS6detail15normal_iteratorINS9_10device_ptrIKtEEEESF_NSB_INSC_ItEEEEPS5_SI_SI_NS9_7greaterItEEEE10hipError_tPvRmT0_T1_T2_T3_T4_T5_mmT6_P12ihipStream_tbEUlT_E_NS1_11comp_targetILNS1_3genE2ELNS1_11target_archE906ELNS1_3gpuE6ELNS1_3repE0EEENS1_30default_config_static_selectorELNS0_4arch9wavefront6targetE1EEEvSP_ ; -- Begin function _ZN7rocprim17ROCPRIM_400000_NS6detail17trampoline_kernelINS0_14default_configENS1_21merge_config_selectorItNS0_10empty_typeEEEZNS1_10merge_implIS3_N6thrust23THRUST_200600_302600_NS6detail15normal_iteratorINS9_10device_ptrIKtEEEESF_NSB_INSC_ItEEEEPS5_SI_SI_NS9_7greaterItEEEE10hipError_tPvRmT0_T1_T2_T3_T4_T5_mmT6_P12ihipStream_tbEUlT_E_NS1_11comp_targetILNS1_3genE2ELNS1_11target_archE906ELNS1_3gpuE6ELNS1_3repE0EEENS1_30default_config_static_selectorELNS0_4arch9wavefront6targetE1EEEvSP_
	.globl	_ZN7rocprim17ROCPRIM_400000_NS6detail17trampoline_kernelINS0_14default_configENS1_21merge_config_selectorItNS0_10empty_typeEEEZNS1_10merge_implIS3_N6thrust23THRUST_200600_302600_NS6detail15normal_iteratorINS9_10device_ptrIKtEEEESF_NSB_INSC_ItEEEEPS5_SI_SI_NS9_7greaterItEEEE10hipError_tPvRmT0_T1_T2_T3_T4_T5_mmT6_P12ihipStream_tbEUlT_E_NS1_11comp_targetILNS1_3genE2ELNS1_11target_archE906ELNS1_3gpuE6ELNS1_3repE0EEENS1_30default_config_static_selectorELNS0_4arch9wavefront6targetE1EEEvSP_
	.p2align	8
	.type	_ZN7rocprim17ROCPRIM_400000_NS6detail17trampoline_kernelINS0_14default_configENS1_21merge_config_selectorItNS0_10empty_typeEEEZNS1_10merge_implIS3_N6thrust23THRUST_200600_302600_NS6detail15normal_iteratorINS9_10device_ptrIKtEEEESF_NSB_INSC_ItEEEEPS5_SI_SI_NS9_7greaterItEEEE10hipError_tPvRmT0_T1_T2_T3_T4_T5_mmT6_P12ihipStream_tbEUlT_E_NS1_11comp_targetILNS1_3genE2ELNS1_11target_archE906ELNS1_3gpuE6ELNS1_3repE0EEENS1_30default_config_static_selectorELNS0_4arch9wavefront6targetE1EEEvSP_,@function
_ZN7rocprim17ROCPRIM_400000_NS6detail17trampoline_kernelINS0_14default_configENS1_21merge_config_selectorItNS0_10empty_typeEEEZNS1_10merge_implIS3_N6thrust23THRUST_200600_302600_NS6detail15normal_iteratorINS9_10device_ptrIKtEEEESF_NSB_INSC_ItEEEEPS5_SI_SI_NS9_7greaterItEEEE10hipError_tPvRmT0_T1_T2_T3_T4_T5_mmT6_P12ihipStream_tbEUlT_E_NS1_11comp_targetILNS1_3genE2ELNS1_11target_archE906ELNS1_3gpuE6ELNS1_3repE0EEENS1_30default_config_static_selectorELNS0_4arch9wavefront6targetE1EEEvSP_: ; @_ZN7rocprim17ROCPRIM_400000_NS6detail17trampoline_kernelINS0_14default_configENS1_21merge_config_selectorItNS0_10empty_typeEEEZNS1_10merge_implIS3_N6thrust23THRUST_200600_302600_NS6detail15normal_iteratorINS9_10device_ptrIKtEEEESF_NSB_INSC_ItEEEEPS5_SI_SI_NS9_7greaterItEEEE10hipError_tPvRmT0_T1_T2_T3_T4_T5_mmT6_P12ihipStream_tbEUlT_E_NS1_11comp_targetILNS1_3genE2ELNS1_11target_archE906ELNS1_3gpuE6ELNS1_3repE0EEENS1_30default_config_static_selectorELNS0_4arch9wavefront6targetE1EEEvSP_
; %bb.0:
	.section	.rodata,"a",@progbits
	.p2align	6, 0x0
	.amdhsa_kernel _ZN7rocprim17ROCPRIM_400000_NS6detail17trampoline_kernelINS0_14default_configENS1_21merge_config_selectorItNS0_10empty_typeEEEZNS1_10merge_implIS3_N6thrust23THRUST_200600_302600_NS6detail15normal_iteratorINS9_10device_ptrIKtEEEESF_NSB_INSC_ItEEEEPS5_SI_SI_NS9_7greaterItEEEE10hipError_tPvRmT0_T1_T2_T3_T4_T5_mmT6_P12ihipStream_tbEUlT_E_NS1_11comp_targetILNS1_3genE2ELNS1_11target_archE906ELNS1_3gpuE6ELNS1_3repE0EEENS1_30default_config_static_selectorELNS0_4arch9wavefront6targetE1EEEvSP_
		.amdhsa_group_segment_fixed_size 0
		.amdhsa_private_segment_fixed_size 0
		.amdhsa_kernarg_size 48
		.amdhsa_user_sgpr_count 6
		.amdhsa_user_sgpr_private_segment_buffer 1
		.amdhsa_user_sgpr_dispatch_ptr 0
		.amdhsa_user_sgpr_queue_ptr 0
		.amdhsa_user_sgpr_kernarg_segment_ptr 1
		.amdhsa_user_sgpr_dispatch_id 0
		.amdhsa_user_sgpr_flat_scratch_init 0
		.amdhsa_user_sgpr_kernarg_preload_length 0
		.amdhsa_user_sgpr_kernarg_preload_offset 0
		.amdhsa_user_sgpr_private_segment_size 0
		.amdhsa_uses_dynamic_stack 0
		.amdhsa_system_sgpr_private_segment_wavefront_offset 0
		.amdhsa_system_sgpr_workgroup_id_x 1
		.amdhsa_system_sgpr_workgroup_id_y 0
		.amdhsa_system_sgpr_workgroup_id_z 0
		.amdhsa_system_sgpr_workgroup_info 0
		.amdhsa_system_vgpr_workitem_id 0
		.amdhsa_next_free_vgpr 1
		.amdhsa_next_free_sgpr 0
		.amdhsa_accum_offset 4
		.amdhsa_reserve_vcc 0
		.amdhsa_reserve_flat_scratch 0
		.amdhsa_float_round_mode_32 0
		.amdhsa_float_round_mode_16_64 0
		.amdhsa_float_denorm_mode_32 3
		.amdhsa_float_denorm_mode_16_64 3
		.amdhsa_dx10_clamp 1
		.amdhsa_ieee_mode 1
		.amdhsa_fp16_overflow 0
		.amdhsa_tg_split 0
		.amdhsa_exception_fp_ieee_invalid_op 0
		.amdhsa_exception_fp_denorm_src 0
		.amdhsa_exception_fp_ieee_div_zero 0
		.amdhsa_exception_fp_ieee_overflow 0
		.amdhsa_exception_fp_ieee_underflow 0
		.amdhsa_exception_fp_ieee_inexact 0
		.amdhsa_exception_int_div_zero 0
	.end_amdhsa_kernel
	.section	.text._ZN7rocprim17ROCPRIM_400000_NS6detail17trampoline_kernelINS0_14default_configENS1_21merge_config_selectorItNS0_10empty_typeEEEZNS1_10merge_implIS3_N6thrust23THRUST_200600_302600_NS6detail15normal_iteratorINS9_10device_ptrIKtEEEESF_NSB_INSC_ItEEEEPS5_SI_SI_NS9_7greaterItEEEE10hipError_tPvRmT0_T1_T2_T3_T4_T5_mmT6_P12ihipStream_tbEUlT_E_NS1_11comp_targetILNS1_3genE2ELNS1_11target_archE906ELNS1_3gpuE6ELNS1_3repE0EEENS1_30default_config_static_selectorELNS0_4arch9wavefront6targetE1EEEvSP_,"axG",@progbits,_ZN7rocprim17ROCPRIM_400000_NS6detail17trampoline_kernelINS0_14default_configENS1_21merge_config_selectorItNS0_10empty_typeEEEZNS1_10merge_implIS3_N6thrust23THRUST_200600_302600_NS6detail15normal_iteratorINS9_10device_ptrIKtEEEESF_NSB_INSC_ItEEEEPS5_SI_SI_NS9_7greaterItEEEE10hipError_tPvRmT0_T1_T2_T3_T4_T5_mmT6_P12ihipStream_tbEUlT_E_NS1_11comp_targetILNS1_3genE2ELNS1_11target_archE906ELNS1_3gpuE6ELNS1_3repE0EEENS1_30default_config_static_selectorELNS0_4arch9wavefront6targetE1EEEvSP_,comdat
.Lfunc_end537:
	.size	_ZN7rocprim17ROCPRIM_400000_NS6detail17trampoline_kernelINS0_14default_configENS1_21merge_config_selectorItNS0_10empty_typeEEEZNS1_10merge_implIS3_N6thrust23THRUST_200600_302600_NS6detail15normal_iteratorINS9_10device_ptrIKtEEEESF_NSB_INSC_ItEEEEPS5_SI_SI_NS9_7greaterItEEEE10hipError_tPvRmT0_T1_T2_T3_T4_T5_mmT6_P12ihipStream_tbEUlT_E_NS1_11comp_targetILNS1_3genE2ELNS1_11target_archE906ELNS1_3gpuE6ELNS1_3repE0EEENS1_30default_config_static_selectorELNS0_4arch9wavefront6targetE1EEEvSP_, .Lfunc_end537-_ZN7rocprim17ROCPRIM_400000_NS6detail17trampoline_kernelINS0_14default_configENS1_21merge_config_selectorItNS0_10empty_typeEEEZNS1_10merge_implIS3_N6thrust23THRUST_200600_302600_NS6detail15normal_iteratorINS9_10device_ptrIKtEEEESF_NSB_INSC_ItEEEEPS5_SI_SI_NS9_7greaterItEEEE10hipError_tPvRmT0_T1_T2_T3_T4_T5_mmT6_P12ihipStream_tbEUlT_E_NS1_11comp_targetILNS1_3genE2ELNS1_11target_archE906ELNS1_3gpuE6ELNS1_3repE0EEENS1_30default_config_static_selectorELNS0_4arch9wavefront6targetE1EEEvSP_
                                        ; -- End function
	.section	.AMDGPU.csdata,"",@progbits
; Kernel info:
; codeLenInByte = 0
; NumSgprs: 4
; NumVgprs: 0
; NumAgprs: 0
; TotalNumVgprs: 0
; ScratchSize: 0
; MemoryBound: 0
; FloatMode: 240
; IeeeMode: 1
; LDSByteSize: 0 bytes/workgroup (compile time only)
; SGPRBlocks: 0
; VGPRBlocks: 0
; NumSGPRsForWavesPerEU: 4
; NumVGPRsForWavesPerEU: 1
; AccumOffset: 4
; Occupancy: 8
; WaveLimiterHint : 0
; COMPUTE_PGM_RSRC2:SCRATCH_EN: 0
; COMPUTE_PGM_RSRC2:USER_SGPR: 6
; COMPUTE_PGM_RSRC2:TRAP_HANDLER: 0
; COMPUTE_PGM_RSRC2:TGID_X_EN: 1
; COMPUTE_PGM_RSRC2:TGID_Y_EN: 0
; COMPUTE_PGM_RSRC2:TGID_Z_EN: 0
; COMPUTE_PGM_RSRC2:TIDIG_COMP_CNT: 0
; COMPUTE_PGM_RSRC3_GFX90A:ACCUM_OFFSET: 0
; COMPUTE_PGM_RSRC3_GFX90A:TG_SPLIT: 0
	.section	.text._ZN7rocprim17ROCPRIM_400000_NS6detail17trampoline_kernelINS0_14default_configENS1_21merge_config_selectorItNS0_10empty_typeEEEZNS1_10merge_implIS3_N6thrust23THRUST_200600_302600_NS6detail15normal_iteratorINS9_10device_ptrIKtEEEESF_NSB_INSC_ItEEEEPS5_SI_SI_NS9_7greaterItEEEE10hipError_tPvRmT0_T1_T2_T3_T4_T5_mmT6_P12ihipStream_tbEUlT_E_NS1_11comp_targetILNS1_3genE10ELNS1_11target_archE1201ELNS1_3gpuE5ELNS1_3repE0EEENS1_30default_config_static_selectorELNS0_4arch9wavefront6targetE1EEEvSP_,"axG",@progbits,_ZN7rocprim17ROCPRIM_400000_NS6detail17trampoline_kernelINS0_14default_configENS1_21merge_config_selectorItNS0_10empty_typeEEEZNS1_10merge_implIS3_N6thrust23THRUST_200600_302600_NS6detail15normal_iteratorINS9_10device_ptrIKtEEEESF_NSB_INSC_ItEEEEPS5_SI_SI_NS9_7greaterItEEEE10hipError_tPvRmT0_T1_T2_T3_T4_T5_mmT6_P12ihipStream_tbEUlT_E_NS1_11comp_targetILNS1_3genE10ELNS1_11target_archE1201ELNS1_3gpuE5ELNS1_3repE0EEENS1_30default_config_static_selectorELNS0_4arch9wavefront6targetE1EEEvSP_,comdat
	.protected	_ZN7rocprim17ROCPRIM_400000_NS6detail17trampoline_kernelINS0_14default_configENS1_21merge_config_selectorItNS0_10empty_typeEEEZNS1_10merge_implIS3_N6thrust23THRUST_200600_302600_NS6detail15normal_iteratorINS9_10device_ptrIKtEEEESF_NSB_INSC_ItEEEEPS5_SI_SI_NS9_7greaterItEEEE10hipError_tPvRmT0_T1_T2_T3_T4_T5_mmT6_P12ihipStream_tbEUlT_E_NS1_11comp_targetILNS1_3genE10ELNS1_11target_archE1201ELNS1_3gpuE5ELNS1_3repE0EEENS1_30default_config_static_selectorELNS0_4arch9wavefront6targetE1EEEvSP_ ; -- Begin function _ZN7rocprim17ROCPRIM_400000_NS6detail17trampoline_kernelINS0_14default_configENS1_21merge_config_selectorItNS0_10empty_typeEEEZNS1_10merge_implIS3_N6thrust23THRUST_200600_302600_NS6detail15normal_iteratorINS9_10device_ptrIKtEEEESF_NSB_INSC_ItEEEEPS5_SI_SI_NS9_7greaterItEEEE10hipError_tPvRmT0_T1_T2_T3_T4_T5_mmT6_P12ihipStream_tbEUlT_E_NS1_11comp_targetILNS1_3genE10ELNS1_11target_archE1201ELNS1_3gpuE5ELNS1_3repE0EEENS1_30default_config_static_selectorELNS0_4arch9wavefront6targetE1EEEvSP_
	.globl	_ZN7rocprim17ROCPRIM_400000_NS6detail17trampoline_kernelINS0_14default_configENS1_21merge_config_selectorItNS0_10empty_typeEEEZNS1_10merge_implIS3_N6thrust23THRUST_200600_302600_NS6detail15normal_iteratorINS9_10device_ptrIKtEEEESF_NSB_INSC_ItEEEEPS5_SI_SI_NS9_7greaterItEEEE10hipError_tPvRmT0_T1_T2_T3_T4_T5_mmT6_P12ihipStream_tbEUlT_E_NS1_11comp_targetILNS1_3genE10ELNS1_11target_archE1201ELNS1_3gpuE5ELNS1_3repE0EEENS1_30default_config_static_selectorELNS0_4arch9wavefront6targetE1EEEvSP_
	.p2align	8
	.type	_ZN7rocprim17ROCPRIM_400000_NS6detail17trampoline_kernelINS0_14default_configENS1_21merge_config_selectorItNS0_10empty_typeEEEZNS1_10merge_implIS3_N6thrust23THRUST_200600_302600_NS6detail15normal_iteratorINS9_10device_ptrIKtEEEESF_NSB_INSC_ItEEEEPS5_SI_SI_NS9_7greaterItEEEE10hipError_tPvRmT0_T1_T2_T3_T4_T5_mmT6_P12ihipStream_tbEUlT_E_NS1_11comp_targetILNS1_3genE10ELNS1_11target_archE1201ELNS1_3gpuE5ELNS1_3repE0EEENS1_30default_config_static_selectorELNS0_4arch9wavefront6targetE1EEEvSP_,@function
_ZN7rocprim17ROCPRIM_400000_NS6detail17trampoline_kernelINS0_14default_configENS1_21merge_config_selectorItNS0_10empty_typeEEEZNS1_10merge_implIS3_N6thrust23THRUST_200600_302600_NS6detail15normal_iteratorINS9_10device_ptrIKtEEEESF_NSB_INSC_ItEEEEPS5_SI_SI_NS9_7greaterItEEEE10hipError_tPvRmT0_T1_T2_T3_T4_T5_mmT6_P12ihipStream_tbEUlT_E_NS1_11comp_targetILNS1_3genE10ELNS1_11target_archE1201ELNS1_3gpuE5ELNS1_3repE0EEENS1_30default_config_static_selectorELNS0_4arch9wavefront6targetE1EEEvSP_: ; @_ZN7rocprim17ROCPRIM_400000_NS6detail17trampoline_kernelINS0_14default_configENS1_21merge_config_selectorItNS0_10empty_typeEEEZNS1_10merge_implIS3_N6thrust23THRUST_200600_302600_NS6detail15normal_iteratorINS9_10device_ptrIKtEEEESF_NSB_INSC_ItEEEEPS5_SI_SI_NS9_7greaterItEEEE10hipError_tPvRmT0_T1_T2_T3_T4_T5_mmT6_P12ihipStream_tbEUlT_E_NS1_11comp_targetILNS1_3genE10ELNS1_11target_archE1201ELNS1_3gpuE5ELNS1_3repE0EEENS1_30default_config_static_selectorELNS0_4arch9wavefront6targetE1EEEvSP_
; %bb.0:
	.section	.rodata,"a",@progbits
	.p2align	6, 0x0
	.amdhsa_kernel _ZN7rocprim17ROCPRIM_400000_NS6detail17trampoline_kernelINS0_14default_configENS1_21merge_config_selectorItNS0_10empty_typeEEEZNS1_10merge_implIS3_N6thrust23THRUST_200600_302600_NS6detail15normal_iteratorINS9_10device_ptrIKtEEEESF_NSB_INSC_ItEEEEPS5_SI_SI_NS9_7greaterItEEEE10hipError_tPvRmT0_T1_T2_T3_T4_T5_mmT6_P12ihipStream_tbEUlT_E_NS1_11comp_targetILNS1_3genE10ELNS1_11target_archE1201ELNS1_3gpuE5ELNS1_3repE0EEENS1_30default_config_static_selectorELNS0_4arch9wavefront6targetE1EEEvSP_
		.amdhsa_group_segment_fixed_size 0
		.amdhsa_private_segment_fixed_size 0
		.amdhsa_kernarg_size 48
		.amdhsa_user_sgpr_count 6
		.amdhsa_user_sgpr_private_segment_buffer 1
		.amdhsa_user_sgpr_dispatch_ptr 0
		.amdhsa_user_sgpr_queue_ptr 0
		.amdhsa_user_sgpr_kernarg_segment_ptr 1
		.amdhsa_user_sgpr_dispatch_id 0
		.amdhsa_user_sgpr_flat_scratch_init 0
		.amdhsa_user_sgpr_kernarg_preload_length 0
		.amdhsa_user_sgpr_kernarg_preload_offset 0
		.amdhsa_user_sgpr_private_segment_size 0
		.amdhsa_uses_dynamic_stack 0
		.amdhsa_system_sgpr_private_segment_wavefront_offset 0
		.amdhsa_system_sgpr_workgroup_id_x 1
		.amdhsa_system_sgpr_workgroup_id_y 0
		.amdhsa_system_sgpr_workgroup_id_z 0
		.amdhsa_system_sgpr_workgroup_info 0
		.amdhsa_system_vgpr_workitem_id 0
		.amdhsa_next_free_vgpr 1
		.amdhsa_next_free_sgpr 0
		.amdhsa_accum_offset 4
		.amdhsa_reserve_vcc 0
		.amdhsa_reserve_flat_scratch 0
		.amdhsa_float_round_mode_32 0
		.amdhsa_float_round_mode_16_64 0
		.amdhsa_float_denorm_mode_32 3
		.amdhsa_float_denorm_mode_16_64 3
		.amdhsa_dx10_clamp 1
		.amdhsa_ieee_mode 1
		.amdhsa_fp16_overflow 0
		.amdhsa_tg_split 0
		.amdhsa_exception_fp_ieee_invalid_op 0
		.amdhsa_exception_fp_denorm_src 0
		.amdhsa_exception_fp_ieee_div_zero 0
		.amdhsa_exception_fp_ieee_overflow 0
		.amdhsa_exception_fp_ieee_underflow 0
		.amdhsa_exception_fp_ieee_inexact 0
		.amdhsa_exception_int_div_zero 0
	.end_amdhsa_kernel
	.section	.text._ZN7rocprim17ROCPRIM_400000_NS6detail17trampoline_kernelINS0_14default_configENS1_21merge_config_selectorItNS0_10empty_typeEEEZNS1_10merge_implIS3_N6thrust23THRUST_200600_302600_NS6detail15normal_iteratorINS9_10device_ptrIKtEEEESF_NSB_INSC_ItEEEEPS5_SI_SI_NS9_7greaterItEEEE10hipError_tPvRmT0_T1_T2_T3_T4_T5_mmT6_P12ihipStream_tbEUlT_E_NS1_11comp_targetILNS1_3genE10ELNS1_11target_archE1201ELNS1_3gpuE5ELNS1_3repE0EEENS1_30default_config_static_selectorELNS0_4arch9wavefront6targetE1EEEvSP_,"axG",@progbits,_ZN7rocprim17ROCPRIM_400000_NS6detail17trampoline_kernelINS0_14default_configENS1_21merge_config_selectorItNS0_10empty_typeEEEZNS1_10merge_implIS3_N6thrust23THRUST_200600_302600_NS6detail15normal_iteratorINS9_10device_ptrIKtEEEESF_NSB_INSC_ItEEEEPS5_SI_SI_NS9_7greaterItEEEE10hipError_tPvRmT0_T1_T2_T3_T4_T5_mmT6_P12ihipStream_tbEUlT_E_NS1_11comp_targetILNS1_3genE10ELNS1_11target_archE1201ELNS1_3gpuE5ELNS1_3repE0EEENS1_30default_config_static_selectorELNS0_4arch9wavefront6targetE1EEEvSP_,comdat
.Lfunc_end538:
	.size	_ZN7rocprim17ROCPRIM_400000_NS6detail17trampoline_kernelINS0_14default_configENS1_21merge_config_selectorItNS0_10empty_typeEEEZNS1_10merge_implIS3_N6thrust23THRUST_200600_302600_NS6detail15normal_iteratorINS9_10device_ptrIKtEEEESF_NSB_INSC_ItEEEEPS5_SI_SI_NS9_7greaterItEEEE10hipError_tPvRmT0_T1_T2_T3_T4_T5_mmT6_P12ihipStream_tbEUlT_E_NS1_11comp_targetILNS1_3genE10ELNS1_11target_archE1201ELNS1_3gpuE5ELNS1_3repE0EEENS1_30default_config_static_selectorELNS0_4arch9wavefront6targetE1EEEvSP_, .Lfunc_end538-_ZN7rocprim17ROCPRIM_400000_NS6detail17trampoline_kernelINS0_14default_configENS1_21merge_config_selectorItNS0_10empty_typeEEEZNS1_10merge_implIS3_N6thrust23THRUST_200600_302600_NS6detail15normal_iteratorINS9_10device_ptrIKtEEEESF_NSB_INSC_ItEEEEPS5_SI_SI_NS9_7greaterItEEEE10hipError_tPvRmT0_T1_T2_T3_T4_T5_mmT6_P12ihipStream_tbEUlT_E_NS1_11comp_targetILNS1_3genE10ELNS1_11target_archE1201ELNS1_3gpuE5ELNS1_3repE0EEENS1_30default_config_static_selectorELNS0_4arch9wavefront6targetE1EEEvSP_
                                        ; -- End function
	.section	.AMDGPU.csdata,"",@progbits
; Kernel info:
; codeLenInByte = 0
; NumSgprs: 4
; NumVgprs: 0
; NumAgprs: 0
; TotalNumVgprs: 0
; ScratchSize: 0
; MemoryBound: 0
; FloatMode: 240
; IeeeMode: 1
; LDSByteSize: 0 bytes/workgroup (compile time only)
; SGPRBlocks: 0
; VGPRBlocks: 0
; NumSGPRsForWavesPerEU: 4
; NumVGPRsForWavesPerEU: 1
; AccumOffset: 4
; Occupancy: 8
; WaveLimiterHint : 0
; COMPUTE_PGM_RSRC2:SCRATCH_EN: 0
; COMPUTE_PGM_RSRC2:USER_SGPR: 6
; COMPUTE_PGM_RSRC2:TRAP_HANDLER: 0
; COMPUTE_PGM_RSRC2:TGID_X_EN: 1
; COMPUTE_PGM_RSRC2:TGID_Y_EN: 0
; COMPUTE_PGM_RSRC2:TGID_Z_EN: 0
; COMPUTE_PGM_RSRC2:TIDIG_COMP_CNT: 0
; COMPUTE_PGM_RSRC3_GFX90A:ACCUM_OFFSET: 0
; COMPUTE_PGM_RSRC3_GFX90A:TG_SPLIT: 0
	.section	.text._ZN7rocprim17ROCPRIM_400000_NS6detail17trampoline_kernelINS0_14default_configENS1_21merge_config_selectorItNS0_10empty_typeEEEZNS1_10merge_implIS3_N6thrust23THRUST_200600_302600_NS6detail15normal_iteratorINS9_10device_ptrIKtEEEESF_NSB_INSC_ItEEEEPS5_SI_SI_NS9_7greaterItEEEE10hipError_tPvRmT0_T1_T2_T3_T4_T5_mmT6_P12ihipStream_tbEUlT_E_NS1_11comp_targetILNS1_3genE10ELNS1_11target_archE1200ELNS1_3gpuE4ELNS1_3repE0EEENS1_30default_config_static_selectorELNS0_4arch9wavefront6targetE1EEEvSP_,"axG",@progbits,_ZN7rocprim17ROCPRIM_400000_NS6detail17trampoline_kernelINS0_14default_configENS1_21merge_config_selectorItNS0_10empty_typeEEEZNS1_10merge_implIS3_N6thrust23THRUST_200600_302600_NS6detail15normal_iteratorINS9_10device_ptrIKtEEEESF_NSB_INSC_ItEEEEPS5_SI_SI_NS9_7greaterItEEEE10hipError_tPvRmT0_T1_T2_T3_T4_T5_mmT6_P12ihipStream_tbEUlT_E_NS1_11comp_targetILNS1_3genE10ELNS1_11target_archE1200ELNS1_3gpuE4ELNS1_3repE0EEENS1_30default_config_static_selectorELNS0_4arch9wavefront6targetE1EEEvSP_,comdat
	.protected	_ZN7rocprim17ROCPRIM_400000_NS6detail17trampoline_kernelINS0_14default_configENS1_21merge_config_selectorItNS0_10empty_typeEEEZNS1_10merge_implIS3_N6thrust23THRUST_200600_302600_NS6detail15normal_iteratorINS9_10device_ptrIKtEEEESF_NSB_INSC_ItEEEEPS5_SI_SI_NS9_7greaterItEEEE10hipError_tPvRmT0_T1_T2_T3_T4_T5_mmT6_P12ihipStream_tbEUlT_E_NS1_11comp_targetILNS1_3genE10ELNS1_11target_archE1200ELNS1_3gpuE4ELNS1_3repE0EEENS1_30default_config_static_selectorELNS0_4arch9wavefront6targetE1EEEvSP_ ; -- Begin function _ZN7rocprim17ROCPRIM_400000_NS6detail17trampoline_kernelINS0_14default_configENS1_21merge_config_selectorItNS0_10empty_typeEEEZNS1_10merge_implIS3_N6thrust23THRUST_200600_302600_NS6detail15normal_iteratorINS9_10device_ptrIKtEEEESF_NSB_INSC_ItEEEEPS5_SI_SI_NS9_7greaterItEEEE10hipError_tPvRmT0_T1_T2_T3_T4_T5_mmT6_P12ihipStream_tbEUlT_E_NS1_11comp_targetILNS1_3genE10ELNS1_11target_archE1200ELNS1_3gpuE4ELNS1_3repE0EEENS1_30default_config_static_selectorELNS0_4arch9wavefront6targetE1EEEvSP_
	.globl	_ZN7rocprim17ROCPRIM_400000_NS6detail17trampoline_kernelINS0_14default_configENS1_21merge_config_selectorItNS0_10empty_typeEEEZNS1_10merge_implIS3_N6thrust23THRUST_200600_302600_NS6detail15normal_iteratorINS9_10device_ptrIKtEEEESF_NSB_INSC_ItEEEEPS5_SI_SI_NS9_7greaterItEEEE10hipError_tPvRmT0_T1_T2_T3_T4_T5_mmT6_P12ihipStream_tbEUlT_E_NS1_11comp_targetILNS1_3genE10ELNS1_11target_archE1200ELNS1_3gpuE4ELNS1_3repE0EEENS1_30default_config_static_selectorELNS0_4arch9wavefront6targetE1EEEvSP_
	.p2align	8
	.type	_ZN7rocprim17ROCPRIM_400000_NS6detail17trampoline_kernelINS0_14default_configENS1_21merge_config_selectorItNS0_10empty_typeEEEZNS1_10merge_implIS3_N6thrust23THRUST_200600_302600_NS6detail15normal_iteratorINS9_10device_ptrIKtEEEESF_NSB_INSC_ItEEEEPS5_SI_SI_NS9_7greaterItEEEE10hipError_tPvRmT0_T1_T2_T3_T4_T5_mmT6_P12ihipStream_tbEUlT_E_NS1_11comp_targetILNS1_3genE10ELNS1_11target_archE1200ELNS1_3gpuE4ELNS1_3repE0EEENS1_30default_config_static_selectorELNS0_4arch9wavefront6targetE1EEEvSP_,@function
_ZN7rocprim17ROCPRIM_400000_NS6detail17trampoline_kernelINS0_14default_configENS1_21merge_config_selectorItNS0_10empty_typeEEEZNS1_10merge_implIS3_N6thrust23THRUST_200600_302600_NS6detail15normal_iteratorINS9_10device_ptrIKtEEEESF_NSB_INSC_ItEEEEPS5_SI_SI_NS9_7greaterItEEEE10hipError_tPvRmT0_T1_T2_T3_T4_T5_mmT6_P12ihipStream_tbEUlT_E_NS1_11comp_targetILNS1_3genE10ELNS1_11target_archE1200ELNS1_3gpuE4ELNS1_3repE0EEENS1_30default_config_static_selectorELNS0_4arch9wavefront6targetE1EEEvSP_: ; @_ZN7rocprim17ROCPRIM_400000_NS6detail17trampoline_kernelINS0_14default_configENS1_21merge_config_selectorItNS0_10empty_typeEEEZNS1_10merge_implIS3_N6thrust23THRUST_200600_302600_NS6detail15normal_iteratorINS9_10device_ptrIKtEEEESF_NSB_INSC_ItEEEEPS5_SI_SI_NS9_7greaterItEEEE10hipError_tPvRmT0_T1_T2_T3_T4_T5_mmT6_P12ihipStream_tbEUlT_E_NS1_11comp_targetILNS1_3genE10ELNS1_11target_archE1200ELNS1_3gpuE4ELNS1_3repE0EEENS1_30default_config_static_selectorELNS0_4arch9wavefront6targetE1EEEvSP_
; %bb.0:
	.section	.rodata,"a",@progbits
	.p2align	6, 0x0
	.amdhsa_kernel _ZN7rocprim17ROCPRIM_400000_NS6detail17trampoline_kernelINS0_14default_configENS1_21merge_config_selectorItNS0_10empty_typeEEEZNS1_10merge_implIS3_N6thrust23THRUST_200600_302600_NS6detail15normal_iteratorINS9_10device_ptrIKtEEEESF_NSB_INSC_ItEEEEPS5_SI_SI_NS9_7greaterItEEEE10hipError_tPvRmT0_T1_T2_T3_T4_T5_mmT6_P12ihipStream_tbEUlT_E_NS1_11comp_targetILNS1_3genE10ELNS1_11target_archE1200ELNS1_3gpuE4ELNS1_3repE0EEENS1_30default_config_static_selectorELNS0_4arch9wavefront6targetE1EEEvSP_
		.amdhsa_group_segment_fixed_size 0
		.amdhsa_private_segment_fixed_size 0
		.amdhsa_kernarg_size 48
		.amdhsa_user_sgpr_count 6
		.amdhsa_user_sgpr_private_segment_buffer 1
		.amdhsa_user_sgpr_dispatch_ptr 0
		.amdhsa_user_sgpr_queue_ptr 0
		.amdhsa_user_sgpr_kernarg_segment_ptr 1
		.amdhsa_user_sgpr_dispatch_id 0
		.amdhsa_user_sgpr_flat_scratch_init 0
		.amdhsa_user_sgpr_kernarg_preload_length 0
		.amdhsa_user_sgpr_kernarg_preload_offset 0
		.amdhsa_user_sgpr_private_segment_size 0
		.amdhsa_uses_dynamic_stack 0
		.amdhsa_system_sgpr_private_segment_wavefront_offset 0
		.amdhsa_system_sgpr_workgroup_id_x 1
		.amdhsa_system_sgpr_workgroup_id_y 0
		.amdhsa_system_sgpr_workgroup_id_z 0
		.amdhsa_system_sgpr_workgroup_info 0
		.amdhsa_system_vgpr_workitem_id 0
		.amdhsa_next_free_vgpr 1
		.amdhsa_next_free_sgpr 0
		.amdhsa_accum_offset 4
		.amdhsa_reserve_vcc 0
		.amdhsa_reserve_flat_scratch 0
		.amdhsa_float_round_mode_32 0
		.amdhsa_float_round_mode_16_64 0
		.amdhsa_float_denorm_mode_32 3
		.amdhsa_float_denorm_mode_16_64 3
		.amdhsa_dx10_clamp 1
		.amdhsa_ieee_mode 1
		.amdhsa_fp16_overflow 0
		.amdhsa_tg_split 0
		.amdhsa_exception_fp_ieee_invalid_op 0
		.amdhsa_exception_fp_denorm_src 0
		.amdhsa_exception_fp_ieee_div_zero 0
		.amdhsa_exception_fp_ieee_overflow 0
		.amdhsa_exception_fp_ieee_underflow 0
		.amdhsa_exception_fp_ieee_inexact 0
		.amdhsa_exception_int_div_zero 0
	.end_amdhsa_kernel
	.section	.text._ZN7rocprim17ROCPRIM_400000_NS6detail17trampoline_kernelINS0_14default_configENS1_21merge_config_selectorItNS0_10empty_typeEEEZNS1_10merge_implIS3_N6thrust23THRUST_200600_302600_NS6detail15normal_iteratorINS9_10device_ptrIKtEEEESF_NSB_INSC_ItEEEEPS5_SI_SI_NS9_7greaterItEEEE10hipError_tPvRmT0_T1_T2_T3_T4_T5_mmT6_P12ihipStream_tbEUlT_E_NS1_11comp_targetILNS1_3genE10ELNS1_11target_archE1200ELNS1_3gpuE4ELNS1_3repE0EEENS1_30default_config_static_selectorELNS0_4arch9wavefront6targetE1EEEvSP_,"axG",@progbits,_ZN7rocprim17ROCPRIM_400000_NS6detail17trampoline_kernelINS0_14default_configENS1_21merge_config_selectorItNS0_10empty_typeEEEZNS1_10merge_implIS3_N6thrust23THRUST_200600_302600_NS6detail15normal_iteratorINS9_10device_ptrIKtEEEESF_NSB_INSC_ItEEEEPS5_SI_SI_NS9_7greaterItEEEE10hipError_tPvRmT0_T1_T2_T3_T4_T5_mmT6_P12ihipStream_tbEUlT_E_NS1_11comp_targetILNS1_3genE10ELNS1_11target_archE1200ELNS1_3gpuE4ELNS1_3repE0EEENS1_30default_config_static_selectorELNS0_4arch9wavefront6targetE1EEEvSP_,comdat
.Lfunc_end539:
	.size	_ZN7rocprim17ROCPRIM_400000_NS6detail17trampoline_kernelINS0_14default_configENS1_21merge_config_selectorItNS0_10empty_typeEEEZNS1_10merge_implIS3_N6thrust23THRUST_200600_302600_NS6detail15normal_iteratorINS9_10device_ptrIKtEEEESF_NSB_INSC_ItEEEEPS5_SI_SI_NS9_7greaterItEEEE10hipError_tPvRmT0_T1_T2_T3_T4_T5_mmT6_P12ihipStream_tbEUlT_E_NS1_11comp_targetILNS1_3genE10ELNS1_11target_archE1200ELNS1_3gpuE4ELNS1_3repE0EEENS1_30default_config_static_selectorELNS0_4arch9wavefront6targetE1EEEvSP_, .Lfunc_end539-_ZN7rocprim17ROCPRIM_400000_NS6detail17trampoline_kernelINS0_14default_configENS1_21merge_config_selectorItNS0_10empty_typeEEEZNS1_10merge_implIS3_N6thrust23THRUST_200600_302600_NS6detail15normal_iteratorINS9_10device_ptrIKtEEEESF_NSB_INSC_ItEEEEPS5_SI_SI_NS9_7greaterItEEEE10hipError_tPvRmT0_T1_T2_T3_T4_T5_mmT6_P12ihipStream_tbEUlT_E_NS1_11comp_targetILNS1_3genE10ELNS1_11target_archE1200ELNS1_3gpuE4ELNS1_3repE0EEENS1_30default_config_static_selectorELNS0_4arch9wavefront6targetE1EEEvSP_
                                        ; -- End function
	.section	.AMDGPU.csdata,"",@progbits
; Kernel info:
; codeLenInByte = 0
; NumSgprs: 4
; NumVgprs: 0
; NumAgprs: 0
; TotalNumVgprs: 0
; ScratchSize: 0
; MemoryBound: 0
; FloatMode: 240
; IeeeMode: 1
; LDSByteSize: 0 bytes/workgroup (compile time only)
; SGPRBlocks: 0
; VGPRBlocks: 0
; NumSGPRsForWavesPerEU: 4
; NumVGPRsForWavesPerEU: 1
; AccumOffset: 4
; Occupancy: 8
; WaveLimiterHint : 0
; COMPUTE_PGM_RSRC2:SCRATCH_EN: 0
; COMPUTE_PGM_RSRC2:USER_SGPR: 6
; COMPUTE_PGM_RSRC2:TRAP_HANDLER: 0
; COMPUTE_PGM_RSRC2:TGID_X_EN: 1
; COMPUTE_PGM_RSRC2:TGID_Y_EN: 0
; COMPUTE_PGM_RSRC2:TGID_Z_EN: 0
; COMPUTE_PGM_RSRC2:TIDIG_COMP_CNT: 0
; COMPUTE_PGM_RSRC3_GFX90A:ACCUM_OFFSET: 0
; COMPUTE_PGM_RSRC3_GFX90A:TG_SPLIT: 0
	.section	.text._ZN7rocprim17ROCPRIM_400000_NS6detail17trampoline_kernelINS0_14default_configENS1_21merge_config_selectorItNS0_10empty_typeEEEZNS1_10merge_implIS3_N6thrust23THRUST_200600_302600_NS6detail15normal_iteratorINS9_10device_ptrIKtEEEESF_NSB_INSC_ItEEEEPS5_SI_SI_NS9_7greaterItEEEE10hipError_tPvRmT0_T1_T2_T3_T4_T5_mmT6_P12ihipStream_tbEUlT_E_NS1_11comp_targetILNS1_3genE9ELNS1_11target_archE1100ELNS1_3gpuE3ELNS1_3repE0EEENS1_30default_config_static_selectorELNS0_4arch9wavefront6targetE1EEEvSP_,"axG",@progbits,_ZN7rocprim17ROCPRIM_400000_NS6detail17trampoline_kernelINS0_14default_configENS1_21merge_config_selectorItNS0_10empty_typeEEEZNS1_10merge_implIS3_N6thrust23THRUST_200600_302600_NS6detail15normal_iteratorINS9_10device_ptrIKtEEEESF_NSB_INSC_ItEEEEPS5_SI_SI_NS9_7greaterItEEEE10hipError_tPvRmT0_T1_T2_T3_T4_T5_mmT6_P12ihipStream_tbEUlT_E_NS1_11comp_targetILNS1_3genE9ELNS1_11target_archE1100ELNS1_3gpuE3ELNS1_3repE0EEENS1_30default_config_static_selectorELNS0_4arch9wavefront6targetE1EEEvSP_,comdat
	.protected	_ZN7rocprim17ROCPRIM_400000_NS6detail17trampoline_kernelINS0_14default_configENS1_21merge_config_selectorItNS0_10empty_typeEEEZNS1_10merge_implIS3_N6thrust23THRUST_200600_302600_NS6detail15normal_iteratorINS9_10device_ptrIKtEEEESF_NSB_INSC_ItEEEEPS5_SI_SI_NS9_7greaterItEEEE10hipError_tPvRmT0_T1_T2_T3_T4_T5_mmT6_P12ihipStream_tbEUlT_E_NS1_11comp_targetILNS1_3genE9ELNS1_11target_archE1100ELNS1_3gpuE3ELNS1_3repE0EEENS1_30default_config_static_selectorELNS0_4arch9wavefront6targetE1EEEvSP_ ; -- Begin function _ZN7rocprim17ROCPRIM_400000_NS6detail17trampoline_kernelINS0_14default_configENS1_21merge_config_selectorItNS0_10empty_typeEEEZNS1_10merge_implIS3_N6thrust23THRUST_200600_302600_NS6detail15normal_iteratorINS9_10device_ptrIKtEEEESF_NSB_INSC_ItEEEEPS5_SI_SI_NS9_7greaterItEEEE10hipError_tPvRmT0_T1_T2_T3_T4_T5_mmT6_P12ihipStream_tbEUlT_E_NS1_11comp_targetILNS1_3genE9ELNS1_11target_archE1100ELNS1_3gpuE3ELNS1_3repE0EEENS1_30default_config_static_selectorELNS0_4arch9wavefront6targetE1EEEvSP_
	.globl	_ZN7rocprim17ROCPRIM_400000_NS6detail17trampoline_kernelINS0_14default_configENS1_21merge_config_selectorItNS0_10empty_typeEEEZNS1_10merge_implIS3_N6thrust23THRUST_200600_302600_NS6detail15normal_iteratorINS9_10device_ptrIKtEEEESF_NSB_INSC_ItEEEEPS5_SI_SI_NS9_7greaterItEEEE10hipError_tPvRmT0_T1_T2_T3_T4_T5_mmT6_P12ihipStream_tbEUlT_E_NS1_11comp_targetILNS1_3genE9ELNS1_11target_archE1100ELNS1_3gpuE3ELNS1_3repE0EEENS1_30default_config_static_selectorELNS0_4arch9wavefront6targetE1EEEvSP_
	.p2align	8
	.type	_ZN7rocprim17ROCPRIM_400000_NS6detail17trampoline_kernelINS0_14default_configENS1_21merge_config_selectorItNS0_10empty_typeEEEZNS1_10merge_implIS3_N6thrust23THRUST_200600_302600_NS6detail15normal_iteratorINS9_10device_ptrIKtEEEESF_NSB_INSC_ItEEEEPS5_SI_SI_NS9_7greaterItEEEE10hipError_tPvRmT0_T1_T2_T3_T4_T5_mmT6_P12ihipStream_tbEUlT_E_NS1_11comp_targetILNS1_3genE9ELNS1_11target_archE1100ELNS1_3gpuE3ELNS1_3repE0EEENS1_30default_config_static_selectorELNS0_4arch9wavefront6targetE1EEEvSP_,@function
_ZN7rocprim17ROCPRIM_400000_NS6detail17trampoline_kernelINS0_14default_configENS1_21merge_config_selectorItNS0_10empty_typeEEEZNS1_10merge_implIS3_N6thrust23THRUST_200600_302600_NS6detail15normal_iteratorINS9_10device_ptrIKtEEEESF_NSB_INSC_ItEEEEPS5_SI_SI_NS9_7greaterItEEEE10hipError_tPvRmT0_T1_T2_T3_T4_T5_mmT6_P12ihipStream_tbEUlT_E_NS1_11comp_targetILNS1_3genE9ELNS1_11target_archE1100ELNS1_3gpuE3ELNS1_3repE0EEENS1_30default_config_static_selectorELNS0_4arch9wavefront6targetE1EEEvSP_: ; @_ZN7rocprim17ROCPRIM_400000_NS6detail17trampoline_kernelINS0_14default_configENS1_21merge_config_selectorItNS0_10empty_typeEEEZNS1_10merge_implIS3_N6thrust23THRUST_200600_302600_NS6detail15normal_iteratorINS9_10device_ptrIKtEEEESF_NSB_INSC_ItEEEEPS5_SI_SI_NS9_7greaterItEEEE10hipError_tPvRmT0_T1_T2_T3_T4_T5_mmT6_P12ihipStream_tbEUlT_E_NS1_11comp_targetILNS1_3genE9ELNS1_11target_archE1100ELNS1_3gpuE3ELNS1_3repE0EEENS1_30default_config_static_selectorELNS0_4arch9wavefront6targetE1EEEvSP_
; %bb.0:
	.section	.rodata,"a",@progbits
	.p2align	6, 0x0
	.amdhsa_kernel _ZN7rocprim17ROCPRIM_400000_NS6detail17trampoline_kernelINS0_14default_configENS1_21merge_config_selectorItNS0_10empty_typeEEEZNS1_10merge_implIS3_N6thrust23THRUST_200600_302600_NS6detail15normal_iteratorINS9_10device_ptrIKtEEEESF_NSB_INSC_ItEEEEPS5_SI_SI_NS9_7greaterItEEEE10hipError_tPvRmT0_T1_T2_T3_T4_T5_mmT6_P12ihipStream_tbEUlT_E_NS1_11comp_targetILNS1_3genE9ELNS1_11target_archE1100ELNS1_3gpuE3ELNS1_3repE0EEENS1_30default_config_static_selectorELNS0_4arch9wavefront6targetE1EEEvSP_
		.amdhsa_group_segment_fixed_size 0
		.amdhsa_private_segment_fixed_size 0
		.amdhsa_kernarg_size 48
		.amdhsa_user_sgpr_count 6
		.amdhsa_user_sgpr_private_segment_buffer 1
		.amdhsa_user_sgpr_dispatch_ptr 0
		.amdhsa_user_sgpr_queue_ptr 0
		.amdhsa_user_sgpr_kernarg_segment_ptr 1
		.amdhsa_user_sgpr_dispatch_id 0
		.amdhsa_user_sgpr_flat_scratch_init 0
		.amdhsa_user_sgpr_kernarg_preload_length 0
		.amdhsa_user_sgpr_kernarg_preload_offset 0
		.amdhsa_user_sgpr_private_segment_size 0
		.amdhsa_uses_dynamic_stack 0
		.amdhsa_system_sgpr_private_segment_wavefront_offset 0
		.amdhsa_system_sgpr_workgroup_id_x 1
		.amdhsa_system_sgpr_workgroup_id_y 0
		.amdhsa_system_sgpr_workgroup_id_z 0
		.amdhsa_system_sgpr_workgroup_info 0
		.amdhsa_system_vgpr_workitem_id 0
		.amdhsa_next_free_vgpr 1
		.amdhsa_next_free_sgpr 0
		.amdhsa_accum_offset 4
		.amdhsa_reserve_vcc 0
		.amdhsa_reserve_flat_scratch 0
		.amdhsa_float_round_mode_32 0
		.amdhsa_float_round_mode_16_64 0
		.amdhsa_float_denorm_mode_32 3
		.amdhsa_float_denorm_mode_16_64 3
		.amdhsa_dx10_clamp 1
		.amdhsa_ieee_mode 1
		.amdhsa_fp16_overflow 0
		.amdhsa_tg_split 0
		.amdhsa_exception_fp_ieee_invalid_op 0
		.amdhsa_exception_fp_denorm_src 0
		.amdhsa_exception_fp_ieee_div_zero 0
		.amdhsa_exception_fp_ieee_overflow 0
		.amdhsa_exception_fp_ieee_underflow 0
		.amdhsa_exception_fp_ieee_inexact 0
		.amdhsa_exception_int_div_zero 0
	.end_amdhsa_kernel
	.section	.text._ZN7rocprim17ROCPRIM_400000_NS6detail17trampoline_kernelINS0_14default_configENS1_21merge_config_selectorItNS0_10empty_typeEEEZNS1_10merge_implIS3_N6thrust23THRUST_200600_302600_NS6detail15normal_iteratorINS9_10device_ptrIKtEEEESF_NSB_INSC_ItEEEEPS5_SI_SI_NS9_7greaterItEEEE10hipError_tPvRmT0_T1_T2_T3_T4_T5_mmT6_P12ihipStream_tbEUlT_E_NS1_11comp_targetILNS1_3genE9ELNS1_11target_archE1100ELNS1_3gpuE3ELNS1_3repE0EEENS1_30default_config_static_selectorELNS0_4arch9wavefront6targetE1EEEvSP_,"axG",@progbits,_ZN7rocprim17ROCPRIM_400000_NS6detail17trampoline_kernelINS0_14default_configENS1_21merge_config_selectorItNS0_10empty_typeEEEZNS1_10merge_implIS3_N6thrust23THRUST_200600_302600_NS6detail15normal_iteratorINS9_10device_ptrIKtEEEESF_NSB_INSC_ItEEEEPS5_SI_SI_NS9_7greaterItEEEE10hipError_tPvRmT0_T1_T2_T3_T4_T5_mmT6_P12ihipStream_tbEUlT_E_NS1_11comp_targetILNS1_3genE9ELNS1_11target_archE1100ELNS1_3gpuE3ELNS1_3repE0EEENS1_30default_config_static_selectorELNS0_4arch9wavefront6targetE1EEEvSP_,comdat
.Lfunc_end540:
	.size	_ZN7rocprim17ROCPRIM_400000_NS6detail17trampoline_kernelINS0_14default_configENS1_21merge_config_selectorItNS0_10empty_typeEEEZNS1_10merge_implIS3_N6thrust23THRUST_200600_302600_NS6detail15normal_iteratorINS9_10device_ptrIKtEEEESF_NSB_INSC_ItEEEEPS5_SI_SI_NS9_7greaterItEEEE10hipError_tPvRmT0_T1_T2_T3_T4_T5_mmT6_P12ihipStream_tbEUlT_E_NS1_11comp_targetILNS1_3genE9ELNS1_11target_archE1100ELNS1_3gpuE3ELNS1_3repE0EEENS1_30default_config_static_selectorELNS0_4arch9wavefront6targetE1EEEvSP_, .Lfunc_end540-_ZN7rocprim17ROCPRIM_400000_NS6detail17trampoline_kernelINS0_14default_configENS1_21merge_config_selectorItNS0_10empty_typeEEEZNS1_10merge_implIS3_N6thrust23THRUST_200600_302600_NS6detail15normal_iteratorINS9_10device_ptrIKtEEEESF_NSB_INSC_ItEEEEPS5_SI_SI_NS9_7greaterItEEEE10hipError_tPvRmT0_T1_T2_T3_T4_T5_mmT6_P12ihipStream_tbEUlT_E_NS1_11comp_targetILNS1_3genE9ELNS1_11target_archE1100ELNS1_3gpuE3ELNS1_3repE0EEENS1_30default_config_static_selectorELNS0_4arch9wavefront6targetE1EEEvSP_
                                        ; -- End function
	.section	.AMDGPU.csdata,"",@progbits
; Kernel info:
; codeLenInByte = 0
; NumSgprs: 4
; NumVgprs: 0
; NumAgprs: 0
; TotalNumVgprs: 0
; ScratchSize: 0
; MemoryBound: 0
; FloatMode: 240
; IeeeMode: 1
; LDSByteSize: 0 bytes/workgroup (compile time only)
; SGPRBlocks: 0
; VGPRBlocks: 0
; NumSGPRsForWavesPerEU: 4
; NumVGPRsForWavesPerEU: 1
; AccumOffset: 4
; Occupancy: 8
; WaveLimiterHint : 0
; COMPUTE_PGM_RSRC2:SCRATCH_EN: 0
; COMPUTE_PGM_RSRC2:USER_SGPR: 6
; COMPUTE_PGM_RSRC2:TRAP_HANDLER: 0
; COMPUTE_PGM_RSRC2:TGID_X_EN: 1
; COMPUTE_PGM_RSRC2:TGID_Y_EN: 0
; COMPUTE_PGM_RSRC2:TGID_Z_EN: 0
; COMPUTE_PGM_RSRC2:TIDIG_COMP_CNT: 0
; COMPUTE_PGM_RSRC3_GFX90A:ACCUM_OFFSET: 0
; COMPUTE_PGM_RSRC3_GFX90A:TG_SPLIT: 0
	.section	.text._ZN7rocprim17ROCPRIM_400000_NS6detail17trampoline_kernelINS0_14default_configENS1_21merge_config_selectorItNS0_10empty_typeEEEZNS1_10merge_implIS3_N6thrust23THRUST_200600_302600_NS6detail15normal_iteratorINS9_10device_ptrIKtEEEESF_NSB_INSC_ItEEEEPS5_SI_SI_NS9_7greaterItEEEE10hipError_tPvRmT0_T1_T2_T3_T4_T5_mmT6_P12ihipStream_tbEUlT_E_NS1_11comp_targetILNS1_3genE8ELNS1_11target_archE1030ELNS1_3gpuE2ELNS1_3repE0EEENS1_30default_config_static_selectorELNS0_4arch9wavefront6targetE1EEEvSP_,"axG",@progbits,_ZN7rocprim17ROCPRIM_400000_NS6detail17trampoline_kernelINS0_14default_configENS1_21merge_config_selectorItNS0_10empty_typeEEEZNS1_10merge_implIS3_N6thrust23THRUST_200600_302600_NS6detail15normal_iteratorINS9_10device_ptrIKtEEEESF_NSB_INSC_ItEEEEPS5_SI_SI_NS9_7greaterItEEEE10hipError_tPvRmT0_T1_T2_T3_T4_T5_mmT6_P12ihipStream_tbEUlT_E_NS1_11comp_targetILNS1_3genE8ELNS1_11target_archE1030ELNS1_3gpuE2ELNS1_3repE0EEENS1_30default_config_static_selectorELNS0_4arch9wavefront6targetE1EEEvSP_,comdat
	.protected	_ZN7rocprim17ROCPRIM_400000_NS6detail17trampoline_kernelINS0_14default_configENS1_21merge_config_selectorItNS0_10empty_typeEEEZNS1_10merge_implIS3_N6thrust23THRUST_200600_302600_NS6detail15normal_iteratorINS9_10device_ptrIKtEEEESF_NSB_INSC_ItEEEEPS5_SI_SI_NS9_7greaterItEEEE10hipError_tPvRmT0_T1_T2_T3_T4_T5_mmT6_P12ihipStream_tbEUlT_E_NS1_11comp_targetILNS1_3genE8ELNS1_11target_archE1030ELNS1_3gpuE2ELNS1_3repE0EEENS1_30default_config_static_selectorELNS0_4arch9wavefront6targetE1EEEvSP_ ; -- Begin function _ZN7rocprim17ROCPRIM_400000_NS6detail17trampoline_kernelINS0_14default_configENS1_21merge_config_selectorItNS0_10empty_typeEEEZNS1_10merge_implIS3_N6thrust23THRUST_200600_302600_NS6detail15normal_iteratorINS9_10device_ptrIKtEEEESF_NSB_INSC_ItEEEEPS5_SI_SI_NS9_7greaterItEEEE10hipError_tPvRmT0_T1_T2_T3_T4_T5_mmT6_P12ihipStream_tbEUlT_E_NS1_11comp_targetILNS1_3genE8ELNS1_11target_archE1030ELNS1_3gpuE2ELNS1_3repE0EEENS1_30default_config_static_selectorELNS0_4arch9wavefront6targetE1EEEvSP_
	.globl	_ZN7rocprim17ROCPRIM_400000_NS6detail17trampoline_kernelINS0_14default_configENS1_21merge_config_selectorItNS0_10empty_typeEEEZNS1_10merge_implIS3_N6thrust23THRUST_200600_302600_NS6detail15normal_iteratorINS9_10device_ptrIKtEEEESF_NSB_INSC_ItEEEEPS5_SI_SI_NS9_7greaterItEEEE10hipError_tPvRmT0_T1_T2_T3_T4_T5_mmT6_P12ihipStream_tbEUlT_E_NS1_11comp_targetILNS1_3genE8ELNS1_11target_archE1030ELNS1_3gpuE2ELNS1_3repE0EEENS1_30default_config_static_selectorELNS0_4arch9wavefront6targetE1EEEvSP_
	.p2align	8
	.type	_ZN7rocprim17ROCPRIM_400000_NS6detail17trampoline_kernelINS0_14default_configENS1_21merge_config_selectorItNS0_10empty_typeEEEZNS1_10merge_implIS3_N6thrust23THRUST_200600_302600_NS6detail15normal_iteratorINS9_10device_ptrIKtEEEESF_NSB_INSC_ItEEEEPS5_SI_SI_NS9_7greaterItEEEE10hipError_tPvRmT0_T1_T2_T3_T4_T5_mmT6_P12ihipStream_tbEUlT_E_NS1_11comp_targetILNS1_3genE8ELNS1_11target_archE1030ELNS1_3gpuE2ELNS1_3repE0EEENS1_30default_config_static_selectorELNS0_4arch9wavefront6targetE1EEEvSP_,@function
_ZN7rocprim17ROCPRIM_400000_NS6detail17trampoline_kernelINS0_14default_configENS1_21merge_config_selectorItNS0_10empty_typeEEEZNS1_10merge_implIS3_N6thrust23THRUST_200600_302600_NS6detail15normal_iteratorINS9_10device_ptrIKtEEEESF_NSB_INSC_ItEEEEPS5_SI_SI_NS9_7greaterItEEEE10hipError_tPvRmT0_T1_T2_T3_T4_T5_mmT6_P12ihipStream_tbEUlT_E_NS1_11comp_targetILNS1_3genE8ELNS1_11target_archE1030ELNS1_3gpuE2ELNS1_3repE0EEENS1_30default_config_static_selectorELNS0_4arch9wavefront6targetE1EEEvSP_: ; @_ZN7rocprim17ROCPRIM_400000_NS6detail17trampoline_kernelINS0_14default_configENS1_21merge_config_selectorItNS0_10empty_typeEEEZNS1_10merge_implIS3_N6thrust23THRUST_200600_302600_NS6detail15normal_iteratorINS9_10device_ptrIKtEEEESF_NSB_INSC_ItEEEEPS5_SI_SI_NS9_7greaterItEEEE10hipError_tPvRmT0_T1_T2_T3_T4_T5_mmT6_P12ihipStream_tbEUlT_E_NS1_11comp_targetILNS1_3genE8ELNS1_11target_archE1030ELNS1_3gpuE2ELNS1_3repE0EEENS1_30default_config_static_selectorELNS0_4arch9wavefront6targetE1EEEvSP_
; %bb.0:
	.section	.rodata,"a",@progbits
	.p2align	6, 0x0
	.amdhsa_kernel _ZN7rocprim17ROCPRIM_400000_NS6detail17trampoline_kernelINS0_14default_configENS1_21merge_config_selectorItNS0_10empty_typeEEEZNS1_10merge_implIS3_N6thrust23THRUST_200600_302600_NS6detail15normal_iteratorINS9_10device_ptrIKtEEEESF_NSB_INSC_ItEEEEPS5_SI_SI_NS9_7greaterItEEEE10hipError_tPvRmT0_T1_T2_T3_T4_T5_mmT6_P12ihipStream_tbEUlT_E_NS1_11comp_targetILNS1_3genE8ELNS1_11target_archE1030ELNS1_3gpuE2ELNS1_3repE0EEENS1_30default_config_static_selectorELNS0_4arch9wavefront6targetE1EEEvSP_
		.amdhsa_group_segment_fixed_size 0
		.amdhsa_private_segment_fixed_size 0
		.amdhsa_kernarg_size 48
		.amdhsa_user_sgpr_count 6
		.amdhsa_user_sgpr_private_segment_buffer 1
		.amdhsa_user_sgpr_dispatch_ptr 0
		.amdhsa_user_sgpr_queue_ptr 0
		.amdhsa_user_sgpr_kernarg_segment_ptr 1
		.amdhsa_user_sgpr_dispatch_id 0
		.amdhsa_user_sgpr_flat_scratch_init 0
		.amdhsa_user_sgpr_kernarg_preload_length 0
		.amdhsa_user_sgpr_kernarg_preload_offset 0
		.amdhsa_user_sgpr_private_segment_size 0
		.amdhsa_uses_dynamic_stack 0
		.amdhsa_system_sgpr_private_segment_wavefront_offset 0
		.amdhsa_system_sgpr_workgroup_id_x 1
		.amdhsa_system_sgpr_workgroup_id_y 0
		.amdhsa_system_sgpr_workgroup_id_z 0
		.amdhsa_system_sgpr_workgroup_info 0
		.amdhsa_system_vgpr_workitem_id 0
		.amdhsa_next_free_vgpr 1
		.amdhsa_next_free_sgpr 0
		.amdhsa_accum_offset 4
		.amdhsa_reserve_vcc 0
		.amdhsa_reserve_flat_scratch 0
		.amdhsa_float_round_mode_32 0
		.amdhsa_float_round_mode_16_64 0
		.amdhsa_float_denorm_mode_32 3
		.amdhsa_float_denorm_mode_16_64 3
		.amdhsa_dx10_clamp 1
		.amdhsa_ieee_mode 1
		.amdhsa_fp16_overflow 0
		.amdhsa_tg_split 0
		.amdhsa_exception_fp_ieee_invalid_op 0
		.amdhsa_exception_fp_denorm_src 0
		.amdhsa_exception_fp_ieee_div_zero 0
		.amdhsa_exception_fp_ieee_overflow 0
		.amdhsa_exception_fp_ieee_underflow 0
		.amdhsa_exception_fp_ieee_inexact 0
		.amdhsa_exception_int_div_zero 0
	.end_amdhsa_kernel
	.section	.text._ZN7rocprim17ROCPRIM_400000_NS6detail17trampoline_kernelINS0_14default_configENS1_21merge_config_selectorItNS0_10empty_typeEEEZNS1_10merge_implIS3_N6thrust23THRUST_200600_302600_NS6detail15normal_iteratorINS9_10device_ptrIKtEEEESF_NSB_INSC_ItEEEEPS5_SI_SI_NS9_7greaterItEEEE10hipError_tPvRmT0_T1_T2_T3_T4_T5_mmT6_P12ihipStream_tbEUlT_E_NS1_11comp_targetILNS1_3genE8ELNS1_11target_archE1030ELNS1_3gpuE2ELNS1_3repE0EEENS1_30default_config_static_selectorELNS0_4arch9wavefront6targetE1EEEvSP_,"axG",@progbits,_ZN7rocprim17ROCPRIM_400000_NS6detail17trampoline_kernelINS0_14default_configENS1_21merge_config_selectorItNS0_10empty_typeEEEZNS1_10merge_implIS3_N6thrust23THRUST_200600_302600_NS6detail15normal_iteratorINS9_10device_ptrIKtEEEESF_NSB_INSC_ItEEEEPS5_SI_SI_NS9_7greaterItEEEE10hipError_tPvRmT0_T1_T2_T3_T4_T5_mmT6_P12ihipStream_tbEUlT_E_NS1_11comp_targetILNS1_3genE8ELNS1_11target_archE1030ELNS1_3gpuE2ELNS1_3repE0EEENS1_30default_config_static_selectorELNS0_4arch9wavefront6targetE1EEEvSP_,comdat
.Lfunc_end541:
	.size	_ZN7rocprim17ROCPRIM_400000_NS6detail17trampoline_kernelINS0_14default_configENS1_21merge_config_selectorItNS0_10empty_typeEEEZNS1_10merge_implIS3_N6thrust23THRUST_200600_302600_NS6detail15normal_iteratorINS9_10device_ptrIKtEEEESF_NSB_INSC_ItEEEEPS5_SI_SI_NS9_7greaterItEEEE10hipError_tPvRmT0_T1_T2_T3_T4_T5_mmT6_P12ihipStream_tbEUlT_E_NS1_11comp_targetILNS1_3genE8ELNS1_11target_archE1030ELNS1_3gpuE2ELNS1_3repE0EEENS1_30default_config_static_selectorELNS0_4arch9wavefront6targetE1EEEvSP_, .Lfunc_end541-_ZN7rocprim17ROCPRIM_400000_NS6detail17trampoline_kernelINS0_14default_configENS1_21merge_config_selectorItNS0_10empty_typeEEEZNS1_10merge_implIS3_N6thrust23THRUST_200600_302600_NS6detail15normal_iteratorINS9_10device_ptrIKtEEEESF_NSB_INSC_ItEEEEPS5_SI_SI_NS9_7greaterItEEEE10hipError_tPvRmT0_T1_T2_T3_T4_T5_mmT6_P12ihipStream_tbEUlT_E_NS1_11comp_targetILNS1_3genE8ELNS1_11target_archE1030ELNS1_3gpuE2ELNS1_3repE0EEENS1_30default_config_static_selectorELNS0_4arch9wavefront6targetE1EEEvSP_
                                        ; -- End function
	.section	.AMDGPU.csdata,"",@progbits
; Kernel info:
; codeLenInByte = 0
; NumSgprs: 4
; NumVgprs: 0
; NumAgprs: 0
; TotalNumVgprs: 0
; ScratchSize: 0
; MemoryBound: 0
; FloatMode: 240
; IeeeMode: 1
; LDSByteSize: 0 bytes/workgroup (compile time only)
; SGPRBlocks: 0
; VGPRBlocks: 0
; NumSGPRsForWavesPerEU: 4
; NumVGPRsForWavesPerEU: 1
; AccumOffset: 4
; Occupancy: 8
; WaveLimiterHint : 0
; COMPUTE_PGM_RSRC2:SCRATCH_EN: 0
; COMPUTE_PGM_RSRC2:USER_SGPR: 6
; COMPUTE_PGM_RSRC2:TRAP_HANDLER: 0
; COMPUTE_PGM_RSRC2:TGID_X_EN: 1
; COMPUTE_PGM_RSRC2:TGID_Y_EN: 0
; COMPUTE_PGM_RSRC2:TGID_Z_EN: 0
; COMPUTE_PGM_RSRC2:TIDIG_COMP_CNT: 0
; COMPUTE_PGM_RSRC3_GFX90A:ACCUM_OFFSET: 0
; COMPUTE_PGM_RSRC3_GFX90A:TG_SPLIT: 0
	.section	.text._ZN7rocprim17ROCPRIM_400000_NS6detail17trampoline_kernelINS0_14default_configENS1_21merge_config_selectorItNS0_10empty_typeEEEZNS1_10merge_implIS3_N6thrust23THRUST_200600_302600_NS6detail15normal_iteratorINS9_10device_ptrIKtEEEESF_NSB_INSC_ItEEEEPS5_SI_SI_NS9_7greaterItEEEE10hipError_tPvRmT0_T1_T2_T3_T4_T5_mmT6_P12ihipStream_tbEUlT_E0_NS1_11comp_targetILNS1_3genE0ELNS1_11target_archE4294967295ELNS1_3gpuE0ELNS1_3repE0EEENS1_30default_config_static_selectorELNS0_4arch9wavefront6targetE1EEEvSP_,"axG",@progbits,_ZN7rocprim17ROCPRIM_400000_NS6detail17trampoline_kernelINS0_14default_configENS1_21merge_config_selectorItNS0_10empty_typeEEEZNS1_10merge_implIS3_N6thrust23THRUST_200600_302600_NS6detail15normal_iteratorINS9_10device_ptrIKtEEEESF_NSB_INSC_ItEEEEPS5_SI_SI_NS9_7greaterItEEEE10hipError_tPvRmT0_T1_T2_T3_T4_T5_mmT6_P12ihipStream_tbEUlT_E0_NS1_11comp_targetILNS1_3genE0ELNS1_11target_archE4294967295ELNS1_3gpuE0ELNS1_3repE0EEENS1_30default_config_static_selectorELNS0_4arch9wavefront6targetE1EEEvSP_,comdat
	.protected	_ZN7rocprim17ROCPRIM_400000_NS6detail17trampoline_kernelINS0_14default_configENS1_21merge_config_selectorItNS0_10empty_typeEEEZNS1_10merge_implIS3_N6thrust23THRUST_200600_302600_NS6detail15normal_iteratorINS9_10device_ptrIKtEEEESF_NSB_INSC_ItEEEEPS5_SI_SI_NS9_7greaterItEEEE10hipError_tPvRmT0_T1_T2_T3_T4_T5_mmT6_P12ihipStream_tbEUlT_E0_NS1_11comp_targetILNS1_3genE0ELNS1_11target_archE4294967295ELNS1_3gpuE0ELNS1_3repE0EEENS1_30default_config_static_selectorELNS0_4arch9wavefront6targetE1EEEvSP_ ; -- Begin function _ZN7rocprim17ROCPRIM_400000_NS6detail17trampoline_kernelINS0_14default_configENS1_21merge_config_selectorItNS0_10empty_typeEEEZNS1_10merge_implIS3_N6thrust23THRUST_200600_302600_NS6detail15normal_iteratorINS9_10device_ptrIKtEEEESF_NSB_INSC_ItEEEEPS5_SI_SI_NS9_7greaterItEEEE10hipError_tPvRmT0_T1_T2_T3_T4_T5_mmT6_P12ihipStream_tbEUlT_E0_NS1_11comp_targetILNS1_3genE0ELNS1_11target_archE4294967295ELNS1_3gpuE0ELNS1_3repE0EEENS1_30default_config_static_selectorELNS0_4arch9wavefront6targetE1EEEvSP_
	.globl	_ZN7rocprim17ROCPRIM_400000_NS6detail17trampoline_kernelINS0_14default_configENS1_21merge_config_selectorItNS0_10empty_typeEEEZNS1_10merge_implIS3_N6thrust23THRUST_200600_302600_NS6detail15normal_iteratorINS9_10device_ptrIKtEEEESF_NSB_INSC_ItEEEEPS5_SI_SI_NS9_7greaterItEEEE10hipError_tPvRmT0_T1_T2_T3_T4_T5_mmT6_P12ihipStream_tbEUlT_E0_NS1_11comp_targetILNS1_3genE0ELNS1_11target_archE4294967295ELNS1_3gpuE0ELNS1_3repE0EEENS1_30default_config_static_selectorELNS0_4arch9wavefront6targetE1EEEvSP_
	.p2align	8
	.type	_ZN7rocprim17ROCPRIM_400000_NS6detail17trampoline_kernelINS0_14default_configENS1_21merge_config_selectorItNS0_10empty_typeEEEZNS1_10merge_implIS3_N6thrust23THRUST_200600_302600_NS6detail15normal_iteratorINS9_10device_ptrIKtEEEESF_NSB_INSC_ItEEEEPS5_SI_SI_NS9_7greaterItEEEE10hipError_tPvRmT0_T1_T2_T3_T4_T5_mmT6_P12ihipStream_tbEUlT_E0_NS1_11comp_targetILNS1_3genE0ELNS1_11target_archE4294967295ELNS1_3gpuE0ELNS1_3repE0EEENS1_30default_config_static_selectorELNS0_4arch9wavefront6targetE1EEEvSP_,@function
_ZN7rocprim17ROCPRIM_400000_NS6detail17trampoline_kernelINS0_14default_configENS1_21merge_config_selectorItNS0_10empty_typeEEEZNS1_10merge_implIS3_N6thrust23THRUST_200600_302600_NS6detail15normal_iteratorINS9_10device_ptrIKtEEEESF_NSB_INSC_ItEEEEPS5_SI_SI_NS9_7greaterItEEEE10hipError_tPvRmT0_T1_T2_T3_T4_T5_mmT6_P12ihipStream_tbEUlT_E0_NS1_11comp_targetILNS1_3genE0ELNS1_11target_archE4294967295ELNS1_3gpuE0ELNS1_3repE0EEENS1_30default_config_static_selectorELNS0_4arch9wavefront6targetE1EEEvSP_: ; @_ZN7rocprim17ROCPRIM_400000_NS6detail17trampoline_kernelINS0_14default_configENS1_21merge_config_selectorItNS0_10empty_typeEEEZNS1_10merge_implIS3_N6thrust23THRUST_200600_302600_NS6detail15normal_iteratorINS9_10device_ptrIKtEEEESF_NSB_INSC_ItEEEEPS5_SI_SI_NS9_7greaterItEEEE10hipError_tPvRmT0_T1_T2_T3_T4_T5_mmT6_P12ihipStream_tbEUlT_E0_NS1_11comp_targetILNS1_3genE0ELNS1_11target_archE4294967295ELNS1_3gpuE0ELNS1_3repE0EEENS1_30default_config_static_selectorELNS0_4arch9wavefront6targetE1EEEvSP_
; %bb.0:
	.section	.rodata,"a",@progbits
	.p2align	6, 0x0
	.amdhsa_kernel _ZN7rocprim17ROCPRIM_400000_NS6detail17trampoline_kernelINS0_14default_configENS1_21merge_config_selectorItNS0_10empty_typeEEEZNS1_10merge_implIS3_N6thrust23THRUST_200600_302600_NS6detail15normal_iteratorINS9_10device_ptrIKtEEEESF_NSB_INSC_ItEEEEPS5_SI_SI_NS9_7greaterItEEEE10hipError_tPvRmT0_T1_T2_T3_T4_T5_mmT6_P12ihipStream_tbEUlT_E0_NS1_11comp_targetILNS1_3genE0ELNS1_11target_archE4294967295ELNS1_3gpuE0ELNS1_3repE0EEENS1_30default_config_static_selectorELNS0_4arch9wavefront6targetE1EEEvSP_
		.amdhsa_group_segment_fixed_size 0
		.amdhsa_private_segment_fixed_size 0
		.amdhsa_kernarg_size 88
		.amdhsa_user_sgpr_count 6
		.amdhsa_user_sgpr_private_segment_buffer 1
		.amdhsa_user_sgpr_dispatch_ptr 0
		.amdhsa_user_sgpr_queue_ptr 0
		.amdhsa_user_sgpr_kernarg_segment_ptr 1
		.amdhsa_user_sgpr_dispatch_id 0
		.amdhsa_user_sgpr_flat_scratch_init 0
		.amdhsa_user_sgpr_kernarg_preload_length 0
		.amdhsa_user_sgpr_kernarg_preload_offset 0
		.amdhsa_user_sgpr_private_segment_size 0
		.amdhsa_uses_dynamic_stack 0
		.amdhsa_system_sgpr_private_segment_wavefront_offset 0
		.amdhsa_system_sgpr_workgroup_id_x 1
		.amdhsa_system_sgpr_workgroup_id_y 0
		.amdhsa_system_sgpr_workgroup_id_z 0
		.amdhsa_system_sgpr_workgroup_info 0
		.amdhsa_system_vgpr_workitem_id 0
		.amdhsa_next_free_vgpr 1
		.amdhsa_next_free_sgpr 0
		.amdhsa_accum_offset 4
		.amdhsa_reserve_vcc 0
		.amdhsa_reserve_flat_scratch 0
		.amdhsa_float_round_mode_32 0
		.amdhsa_float_round_mode_16_64 0
		.amdhsa_float_denorm_mode_32 3
		.amdhsa_float_denorm_mode_16_64 3
		.amdhsa_dx10_clamp 1
		.amdhsa_ieee_mode 1
		.amdhsa_fp16_overflow 0
		.amdhsa_tg_split 0
		.amdhsa_exception_fp_ieee_invalid_op 0
		.amdhsa_exception_fp_denorm_src 0
		.amdhsa_exception_fp_ieee_div_zero 0
		.amdhsa_exception_fp_ieee_overflow 0
		.amdhsa_exception_fp_ieee_underflow 0
		.amdhsa_exception_fp_ieee_inexact 0
		.amdhsa_exception_int_div_zero 0
	.end_amdhsa_kernel
	.section	.text._ZN7rocprim17ROCPRIM_400000_NS6detail17trampoline_kernelINS0_14default_configENS1_21merge_config_selectorItNS0_10empty_typeEEEZNS1_10merge_implIS3_N6thrust23THRUST_200600_302600_NS6detail15normal_iteratorINS9_10device_ptrIKtEEEESF_NSB_INSC_ItEEEEPS5_SI_SI_NS9_7greaterItEEEE10hipError_tPvRmT0_T1_T2_T3_T4_T5_mmT6_P12ihipStream_tbEUlT_E0_NS1_11comp_targetILNS1_3genE0ELNS1_11target_archE4294967295ELNS1_3gpuE0ELNS1_3repE0EEENS1_30default_config_static_selectorELNS0_4arch9wavefront6targetE1EEEvSP_,"axG",@progbits,_ZN7rocprim17ROCPRIM_400000_NS6detail17trampoline_kernelINS0_14default_configENS1_21merge_config_selectorItNS0_10empty_typeEEEZNS1_10merge_implIS3_N6thrust23THRUST_200600_302600_NS6detail15normal_iteratorINS9_10device_ptrIKtEEEESF_NSB_INSC_ItEEEEPS5_SI_SI_NS9_7greaterItEEEE10hipError_tPvRmT0_T1_T2_T3_T4_T5_mmT6_P12ihipStream_tbEUlT_E0_NS1_11comp_targetILNS1_3genE0ELNS1_11target_archE4294967295ELNS1_3gpuE0ELNS1_3repE0EEENS1_30default_config_static_selectorELNS0_4arch9wavefront6targetE1EEEvSP_,comdat
.Lfunc_end542:
	.size	_ZN7rocprim17ROCPRIM_400000_NS6detail17trampoline_kernelINS0_14default_configENS1_21merge_config_selectorItNS0_10empty_typeEEEZNS1_10merge_implIS3_N6thrust23THRUST_200600_302600_NS6detail15normal_iteratorINS9_10device_ptrIKtEEEESF_NSB_INSC_ItEEEEPS5_SI_SI_NS9_7greaterItEEEE10hipError_tPvRmT0_T1_T2_T3_T4_T5_mmT6_P12ihipStream_tbEUlT_E0_NS1_11comp_targetILNS1_3genE0ELNS1_11target_archE4294967295ELNS1_3gpuE0ELNS1_3repE0EEENS1_30default_config_static_selectorELNS0_4arch9wavefront6targetE1EEEvSP_, .Lfunc_end542-_ZN7rocprim17ROCPRIM_400000_NS6detail17trampoline_kernelINS0_14default_configENS1_21merge_config_selectorItNS0_10empty_typeEEEZNS1_10merge_implIS3_N6thrust23THRUST_200600_302600_NS6detail15normal_iteratorINS9_10device_ptrIKtEEEESF_NSB_INSC_ItEEEEPS5_SI_SI_NS9_7greaterItEEEE10hipError_tPvRmT0_T1_T2_T3_T4_T5_mmT6_P12ihipStream_tbEUlT_E0_NS1_11comp_targetILNS1_3genE0ELNS1_11target_archE4294967295ELNS1_3gpuE0ELNS1_3repE0EEENS1_30default_config_static_selectorELNS0_4arch9wavefront6targetE1EEEvSP_
                                        ; -- End function
	.section	.AMDGPU.csdata,"",@progbits
; Kernel info:
; codeLenInByte = 0
; NumSgprs: 4
; NumVgprs: 0
; NumAgprs: 0
; TotalNumVgprs: 0
; ScratchSize: 0
; MemoryBound: 0
; FloatMode: 240
; IeeeMode: 1
; LDSByteSize: 0 bytes/workgroup (compile time only)
; SGPRBlocks: 0
; VGPRBlocks: 0
; NumSGPRsForWavesPerEU: 4
; NumVGPRsForWavesPerEU: 1
; AccumOffset: 4
; Occupancy: 8
; WaveLimiterHint : 0
; COMPUTE_PGM_RSRC2:SCRATCH_EN: 0
; COMPUTE_PGM_RSRC2:USER_SGPR: 6
; COMPUTE_PGM_RSRC2:TRAP_HANDLER: 0
; COMPUTE_PGM_RSRC2:TGID_X_EN: 1
; COMPUTE_PGM_RSRC2:TGID_Y_EN: 0
; COMPUTE_PGM_RSRC2:TGID_Z_EN: 0
; COMPUTE_PGM_RSRC2:TIDIG_COMP_CNT: 0
; COMPUTE_PGM_RSRC3_GFX90A:ACCUM_OFFSET: 0
; COMPUTE_PGM_RSRC3_GFX90A:TG_SPLIT: 0
	.section	.text._ZN7rocprim17ROCPRIM_400000_NS6detail17trampoline_kernelINS0_14default_configENS1_21merge_config_selectorItNS0_10empty_typeEEEZNS1_10merge_implIS3_N6thrust23THRUST_200600_302600_NS6detail15normal_iteratorINS9_10device_ptrIKtEEEESF_NSB_INSC_ItEEEEPS5_SI_SI_NS9_7greaterItEEEE10hipError_tPvRmT0_T1_T2_T3_T4_T5_mmT6_P12ihipStream_tbEUlT_E0_NS1_11comp_targetILNS1_3genE5ELNS1_11target_archE942ELNS1_3gpuE9ELNS1_3repE0EEENS1_30default_config_static_selectorELNS0_4arch9wavefront6targetE1EEEvSP_,"axG",@progbits,_ZN7rocprim17ROCPRIM_400000_NS6detail17trampoline_kernelINS0_14default_configENS1_21merge_config_selectorItNS0_10empty_typeEEEZNS1_10merge_implIS3_N6thrust23THRUST_200600_302600_NS6detail15normal_iteratorINS9_10device_ptrIKtEEEESF_NSB_INSC_ItEEEEPS5_SI_SI_NS9_7greaterItEEEE10hipError_tPvRmT0_T1_T2_T3_T4_T5_mmT6_P12ihipStream_tbEUlT_E0_NS1_11comp_targetILNS1_3genE5ELNS1_11target_archE942ELNS1_3gpuE9ELNS1_3repE0EEENS1_30default_config_static_selectorELNS0_4arch9wavefront6targetE1EEEvSP_,comdat
	.protected	_ZN7rocprim17ROCPRIM_400000_NS6detail17trampoline_kernelINS0_14default_configENS1_21merge_config_selectorItNS0_10empty_typeEEEZNS1_10merge_implIS3_N6thrust23THRUST_200600_302600_NS6detail15normal_iteratorINS9_10device_ptrIKtEEEESF_NSB_INSC_ItEEEEPS5_SI_SI_NS9_7greaterItEEEE10hipError_tPvRmT0_T1_T2_T3_T4_T5_mmT6_P12ihipStream_tbEUlT_E0_NS1_11comp_targetILNS1_3genE5ELNS1_11target_archE942ELNS1_3gpuE9ELNS1_3repE0EEENS1_30default_config_static_selectorELNS0_4arch9wavefront6targetE1EEEvSP_ ; -- Begin function _ZN7rocprim17ROCPRIM_400000_NS6detail17trampoline_kernelINS0_14default_configENS1_21merge_config_selectorItNS0_10empty_typeEEEZNS1_10merge_implIS3_N6thrust23THRUST_200600_302600_NS6detail15normal_iteratorINS9_10device_ptrIKtEEEESF_NSB_INSC_ItEEEEPS5_SI_SI_NS9_7greaterItEEEE10hipError_tPvRmT0_T1_T2_T3_T4_T5_mmT6_P12ihipStream_tbEUlT_E0_NS1_11comp_targetILNS1_3genE5ELNS1_11target_archE942ELNS1_3gpuE9ELNS1_3repE0EEENS1_30default_config_static_selectorELNS0_4arch9wavefront6targetE1EEEvSP_
	.globl	_ZN7rocprim17ROCPRIM_400000_NS6detail17trampoline_kernelINS0_14default_configENS1_21merge_config_selectorItNS0_10empty_typeEEEZNS1_10merge_implIS3_N6thrust23THRUST_200600_302600_NS6detail15normal_iteratorINS9_10device_ptrIKtEEEESF_NSB_INSC_ItEEEEPS5_SI_SI_NS9_7greaterItEEEE10hipError_tPvRmT0_T1_T2_T3_T4_T5_mmT6_P12ihipStream_tbEUlT_E0_NS1_11comp_targetILNS1_3genE5ELNS1_11target_archE942ELNS1_3gpuE9ELNS1_3repE0EEENS1_30default_config_static_selectorELNS0_4arch9wavefront6targetE1EEEvSP_
	.p2align	8
	.type	_ZN7rocprim17ROCPRIM_400000_NS6detail17trampoline_kernelINS0_14default_configENS1_21merge_config_selectorItNS0_10empty_typeEEEZNS1_10merge_implIS3_N6thrust23THRUST_200600_302600_NS6detail15normal_iteratorINS9_10device_ptrIKtEEEESF_NSB_INSC_ItEEEEPS5_SI_SI_NS9_7greaterItEEEE10hipError_tPvRmT0_T1_T2_T3_T4_T5_mmT6_P12ihipStream_tbEUlT_E0_NS1_11comp_targetILNS1_3genE5ELNS1_11target_archE942ELNS1_3gpuE9ELNS1_3repE0EEENS1_30default_config_static_selectorELNS0_4arch9wavefront6targetE1EEEvSP_,@function
_ZN7rocprim17ROCPRIM_400000_NS6detail17trampoline_kernelINS0_14default_configENS1_21merge_config_selectorItNS0_10empty_typeEEEZNS1_10merge_implIS3_N6thrust23THRUST_200600_302600_NS6detail15normal_iteratorINS9_10device_ptrIKtEEEESF_NSB_INSC_ItEEEEPS5_SI_SI_NS9_7greaterItEEEE10hipError_tPvRmT0_T1_T2_T3_T4_T5_mmT6_P12ihipStream_tbEUlT_E0_NS1_11comp_targetILNS1_3genE5ELNS1_11target_archE942ELNS1_3gpuE9ELNS1_3repE0EEENS1_30default_config_static_selectorELNS0_4arch9wavefront6targetE1EEEvSP_: ; @_ZN7rocprim17ROCPRIM_400000_NS6detail17trampoline_kernelINS0_14default_configENS1_21merge_config_selectorItNS0_10empty_typeEEEZNS1_10merge_implIS3_N6thrust23THRUST_200600_302600_NS6detail15normal_iteratorINS9_10device_ptrIKtEEEESF_NSB_INSC_ItEEEEPS5_SI_SI_NS9_7greaterItEEEE10hipError_tPvRmT0_T1_T2_T3_T4_T5_mmT6_P12ihipStream_tbEUlT_E0_NS1_11comp_targetILNS1_3genE5ELNS1_11target_archE942ELNS1_3gpuE9ELNS1_3repE0EEENS1_30default_config_static_selectorELNS0_4arch9wavefront6targetE1EEEvSP_
; %bb.0:
	.section	.rodata,"a",@progbits
	.p2align	6, 0x0
	.amdhsa_kernel _ZN7rocprim17ROCPRIM_400000_NS6detail17trampoline_kernelINS0_14default_configENS1_21merge_config_selectorItNS0_10empty_typeEEEZNS1_10merge_implIS3_N6thrust23THRUST_200600_302600_NS6detail15normal_iteratorINS9_10device_ptrIKtEEEESF_NSB_INSC_ItEEEEPS5_SI_SI_NS9_7greaterItEEEE10hipError_tPvRmT0_T1_T2_T3_T4_T5_mmT6_P12ihipStream_tbEUlT_E0_NS1_11comp_targetILNS1_3genE5ELNS1_11target_archE942ELNS1_3gpuE9ELNS1_3repE0EEENS1_30default_config_static_selectorELNS0_4arch9wavefront6targetE1EEEvSP_
		.amdhsa_group_segment_fixed_size 0
		.amdhsa_private_segment_fixed_size 0
		.amdhsa_kernarg_size 88
		.amdhsa_user_sgpr_count 6
		.amdhsa_user_sgpr_private_segment_buffer 1
		.amdhsa_user_sgpr_dispatch_ptr 0
		.amdhsa_user_sgpr_queue_ptr 0
		.amdhsa_user_sgpr_kernarg_segment_ptr 1
		.amdhsa_user_sgpr_dispatch_id 0
		.amdhsa_user_sgpr_flat_scratch_init 0
		.amdhsa_user_sgpr_kernarg_preload_length 0
		.amdhsa_user_sgpr_kernarg_preload_offset 0
		.amdhsa_user_sgpr_private_segment_size 0
		.amdhsa_uses_dynamic_stack 0
		.amdhsa_system_sgpr_private_segment_wavefront_offset 0
		.amdhsa_system_sgpr_workgroup_id_x 1
		.amdhsa_system_sgpr_workgroup_id_y 0
		.amdhsa_system_sgpr_workgroup_id_z 0
		.amdhsa_system_sgpr_workgroup_info 0
		.amdhsa_system_vgpr_workitem_id 0
		.amdhsa_next_free_vgpr 1
		.amdhsa_next_free_sgpr 0
		.amdhsa_accum_offset 4
		.amdhsa_reserve_vcc 0
		.amdhsa_reserve_flat_scratch 0
		.amdhsa_float_round_mode_32 0
		.amdhsa_float_round_mode_16_64 0
		.amdhsa_float_denorm_mode_32 3
		.amdhsa_float_denorm_mode_16_64 3
		.amdhsa_dx10_clamp 1
		.amdhsa_ieee_mode 1
		.amdhsa_fp16_overflow 0
		.amdhsa_tg_split 0
		.amdhsa_exception_fp_ieee_invalid_op 0
		.amdhsa_exception_fp_denorm_src 0
		.amdhsa_exception_fp_ieee_div_zero 0
		.amdhsa_exception_fp_ieee_overflow 0
		.amdhsa_exception_fp_ieee_underflow 0
		.amdhsa_exception_fp_ieee_inexact 0
		.amdhsa_exception_int_div_zero 0
	.end_amdhsa_kernel
	.section	.text._ZN7rocprim17ROCPRIM_400000_NS6detail17trampoline_kernelINS0_14default_configENS1_21merge_config_selectorItNS0_10empty_typeEEEZNS1_10merge_implIS3_N6thrust23THRUST_200600_302600_NS6detail15normal_iteratorINS9_10device_ptrIKtEEEESF_NSB_INSC_ItEEEEPS5_SI_SI_NS9_7greaterItEEEE10hipError_tPvRmT0_T1_T2_T3_T4_T5_mmT6_P12ihipStream_tbEUlT_E0_NS1_11comp_targetILNS1_3genE5ELNS1_11target_archE942ELNS1_3gpuE9ELNS1_3repE0EEENS1_30default_config_static_selectorELNS0_4arch9wavefront6targetE1EEEvSP_,"axG",@progbits,_ZN7rocprim17ROCPRIM_400000_NS6detail17trampoline_kernelINS0_14default_configENS1_21merge_config_selectorItNS0_10empty_typeEEEZNS1_10merge_implIS3_N6thrust23THRUST_200600_302600_NS6detail15normal_iteratorINS9_10device_ptrIKtEEEESF_NSB_INSC_ItEEEEPS5_SI_SI_NS9_7greaterItEEEE10hipError_tPvRmT0_T1_T2_T3_T4_T5_mmT6_P12ihipStream_tbEUlT_E0_NS1_11comp_targetILNS1_3genE5ELNS1_11target_archE942ELNS1_3gpuE9ELNS1_3repE0EEENS1_30default_config_static_selectorELNS0_4arch9wavefront6targetE1EEEvSP_,comdat
.Lfunc_end543:
	.size	_ZN7rocprim17ROCPRIM_400000_NS6detail17trampoline_kernelINS0_14default_configENS1_21merge_config_selectorItNS0_10empty_typeEEEZNS1_10merge_implIS3_N6thrust23THRUST_200600_302600_NS6detail15normal_iteratorINS9_10device_ptrIKtEEEESF_NSB_INSC_ItEEEEPS5_SI_SI_NS9_7greaterItEEEE10hipError_tPvRmT0_T1_T2_T3_T4_T5_mmT6_P12ihipStream_tbEUlT_E0_NS1_11comp_targetILNS1_3genE5ELNS1_11target_archE942ELNS1_3gpuE9ELNS1_3repE0EEENS1_30default_config_static_selectorELNS0_4arch9wavefront6targetE1EEEvSP_, .Lfunc_end543-_ZN7rocprim17ROCPRIM_400000_NS6detail17trampoline_kernelINS0_14default_configENS1_21merge_config_selectorItNS0_10empty_typeEEEZNS1_10merge_implIS3_N6thrust23THRUST_200600_302600_NS6detail15normal_iteratorINS9_10device_ptrIKtEEEESF_NSB_INSC_ItEEEEPS5_SI_SI_NS9_7greaterItEEEE10hipError_tPvRmT0_T1_T2_T3_T4_T5_mmT6_P12ihipStream_tbEUlT_E0_NS1_11comp_targetILNS1_3genE5ELNS1_11target_archE942ELNS1_3gpuE9ELNS1_3repE0EEENS1_30default_config_static_selectorELNS0_4arch9wavefront6targetE1EEEvSP_
                                        ; -- End function
	.section	.AMDGPU.csdata,"",@progbits
; Kernel info:
; codeLenInByte = 0
; NumSgprs: 4
; NumVgprs: 0
; NumAgprs: 0
; TotalNumVgprs: 0
; ScratchSize: 0
; MemoryBound: 0
; FloatMode: 240
; IeeeMode: 1
; LDSByteSize: 0 bytes/workgroup (compile time only)
; SGPRBlocks: 0
; VGPRBlocks: 0
; NumSGPRsForWavesPerEU: 4
; NumVGPRsForWavesPerEU: 1
; AccumOffset: 4
; Occupancy: 8
; WaveLimiterHint : 0
; COMPUTE_PGM_RSRC2:SCRATCH_EN: 0
; COMPUTE_PGM_RSRC2:USER_SGPR: 6
; COMPUTE_PGM_RSRC2:TRAP_HANDLER: 0
; COMPUTE_PGM_RSRC2:TGID_X_EN: 1
; COMPUTE_PGM_RSRC2:TGID_Y_EN: 0
; COMPUTE_PGM_RSRC2:TGID_Z_EN: 0
; COMPUTE_PGM_RSRC2:TIDIG_COMP_CNT: 0
; COMPUTE_PGM_RSRC3_GFX90A:ACCUM_OFFSET: 0
; COMPUTE_PGM_RSRC3_GFX90A:TG_SPLIT: 0
	.section	.text._ZN7rocprim17ROCPRIM_400000_NS6detail17trampoline_kernelINS0_14default_configENS1_21merge_config_selectorItNS0_10empty_typeEEEZNS1_10merge_implIS3_N6thrust23THRUST_200600_302600_NS6detail15normal_iteratorINS9_10device_ptrIKtEEEESF_NSB_INSC_ItEEEEPS5_SI_SI_NS9_7greaterItEEEE10hipError_tPvRmT0_T1_T2_T3_T4_T5_mmT6_P12ihipStream_tbEUlT_E0_NS1_11comp_targetILNS1_3genE4ELNS1_11target_archE910ELNS1_3gpuE8ELNS1_3repE0EEENS1_30default_config_static_selectorELNS0_4arch9wavefront6targetE1EEEvSP_,"axG",@progbits,_ZN7rocprim17ROCPRIM_400000_NS6detail17trampoline_kernelINS0_14default_configENS1_21merge_config_selectorItNS0_10empty_typeEEEZNS1_10merge_implIS3_N6thrust23THRUST_200600_302600_NS6detail15normal_iteratorINS9_10device_ptrIKtEEEESF_NSB_INSC_ItEEEEPS5_SI_SI_NS9_7greaterItEEEE10hipError_tPvRmT0_T1_T2_T3_T4_T5_mmT6_P12ihipStream_tbEUlT_E0_NS1_11comp_targetILNS1_3genE4ELNS1_11target_archE910ELNS1_3gpuE8ELNS1_3repE0EEENS1_30default_config_static_selectorELNS0_4arch9wavefront6targetE1EEEvSP_,comdat
	.protected	_ZN7rocprim17ROCPRIM_400000_NS6detail17trampoline_kernelINS0_14default_configENS1_21merge_config_selectorItNS0_10empty_typeEEEZNS1_10merge_implIS3_N6thrust23THRUST_200600_302600_NS6detail15normal_iteratorINS9_10device_ptrIKtEEEESF_NSB_INSC_ItEEEEPS5_SI_SI_NS9_7greaterItEEEE10hipError_tPvRmT0_T1_T2_T3_T4_T5_mmT6_P12ihipStream_tbEUlT_E0_NS1_11comp_targetILNS1_3genE4ELNS1_11target_archE910ELNS1_3gpuE8ELNS1_3repE0EEENS1_30default_config_static_selectorELNS0_4arch9wavefront6targetE1EEEvSP_ ; -- Begin function _ZN7rocprim17ROCPRIM_400000_NS6detail17trampoline_kernelINS0_14default_configENS1_21merge_config_selectorItNS0_10empty_typeEEEZNS1_10merge_implIS3_N6thrust23THRUST_200600_302600_NS6detail15normal_iteratorINS9_10device_ptrIKtEEEESF_NSB_INSC_ItEEEEPS5_SI_SI_NS9_7greaterItEEEE10hipError_tPvRmT0_T1_T2_T3_T4_T5_mmT6_P12ihipStream_tbEUlT_E0_NS1_11comp_targetILNS1_3genE4ELNS1_11target_archE910ELNS1_3gpuE8ELNS1_3repE0EEENS1_30default_config_static_selectorELNS0_4arch9wavefront6targetE1EEEvSP_
	.globl	_ZN7rocprim17ROCPRIM_400000_NS6detail17trampoline_kernelINS0_14default_configENS1_21merge_config_selectorItNS0_10empty_typeEEEZNS1_10merge_implIS3_N6thrust23THRUST_200600_302600_NS6detail15normal_iteratorINS9_10device_ptrIKtEEEESF_NSB_INSC_ItEEEEPS5_SI_SI_NS9_7greaterItEEEE10hipError_tPvRmT0_T1_T2_T3_T4_T5_mmT6_P12ihipStream_tbEUlT_E0_NS1_11comp_targetILNS1_3genE4ELNS1_11target_archE910ELNS1_3gpuE8ELNS1_3repE0EEENS1_30default_config_static_selectorELNS0_4arch9wavefront6targetE1EEEvSP_
	.p2align	8
	.type	_ZN7rocprim17ROCPRIM_400000_NS6detail17trampoline_kernelINS0_14default_configENS1_21merge_config_selectorItNS0_10empty_typeEEEZNS1_10merge_implIS3_N6thrust23THRUST_200600_302600_NS6detail15normal_iteratorINS9_10device_ptrIKtEEEESF_NSB_INSC_ItEEEEPS5_SI_SI_NS9_7greaterItEEEE10hipError_tPvRmT0_T1_T2_T3_T4_T5_mmT6_P12ihipStream_tbEUlT_E0_NS1_11comp_targetILNS1_3genE4ELNS1_11target_archE910ELNS1_3gpuE8ELNS1_3repE0EEENS1_30default_config_static_selectorELNS0_4arch9wavefront6targetE1EEEvSP_,@function
_ZN7rocprim17ROCPRIM_400000_NS6detail17trampoline_kernelINS0_14default_configENS1_21merge_config_selectorItNS0_10empty_typeEEEZNS1_10merge_implIS3_N6thrust23THRUST_200600_302600_NS6detail15normal_iteratorINS9_10device_ptrIKtEEEESF_NSB_INSC_ItEEEEPS5_SI_SI_NS9_7greaterItEEEE10hipError_tPvRmT0_T1_T2_T3_T4_T5_mmT6_P12ihipStream_tbEUlT_E0_NS1_11comp_targetILNS1_3genE4ELNS1_11target_archE910ELNS1_3gpuE8ELNS1_3repE0EEENS1_30default_config_static_selectorELNS0_4arch9wavefront6targetE1EEEvSP_: ; @_ZN7rocprim17ROCPRIM_400000_NS6detail17trampoline_kernelINS0_14default_configENS1_21merge_config_selectorItNS0_10empty_typeEEEZNS1_10merge_implIS3_N6thrust23THRUST_200600_302600_NS6detail15normal_iteratorINS9_10device_ptrIKtEEEESF_NSB_INSC_ItEEEEPS5_SI_SI_NS9_7greaterItEEEE10hipError_tPvRmT0_T1_T2_T3_T4_T5_mmT6_P12ihipStream_tbEUlT_E0_NS1_11comp_targetILNS1_3genE4ELNS1_11target_archE910ELNS1_3gpuE8ELNS1_3repE0EEENS1_30default_config_static_selectorELNS0_4arch9wavefront6targetE1EEEvSP_
; %bb.0:
	s_load_dwordx4 s[0:3], s[4:5], 0x40
	s_load_dwordx8 s[20:27], s[4:5], 0x8
	s_lshl_b32 s28, s6, 12
	s_mov_b32 s31, 0
	s_waitcnt lgkmcnt(0)
	s_mov_b32 s3, s31
	s_add_i32 s29, s2, s0
	s_add_i32 s0, s29, 0xfff
	s_lshr_b32 s0, s0, 12
	s_min_u32 s1, s6, s0
	s_lshl_b32 s1, s1, 2
	s_load_dword s30, s[20:21], s1 offset:0x0
	s_add_i32 s6, s6, 1
	s_min_u32 s0, s6, s0
	s_lshl_b32 s0, s0, 2
	s_load_dword s6, s[20:21], s0 offset:0x0
	s_add_i32 s0, s28, 0x1000
	s_min_u32 s7, s29, s0
	s_waitcnt lgkmcnt(0)
	s_sub_i32 s2, s28, s30
	s_lshl_b64 s[0:1], s[30:31], 1
	s_add_u32 s0, s22, s0
	s_addc_u32 s1, s23, s1
	s_lshl_b64 s[4:5], s[2:3], 1
	s_add_u32 s9, s24, s4
	s_addc_u32 s10, s25, s5
	s_add_i32 s2, s2, s6
	s_sub_i32 s30, s6, s30
	s_sub_i32 s8, s7, s2
	s_add_u32 s2, s8, s30
	s_addc_u32 s3, 0, 0
	v_mov_b32_e32 v1, 0
	v_cmp_le_u32_e32 vcc, s30, v0
	s_and_saveexec_b64 s[4:5], vcc
	s_xor_b64 s[4:5], exec, s[4:5]
	s_cbranch_execz .LBB544_4
; %bb.1:
	v_cmp_gt_u64_e32 vcc, s[2:3], v[0:1]
	s_and_saveexec_b64 s[6:7], vcc
	s_cbranch_execz .LBB544_3
; %bb.2:
	v_mov_b32_e32 v1, s31
	v_subrev_co_u32_e32 v2, vcc, s30, v0
	v_subb_co_u32_e32 v3, vcc, 0, v1, vcc
	v_lshlrev_b64 v[2:3], 1, v[2:3]
	v_mov_b32_e32 v1, s10
	v_add_co_u32_e32 v2, vcc, s9, v2
	v_addc_co_u32_e32 v3, vcc, v1, v3, vcc
	global_load_ushort v1, v[2:3], off
	v_lshlrev_b32_e32 v2, 1, v0
	s_waitcnt vmcnt(0)
	ds_write_b16 v2, v1
.LBB544_3:
	s_or_b64 exec, exec, s[6:7]
.LBB544_4:
	s_or_saveexec_b64 s[4:5], s[4:5]
	v_lshlrev_b32_e32 v1, 1, v0
	s_xor_b64 exec, exec, s[4:5]
	s_cbranch_execz .LBB544_6
; %bb.5:
	global_load_ushort v2, v1, s[0:1]
	s_waitcnt vmcnt(0)
	ds_write_b16 v1, v2
.LBB544_6:
	s_or_b64 exec, exec, s[4:5]
	v_or_b32_e32 v2, 0x100, v0
	v_mov_b32_e32 v3, 0
	v_cmp_le_u32_e32 vcc, s30, v2
	s_and_saveexec_b64 s[4:5], vcc
	s_xor_b64 s[4:5], exec, s[4:5]
	s_cbranch_execz .LBB544_10
; %bb.7:
	v_cmp_gt_u64_e32 vcc, s[2:3], v[2:3]
	s_and_saveexec_b64 s[6:7], vcc
	s_cbranch_execz .LBB544_9
; %bb.8:
	v_mov_b32_e32 v3, s31
	v_subrev_co_u32_e32 v4, vcc, s30, v0
	v_subb_co_u32_e32 v5, vcc, 0, v3, vcc
	v_lshlrev_b64 v[4:5], 1, v[4:5]
	v_mov_b32_e32 v3, s10
	v_add_co_u32_e32 v4, vcc, s9, v4
	v_addc_co_u32_e32 v5, vcc, v3, v5, vcc
	global_load_ushort v3, v[4:5], off offset:512
	s_waitcnt vmcnt(0)
	ds_write_b16 v1, v3 offset:512
.LBB544_9:
	s_or_b64 exec, exec, s[6:7]
.LBB544_10:
	s_andn2_saveexec_b64 s[4:5], s[4:5]
	s_cbranch_execz .LBB544_12
; %bb.11:
	global_load_ushort v3, v1, s[0:1] offset:512
	s_waitcnt vmcnt(0)
	ds_write_b16 v1, v3 offset:512
.LBB544_12:
	s_or_b64 exec, exec, s[4:5]
	v_or_b32_e32 v4, 0x200, v0
	v_mov_b32_e32 v5, 0
	v_cmp_le_u32_e32 vcc, s30, v4
	s_and_saveexec_b64 s[4:5], vcc
	s_xor_b64 s[4:5], exec, s[4:5]
	s_cbranch_execz .LBB544_16
; %bb.13:
	v_cmp_gt_u64_e32 vcc, s[2:3], v[4:5]
	s_and_saveexec_b64 s[6:7], vcc
	s_cbranch_execz .LBB544_15
; %bb.14:
	v_mov_b32_e32 v3, s31
	v_subrev_co_u32_e32 v6, vcc, s30, v0
	v_subb_co_u32_e32 v7, vcc, 0, v3, vcc
	v_lshlrev_b64 v[6:7], 1, v[6:7]
	v_mov_b32_e32 v3, s10
	v_add_co_u32_e32 v6, vcc, s9, v6
	v_addc_co_u32_e32 v7, vcc, v3, v7, vcc
	global_load_ushort v3, v[6:7], off offset:1024
	s_waitcnt vmcnt(0)
	ds_write_b16 v1, v3 offset:1024
.LBB544_15:
	s_or_b64 exec, exec, s[6:7]
.LBB544_16:
	s_andn2_saveexec_b64 s[4:5], s[4:5]
	s_cbranch_execz .LBB544_18
; %bb.17:
	global_load_ushort v3, v1, s[0:1] offset:1024
	s_waitcnt vmcnt(0)
	ds_write_b16 v1, v3 offset:1024
.LBB544_18:
	;; [unrolled: 32-line block ×7, first 2 shown]
	s_or_b64 exec, exec, s[4:5]
	v_or_b32_e32 v16, 0x800, v0
	v_mov_b32_e32 v17, 0
	v_cmp_le_u32_e32 vcc, s30, v16
	s_and_saveexec_b64 s[4:5], vcc
	s_xor_b64 s[4:5], exec, s[4:5]
	s_cbranch_execz .LBB544_52
; %bb.49:
	v_cmp_gt_u64_e32 vcc, s[2:3], v[16:17]
	s_and_saveexec_b64 s[6:7], vcc
	s_cbranch_execz .LBB544_51
; %bb.50:
	v_mov_b32_e32 v3, s31
	v_subrev_co_u32_e32 v18, vcc, s30, v16
	v_subb_co_u32_e32 v19, vcc, 0, v3, vcc
	v_lshlrev_b64 v[18:19], 1, v[18:19]
	v_mov_b32_e32 v3, s10
	v_add_co_u32_e32 v18, vcc, s9, v18
	v_addc_co_u32_e32 v19, vcc, v3, v19, vcc
	global_load_ushort v3, v[18:19], off
	s_waitcnt vmcnt(0)
	ds_write_b16 v1, v3 offset:4096
.LBB544_51:
	s_or_b64 exec, exec, s[6:7]
.LBB544_52:
	s_andn2_saveexec_b64 s[4:5], s[4:5]
	s_cbranch_execz .LBB544_54
; %bb.53:
	v_lshlrev_b32_e32 v3, 1, v16
	global_load_ushort v3, v3, s[0:1]
	s_waitcnt vmcnt(0)
	ds_write_b16 v1, v3 offset:4096
.LBB544_54:
	s_or_b64 exec, exec, s[4:5]
	v_or_b32_e32 v18, 0x900, v0
	v_mov_b32_e32 v19, 0
	v_cmp_le_u32_e32 vcc, s30, v18
	s_and_saveexec_b64 s[4:5], vcc
	s_xor_b64 s[4:5], exec, s[4:5]
	s_cbranch_execz .LBB544_58
; %bb.55:
	v_cmp_gt_u64_e32 vcc, s[2:3], v[18:19]
	s_and_saveexec_b64 s[6:7], vcc
	s_cbranch_execz .LBB544_57
; %bb.56:
	v_mov_b32_e32 v3, s31
	v_subrev_co_u32_e32 v20, vcc, s30, v18
	v_subb_co_u32_e32 v21, vcc, 0, v3, vcc
	v_lshlrev_b64 v[20:21], 1, v[20:21]
	v_mov_b32_e32 v3, s10
	v_add_co_u32_e32 v20, vcc, s9, v20
	v_addc_co_u32_e32 v21, vcc, v3, v21, vcc
	global_load_ushort v3, v[20:21], off
	s_waitcnt vmcnt(0)
	ds_write_b16 v1, v3 offset:4608
.LBB544_57:
	s_or_b64 exec, exec, s[6:7]
.LBB544_58:
	s_andn2_saveexec_b64 s[4:5], s[4:5]
	s_cbranch_execz .LBB544_60
; %bb.59:
	v_lshlrev_b32_e32 v3, 1, v18
	global_load_ushort v3, v3, s[0:1]
	s_waitcnt vmcnt(0)
	ds_write_b16 v1, v3 offset:4608
.LBB544_60:
	s_or_b64 exec, exec, s[4:5]
	v_or_b32_e32 v20, 0xa00, v0
	v_mov_b32_e32 v21, 0
	v_cmp_le_u32_e32 vcc, s30, v20
	s_and_saveexec_b64 s[4:5], vcc
	s_xor_b64 s[4:5], exec, s[4:5]
	s_cbranch_execz .LBB544_64
; %bb.61:
	v_cmp_gt_u64_e32 vcc, s[2:3], v[20:21]
	s_and_saveexec_b64 s[6:7], vcc
	s_cbranch_execz .LBB544_63
; %bb.62:
	v_mov_b32_e32 v3, s31
	v_subrev_co_u32_e32 v22, vcc, s30, v20
	v_subb_co_u32_e32 v23, vcc, 0, v3, vcc
	v_lshlrev_b64 v[22:23], 1, v[22:23]
	v_mov_b32_e32 v3, s10
	v_add_co_u32_e32 v22, vcc, s9, v22
	v_addc_co_u32_e32 v23, vcc, v3, v23, vcc
	global_load_ushort v3, v[22:23], off
	s_waitcnt vmcnt(0)
	ds_write_b16 v1, v3 offset:5120
.LBB544_63:
	s_or_b64 exec, exec, s[6:7]
.LBB544_64:
	s_andn2_saveexec_b64 s[4:5], s[4:5]
	s_cbranch_execz .LBB544_66
; %bb.65:
	v_lshlrev_b32_e32 v3, 1, v20
	global_load_ushort v3, v3, s[0:1]
	s_waitcnt vmcnt(0)
	ds_write_b16 v1, v3 offset:5120
.LBB544_66:
	s_or_b64 exec, exec, s[4:5]
	v_or_b32_e32 v22, 0xb00, v0
	v_mov_b32_e32 v23, 0
	v_cmp_le_u32_e32 vcc, s30, v22
	s_and_saveexec_b64 s[4:5], vcc
	s_xor_b64 s[4:5], exec, s[4:5]
	s_cbranch_execz .LBB544_70
; %bb.67:
	v_cmp_gt_u64_e32 vcc, s[2:3], v[22:23]
	s_and_saveexec_b64 s[6:7], vcc
	s_cbranch_execz .LBB544_69
; %bb.68:
	v_mov_b32_e32 v3, s31
	v_subrev_co_u32_e32 v24, vcc, s30, v22
	v_subb_co_u32_e32 v25, vcc, 0, v3, vcc
	v_lshlrev_b64 v[24:25], 1, v[24:25]
	v_mov_b32_e32 v3, s10
	v_add_co_u32_e32 v24, vcc, s9, v24
	v_addc_co_u32_e32 v25, vcc, v3, v25, vcc
	global_load_ushort v3, v[24:25], off
	s_waitcnt vmcnt(0)
	ds_write_b16 v1, v3 offset:5632
.LBB544_69:
	s_or_b64 exec, exec, s[6:7]
.LBB544_70:
	s_andn2_saveexec_b64 s[4:5], s[4:5]
	s_cbranch_execz .LBB544_72
; %bb.71:
	v_lshlrev_b32_e32 v3, 1, v22
	global_load_ushort v3, v3, s[0:1]
	s_waitcnt vmcnt(0)
	ds_write_b16 v1, v3 offset:5632
.LBB544_72:
	s_or_b64 exec, exec, s[4:5]
	v_or_b32_e32 v24, 0xc00, v0
	v_mov_b32_e32 v25, 0
	v_cmp_le_u32_e32 vcc, s30, v24
	s_and_saveexec_b64 s[4:5], vcc
	s_xor_b64 s[4:5], exec, s[4:5]
	s_cbranch_execz .LBB544_76
; %bb.73:
	v_cmp_gt_u64_e32 vcc, s[2:3], v[24:25]
	s_and_saveexec_b64 s[6:7], vcc
	s_cbranch_execz .LBB544_75
; %bb.74:
	v_mov_b32_e32 v3, s31
	v_subrev_co_u32_e32 v26, vcc, s30, v24
	v_subb_co_u32_e32 v27, vcc, 0, v3, vcc
	v_lshlrev_b64 v[26:27], 1, v[26:27]
	v_mov_b32_e32 v3, s10
	v_add_co_u32_e32 v26, vcc, s9, v26
	v_addc_co_u32_e32 v27, vcc, v3, v27, vcc
	global_load_ushort v3, v[26:27], off
	s_waitcnt vmcnt(0)
	ds_write_b16 v1, v3 offset:6144
.LBB544_75:
	s_or_b64 exec, exec, s[6:7]
.LBB544_76:
	s_andn2_saveexec_b64 s[4:5], s[4:5]
	s_cbranch_execz .LBB544_78
; %bb.77:
	v_lshlrev_b32_e32 v3, 1, v24
	global_load_ushort v3, v3, s[0:1]
	s_waitcnt vmcnt(0)
	ds_write_b16 v1, v3 offset:6144
.LBB544_78:
	s_or_b64 exec, exec, s[4:5]
	v_or_b32_e32 v26, 0xd00, v0
	v_mov_b32_e32 v27, 0
	v_cmp_le_u32_e32 vcc, s30, v26
	s_and_saveexec_b64 s[4:5], vcc
	s_xor_b64 s[4:5], exec, s[4:5]
	s_cbranch_execz .LBB544_82
; %bb.79:
	v_cmp_gt_u64_e32 vcc, s[2:3], v[26:27]
	s_and_saveexec_b64 s[6:7], vcc
	s_cbranch_execz .LBB544_81
; %bb.80:
	v_mov_b32_e32 v3, s31
	v_subrev_co_u32_e32 v28, vcc, s30, v26
	v_subb_co_u32_e32 v29, vcc, 0, v3, vcc
	v_lshlrev_b64 v[28:29], 1, v[28:29]
	v_mov_b32_e32 v3, s10
	v_add_co_u32_e32 v28, vcc, s9, v28
	v_addc_co_u32_e32 v29, vcc, v3, v29, vcc
	global_load_ushort v3, v[28:29], off
	s_waitcnt vmcnt(0)
	ds_write_b16 v1, v3 offset:6656
.LBB544_81:
	s_or_b64 exec, exec, s[6:7]
.LBB544_82:
	s_andn2_saveexec_b64 s[4:5], s[4:5]
	s_cbranch_execz .LBB544_84
; %bb.83:
	v_lshlrev_b32_e32 v3, 1, v26
	global_load_ushort v3, v3, s[0:1]
	s_waitcnt vmcnt(0)
	ds_write_b16 v1, v3 offset:6656
.LBB544_84:
	s_or_b64 exec, exec, s[4:5]
	v_or_b32_e32 v28, 0xe00, v0
	v_mov_b32_e32 v29, 0
	v_cmp_le_u32_e32 vcc, s30, v28
	s_and_saveexec_b64 s[4:5], vcc
	s_xor_b64 s[4:5], exec, s[4:5]
	s_cbranch_execz .LBB544_88
; %bb.85:
	v_cmp_gt_u64_e32 vcc, s[2:3], v[28:29]
	s_and_saveexec_b64 s[6:7], vcc
	s_cbranch_execz .LBB544_87
; %bb.86:
	v_mov_b32_e32 v3, s31
	v_subrev_co_u32_e32 v30, vcc, s30, v28
	v_subb_co_u32_e32 v31, vcc, 0, v3, vcc
	v_lshlrev_b64 v[30:31], 1, v[30:31]
	v_mov_b32_e32 v3, s10
	v_add_co_u32_e32 v30, vcc, s9, v30
	v_addc_co_u32_e32 v31, vcc, v3, v31, vcc
	global_load_ushort v3, v[30:31], off
	s_waitcnt vmcnt(0)
	ds_write_b16 v1, v3 offset:7168
.LBB544_87:
	s_or_b64 exec, exec, s[6:7]
.LBB544_88:
	s_andn2_saveexec_b64 s[4:5], s[4:5]
	s_cbranch_execz .LBB544_90
; %bb.89:
	v_lshlrev_b32_e32 v3, 1, v28
	global_load_ushort v3, v3, s[0:1]
	s_waitcnt vmcnt(0)
	ds_write_b16 v1, v3 offset:7168
.LBB544_90:
	s_or_b64 exec, exec, s[4:5]
	v_or_b32_e32 v30, 0xf00, v0
	v_mov_b32_e32 v31, 0
	v_cmp_le_u32_e32 vcc, s30, v30
	s_and_saveexec_b64 s[4:5], vcc
	s_xor_b64 s[4:5], exec, s[4:5]
	s_cbranch_execz .LBB544_94
; %bb.91:
	v_cmp_gt_u64_e32 vcc, s[2:3], v[30:31]
	s_and_saveexec_b64 s[2:3], vcc
	s_cbranch_execz .LBB544_93
; %bb.92:
	v_mov_b32_e32 v3, s31
	v_subrev_co_u32_e32 v32, vcc, s30, v30
	v_subb_co_u32_e32 v33, vcc, 0, v3, vcc
	v_lshlrev_b64 v[32:33], 1, v[32:33]
	v_mov_b32_e32 v3, s10
	v_add_co_u32_e32 v32, vcc, s9, v32
	v_addc_co_u32_e32 v33, vcc, v3, v33, vcc
	global_load_ushort v3, v[32:33], off
	s_waitcnt vmcnt(0)
	ds_write_b16 v1, v3 offset:7680
.LBB544_93:
	s_or_b64 exec, exec, s[2:3]
.LBB544_94:
	s_andn2_saveexec_b64 s[2:3], s[4:5]
	s_cbranch_execz .LBB544_96
; %bb.95:
	v_lshlrev_b32_e32 v3, 1, v30
	global_load_ushort v3, v3, s[0:1]
	s_waitcnt vmcnt(0)
	ds_write_b16 v1, v3 offset:7680
.LBB544_96:
	s_or_b64 exec, exec, s[2:3]
	v_lshlrev_b32_e32 v3, 4, v0
	v_sub_u32_e64 v9, v3, s8 clamp
	v_min_u32_e32 v5, s30, v3
	v_cmp_lt_u32_e32 vcc, v9, v5
	s_waitcnt lgkmcnt(0)
	s_barrier
	s_and_saveexec_b64 s[0:1], vcc
	s_cbranch_execz .LBB544_100
; %bb.97:
	v_lshlrev_b32_e32 v7, 1, v3
	v_lshl_add_u32 v7, s30, 1, v7
	s_mov_b64 s[2:3], 0
.LBB544_98:                             ; =>This Inner Loop Header: Depth=1
	v_add_u32_e32 v11, v5, v9
	v_lshrrev_b32_e32 v13, 1, v11
	v_not_b32_e32 v15, v13
	v_and_b32_e32 v11, -2, v11
	v_lshl_add_u32 v15, v15, 1, v7
	ds_read_u16 v11, v11
	ds_read_u16 v15, v15
	v_add_u32_e32 v17, 1, v13
	s_waitcnt lgkmcnt(0)
	v_cmp_gt_u16_e32 vcc, v15, v11
	v_cndmask_b32_e32 v5, v5, v13, vcc
	v_cndmask_b32_e32 v9, v17, v9, vcc
	v_cmp_ge_u32_e32 vcc, v9, v5
	s_or_b64 s[2:3], vcc, s[2:3]
	s_andn2_b64 exec, exec, s[2:3]
	s_cbranch_execnz .LBB544_98
; %bb.99:
	s_or_b64 exec, exec, s[2:3]
.LBB544_100:
	s_or_b64 exec, exec, s[0:1]
	v_add_u32_e32 v5, s30, v3
	s_add_i32 s31, s8, s30
	v_sub_u32_e32 v11, v5, v9
	v_cmp_ge_u32_e32 vcc, s30, v9
	v_cmp_ge_u32_e64 s[0:1], s31, v11
	s_or_b64 s[0:1], vcc, s[0:1]
                                        ; implicit-def: $vgpr5
                                        ; implicit-def: $vgpr7
                                        ; implicit-def: $vgpr13
                                        ; implicit-def: $vgpr15
                                        ; implicit-def: $vgpr17
                                        ; implicit-def: $vgpr19
                                        ; implicit-def: $vgpr21
                                        ; implicit-def: $vgpr23
	s_and_saveexec_b64 s[34:35], s[0:1]
	s_cbranch_execz .LBB544_106
; %bb.101:
	v_cmp_gt_u32_e32 vcc, s30, v9
                                        ; implicit-def: $vgpr5
	s_and_saveexec_b64 s[0:1], vcc
	s_cbranch_execz .LBB544_103
; %bb.102:
	v_lshlrev_b32_e32 v5, 1, v9
	ds_read_u16 v5, v5
.LBB544_103:
	s_or_b64 exec, exec, s[0:1]
	v_cmp_le_u32_e64 s[0:1], s31, v11
	v_cmp_gt_u32_e64 s[2:3], s31, v11
                                        ; implicit-def: $vgpr7
	s_and_saveexec_b64 s[4:5], s[2:3]
	s_cbranch_execz .LBB544_105
; %bb.104:
	v_lshlrev_b32_e32 v7, 1, v11
	ds_read_u16 v7, v7
.LBB544_105:
	s_or_b64 exec, exec, s[4:5]
	s_waitcnt lgkmcnt(0)
	v_cmp_le_u16_e64 s[2:3], v7, v5
	s_and_b64 s[2:3], vcc, s[2:3]
	s_or_b64 vcc, s[0:1], s[2:3]
	v_mov_b32_e32 v15, s31
	v_mov_b32_e32 v17, s30
	v_cndmask_b32_e32 v13, v11, v9, vcc
	v_cndmask_b32_e32 v19, v15, v17, vcc
	v_add_u32_e32 v13, 1, v13
	v_add_u32_e32 v19, -1, v19
	v_min_u32_e32 v19, v13, v19
	v_lshlrev_b32_e32 v19, 1, v19
	ds_read_u16 v19, v19
	v_cndmask_b32_e32 v9, v9, v13, vcc
	v_cndmask_b32_e32 v11, v13, v11, vcc
	v_cmp_gt_u32_e64 s[2:3], s30, v9
	v_cmp_le_u32_e64 s[0:1], s31, v11
	s_waitcnt lgkmcnt(0)
	v_cndmask_b32_e32 v21, v19, v7, vcc
	v_cndmask_b32_e32 v19, v5, v19, vcc
	v_cmp_le_u16_e64 s[4:5], v21, v19
	s_and_b64 s[2:3], s[2:3], s[4:5]
	s_or_b64 s[0:1], s[0:1], s[2:3]
	v_cndmask_b32_e64 v13, v11, v9, s[0:1]
	v_cndmask_b32_e64 v23, v15, v17, s[0:1]
	v_add_u32_e32 v13, 1, v13
	v_add_u32_e32 v23, -1, v23
	v_min_u32_e32 v23, v13, v23
	v_lshlrev_b32_e32 v23, 1, v23
	ds_read_u16 v23, v23
	v_cndmask_b32_e64 v9, v9, v13, s[0:1]
	v_cndmask_b32_e64 v11, v13, v11, s[0:1]
	v_cmp_gt_u32_e64 s[4:5], s30, v9
	v_cmp_le_u32_e64 s[2:3], s31, v11
	s_waitcnt lgkmcnt(0)
	v_cndmask_b32_e64 v25, v23, v21, s[0:1]
	v_cndmask_b32_e64 v23, v19, v23, s[0:1]
	v_cmp_le_u16_e64 s[6:7], v25, v23
	s_and_b64 s[4:5], s[4:5], s[6:7]
	s_or_b64 s[4:5], s[2:3], s[4:5]
	v_cndmask_b32_e64 v13, v11, v9, s[4:5]
	v_cndmask_b32_e64 v27, v15, v17, s[4:5]
	v_add_u32_e32 v13, 1, v13
	v_add_u32_e32 v27, -1, v27
	v_min_u32_e32 v27, v13, v27
	v_lshlrev_b32_e32 v27, 1, v27
	ds_read_u16 v27, v27
	v_cndmask_b32_e64 v9, v9, v13, s[4:5]
	v_cndmask_b32_e64 v11, v13, v11, s[4:5]
	v_cmp_gt_u32_e64 s[6:7], s30, v9
	v_cmp_le_u32_e64 s[2:3], s31, v11
	s_waitcnt lgkmcnt(0)
	v_cndmask_b32_e64 v29, v27, v25, s[4:5]
	v_cndmask_b32_e64 v27, v23, v27, s[4:5]
	;; [unrolled: 17-line block ×10, first 2 shown]
	v_cmp_le_u16_e64 s[24:25], v46, v45
	s_and_b64 s[22:23], s[22:23], s[24:25]
	s_or_b64 s[20:21], s[20:21], s[22:23]
	v_cndmask_b32_e64 v13, v11, v9, s[20:21]
	v_cndmask_b32_e64 v47, v15, v17, s[20:21]
	v_add_u32_e32 v13, 1, v13
	v_add_u32_e32 v47, -1, v47
	v_min_u32_e32 v47, v13, v47
	v_lshlrev_b32_e32 v47, 1, v47
	ds_read_u16 v47, v47
	v_cndmask_b32_e32 v5, v7, v5, vcc
	v_cndmask_b32_e64 v7, v21, v19, s[0:1]
	v_cndmask_b32_e64 v19, v25, v23, s[4:5]
	;; [unrolled: 1-line block ×3, first 2 shown]
	s_waitcnt lgkmcnt(0)
	v_cndmask_b32_e64 v21, v47, v46, s[20:21]
	v_cndmask_b32_e64 v23, v45, v47, s[20:21]
	;; [unrolled: 1-line block ×3, first 2 shown]
	v_cmp_gt_u32_e64 s[0:1], s30, v9
	v_cmp_le_u16_e64 s[4:5], v21, v23
	v_cmp_le_u32_e32 vcc, s31, v11
	s_and_b64 s[0:1], s[0:1], s[4:5]
	s_or_b64 vcc, vcc, s[0:1]
	v_cndmask_b32_e32 v13, v11, v9, vcc
	v_cndmask_b32_e32 v25, v15, v17, vcc
	v_add_u32_e32 v13, 1, v13
	v_add_u32_e32 v25, -1, v25
	v_min_u32_e32 v25, v13, v25
	v_lshlrev_b32_e32 v25, 1, v25
	ds_read_u16 v25, v25
	v_cndmask_b32_e64 v27, v29, v27, s[2:3]
	v_cndmask_b32_e64 v29, v32, v31, s[6:7]
	;; [unrolled: 1-line block ×3, first 2 shown]
	v_cndmask_b32_e32 v9, v9, v13, vcc
	s_waitcnt lgkmcnt(0)
	v_cndmask_b32_e32 v33, v25, v21, vcc
	v_cndmask_b32_e32 v25, v23, v25, vcc
	;; [unrolled: 1-line block ×3, first 2 shown]
	v_cmp_gt_u32_e64 s[2:3], s30, v9
	v_cmp_le_u16_e64 s[4:5], v33, v25
	v_cmp_le_u32_e64 s[0:1], s31, v11
	s_and_b64 s[2:3], s[2:3], s[4:5]
	s_or_b64 s[0:1], s[0:1], s[2:3]
	v_cndmask_b32_e64 v13, v11, v9, s[0:1]
	v_cndmask_b32_e64 v34, v15, v17, s[0:1]
	v_add_u32_e32 v13, 1, v13
	v_add_u32_e32 v34, -1, v34
	v_min_u32_e32 v34, v13, v34
	v_lshlrev_b32_e32 v34, 1, v34
	ds_read_u16 v34, v34
	v_cndmask_b32_e64 v32, v36, v35, s[12:13]
	v_cndmask_b32_e64 v36, v40, v39, s[14:15]
	;; [unrolled: 1-line block ×4, first 2 shown]
	s_waitcnt lgkmcnt(0)
	v_cndmask_b32_e64 v39, v34, v33, s[0:1]
	v_cndmask_b32_e64 v34, v25, v34, s[0:1]
	v_cmp_gt_u32_e64 s[4:5], s30, v9
	v_cmp_le_u16_e64 s[6:7], v39, v34
	v_cmp_le_u32_e64 s[2:3], s31, v11
	s_and_b64 s[4:5], s[4:5], s[6:7]
	s_or_b64 s[2:3], s[2:3], s[4:5]
	v_cndmask_b32_e64 v13, v11, v9, s[2:3]
	v_cndmask_b32_e64 v15, v15, v17, s[2:3]
	v_add_u32_e32 v13, 1, v13
	v_add_u32_e32 v15, -1, v15
	v_min_u32_e32 v15, v13, v15
	v_lshlrev_b32_e32 v15, 1, v15
	ds_read_u16 v15, v15
	v_cndmask_b32_e64 v9, v9, v13, s[2:3]
	v_cndmask_b32_e64 v25, v33, v25, s[0:1]
	;; [unrolled: 1-line block ×4, first 2 shown]
	s_waitcnt lgkmcnt(0)
	v_cndmask_b32_e64 v17, v15, v39, s[2:3]
	v_cndmask_b32_e64 v15, v34, v15, s[2:3]
	v_cmp_gt_u32_e64 s[0:1], s30, v9
	v_cmp_le_u16_e64 s[2:3], v17, v15
	v_cndmask_b32_e64 v35, v38, v37, s[10:11]
	v_cndmask_b32_e64 v37, v42, v41, s[16:17]
	v_cndmask_b32_e32 v41, v21, v23, vcc
	v_cmp_le_u32_e32 vcc, s31, v11
	s_and_b64 s[0:1], s[0:1], s[2:3]
	s_or_b64 vcc, vcc, s[0:1]
	v_cndmask_b32_e64 v38, v44, v43, s[18:19]
	v_cndmask_b32_e64 v40, v46, v45, s[20:21]
	v_cndmask_b32_e32 v9, v17, v15, vcc
	s_mov_b32 s0, 0x5040100
	v_perm_b32 v23, v7, v5, s0
	v_perm_b32 v21, v27, v19, s0
	;; [unrolled: 1-line block ×8, first 2 shown]
.LBB544_106:
	s_or_b64 exec, exec, s[34:35]
	s_sub_i32 s6, s29, s28
	s_mov_b32 s29, 0
	s_lshl_b64 s[0:1], s[28:29], 1
	s_add_u32 s0, s26, s0
	v_and_b32_e32 v9, 0xfc, v0
	s_addc_u32 s1, s27, s1
	v_lshl_add_u32 v3, v3, 1, v9
	s_cmpk_gt_u32 s6, 0xfff
	s_barrier
	ds_write2_b32 v3, v23, v21 offset1:1
	ds_write2_b32 v3, v19, v17 offset0:2 offset1:3
	ds_write2_b32 v3, v15, v13 offset0:4 offset1:5
	ds_write2_b32 v3, v7, v5 offset0:6 offset1:7
	v_lshrrev_b32_e32 v32, 5, v2
	v_lshrrev_b32_e32 v31, 5, v4
	;; [unrolled: 1-line block ×15, first 2 shown]
	s_waitcnt lgkmcnt(0)
	s_cbranch_scc0 .LBB544_108
; %bb.107:
	v_lshrrev_b32_e32 v3, 5, v0
	v_and_b32_e32 v3, 6, v3
	v_and_b32_e32 v33, 14, v32
	;; [unrolled: 1-line block ×8, first 2 shown]
	v_add_lshl_u32 v3, v3, v0, 1
	v_add_lshl_u32 v33, v33, v0, 1
	;; [unrolled: 1-line block ×8, first 2 shown]
	s_barrier
	ds_read_u16 v40, v3
	ds_read_u16 v33, v33 offset:512
	ds_read_u16 v34, v34 offset:1024
	;; [unrolled: 1-line block ×7, first 2 shown]
	v_and_b32_e32 v3, 0x5e, v19
	v_and_b32_e32 v41, 0x7e, v17
	;; [unrolled: 1-line block ×8, first 2 shown]
	v_add_lshl_u32 v3, v3, v0, 1
	v_add_lshl_u32 v41, v41, v0, 1
	;; [unrolled: 1-line block ×8, first 2 shown]
	ds_read_u16 v48, v3 offset:4096
	ds_read_u16 v41, v41 offset:4608
	;; [unrolled: 1-line block ×8, first 2 shown]
	v_mov_b32_e32 v47, s1
	v_add_co_u32_e32 v49, vcc, s0, v1
	v_addc_co_u32_e32 v47, vcc, 0, v47, vcc
	s_waitcnt lgkmcnt(14)
	global_store_short v1, v40, s[0:1]
	global_store_short v1, v33, s[0:1] offset:512
	s_waitcnt lgkmcnt(13)
	global_store_short v1, v34, s[0:1] offset:1024
	s_waitcnt lgkmcnt(12)
	;; [unrolled: 2-line block ×6, first 2 shown]
	global_store_short v1, v39, s[0:1] offset:3584
	v_add_co_u32_e32 v34, vcc, 0x1000, v49
	v_addc_co_u32_e32 v35, vcc, 0, v47, vcc
	s_waitcnt lgkmcnt(7)
	global_store_short v[34:35], v48, off
	s_waitcnt lgkmcnt(6)
	global_store_short v[34:35], v41, off offset:512
	s_waitcnt lgkmcnt(5)
	global_store_short v[34:35], v42, off offset:1024
	;; [unrolled: 2-line block ×6, first 2 shown]
	s_mov_b64 s[2:3], -1
	s_cbranch_execz .LBB544_109
	s_branch .LBB544_126
.LBB544_108:
	s_mov_b64 s[2:3], 0
                                        ; implicit-def: $vgpr3
.LBB544_109:
	s_waitcnt lgkmcnt(0)
	v_and_b32_e32 v3, 14, v32
	v_and_b32_e32 v31, 30, v31
	v_and_b32_e32 v29, 30, v29
	v_and_b32_e32 v27, 62, v27
	v_and_b32_e32 v25, 62, v25
	v_and_b32_e32 v23, 62, v23
	v_and_b32_e32 v21, 62, v21
	v_and_b32_e32 v19, 0x5e, v19
	v_add_lshl_u32 v3, v3, v0, 1
	v_add_lshl_u32 v31, v31, v0, 1
	;; [unrolled: 1-line block ×8, first 2 shown]
	s_barrier
	ds_read_u16 v34, v3 offset:512
	ds_read_u16 v31, v31 offset:1024
	;; [unrolled: 1-line block ×8, first 2 shown]
	v_and_b32_e32 v3, 0x7e, v17
	v_add_lshl_u32 v3, v3, v0, 1
	v_and_b32_e32 v15, 0x7e, v15
	v_and_b32_e32 v13, 0x7e, v13
	;; [unrolled: 1-line block ×6, first 2 shown]
	v_add_lshl_u32 v17, v15, v0, 1
	v_add_lshl_u32 v32, v13, v0, 1
	v_add_lshl_u32 v33, v11, v0, 1
	v_add_lshl_u32 v35, v9, v0, 1
	v_add_lshl_u32 v36, v7, v0, 1
	v_add_lshl_u32 v37, v5, v0, 1
	ds_read_u16 v15, v3 offset:4608
	ds_read_u16 v13, v17 offset:5120
	;; [unrolled: 1-line block ×7, first 2 shown]
	v_mov_b32_e32 v17, s1
	v_add_co_u32_e32 v32, vcc, s0, v1
	v_addc_co_u32_e32 v33, vcc, 0, v17, vcc
	v_cmp_gt_u32_e32 vcc, s6, v0
	s_and_saveexec_b64 s[2:3], vcc
	s_cbranch_execnz .LBB544_129
; %bb.110:
	s_or_b64 exec, exec, s[2:3]
	v_cmp_gt_u32_e32 vcc, s6, v2
	s_and_saveexec_b64 s[2:3], vcc
	s_cbranch_execnz .LBB544_130
.LBB544_111:
	s_or_b64 exec, exec, s[2:3]
	v_cmp_gt_u32_e32 vcc, s6, v4
	s_and_saveexec_b64 s[2:3], vcc
	s_cbranch_execnz .LBB544_131
.LBB544_112:
	s_or_b64 exec, exec, s[2:3]
	v_cmp_gt_u32_e32 vcc, s6, v6
	s_and_saveexec_b64 s[2:3], vcc
	s_cbranch_execnz .LBB544_132
.LBB544_113:
	s_or_b64 exec, exec, s[2:3]
	v_cmp_gt_u32_e32 vcc, s6, v8
	s_and_saveexec_b64 s[2:3], vcc
	s_cbranch_execnz .LBB544_133
.LBB544_114:
	s_or_b64 exec, exec, s[2:3]
	v_cmp_gt_u32_e32 vcc, s6, v10
	s_and_saveexec_b64 s[2:3], vcc
	s_cbranch_execnz .LBB544_134
.LBB544_115:
	s_or_b64 exec, exec, s[2:3]
	v_cmp_gt_u32_e32 vcc, s6, v12
	s_and_saveexec_b64 s[2:3], vcc
	s_cbranch_execnz .LBB544_135
.LBB544_116:
	s_or_b64 exec, exec, s[2:3]
	v_cmp_gt_u32_e32 vcc, s6, v14
	s_and_saveexec_b64 s[2:3], vcc
	s_cbranch_execnz .LBB544_136
.LBB544_117:
	s_or_b64 exec, exec, s[2:3]
	v_cmp_gt_u32_e32 vcc, s6, v16
	s_and_saveexec_b64 s[2:3], vcc
	s_cbranch_execnz .LBB544_137
.LBB544_118:
	s_or_b64 exec, exec, s[2:3]
	v_cmp_gt_u32_e32 vcc, s6, v18
	s_and_saveexec_b64 s[2:3], vcc
	s_cbranch_execnz .LBB544_138
.LBB544_119:
	s_or_b64 exec, exec, s[2:3]
	v_cmp_gt_u32_e32 vcc, s6, v20
	s_and_saveexec_b64 s[2:3], vcc
	s_cbranch_execnz .LBB544_139
.LBB544_120:
	s_or_b64 exec, exec, s[2:3]
	v_cmp_gt_u32_e32 vcc, s6, v22
	s_and_saveexec_b64 s[2:3], vcc
	s_cbranch_execnz .LBB544_140
.LBB544_121:
	s_or_b64 exec, exec, s[2:3]
	v_cmp_gt_u32_e32 vcc, s6, v24
	s_and_saveexec_b64 s[2:3], vcc
	s_cbranch_execnz .LBB544_141
.LBB544_122:
	s_or_b64 exec, exec, s[2:3]
	v_cmp_gt_u32_e32 vcc, s6, v26
	s_and_saveexec_b64 s[2:3], vcc
	s_cbranch_execnz .LBB544_142
.LBB544_123:
	s_or_b64 exec, exec, s[2:3]
	v_cmp_gt_u32_e32 vcc, s6, v28
	s_and_saveexec_b64 s[2:3], vcc
	s_cbranch_execz .LBB544_125
.LBB544_124:
	v_add_co_u32_e32 v6, vcc, 0x1000, v32
	s_waitcnt lgkmcnt(2)
	v_addc_co_u32_e32 v7, vcc, 0, v33, vcc
	s_waitcnt lgkmcnt(1)
	global_store_short v[6:7], v5, off offset:3072
.LBB544_125:
	s_or_b64 exec, exec, s[2:3]
	v_cmp_gt_u32_e64 s[2:3], s6, v30
.LBB544_126:
	s_and_saveexec_b64 s[4:5], s[2:3]
	s_cbranch_execnz .LBB544_128
; %bb.127:
	s_endpgm
.LBB544_128:
	v_mov_b32_e32 v0, s1
	v_add_co_u32_e32 v1, vcc, s0, v1
	v_addc_co_u32_e32 v2, vcc, 0, v0, vcc
	v_add_co_u32_e32 v0, vcc, 0x1000, v1
	v_addc_co_u32_e32 v1, vcc, 0, v2, vcc
	s_waitcnt lgkmcnt(0)
	global_store_short v[0:1], v3, off offset:3584
	s_endpgm
.LBB544_129:
	v_lshrrev_b32_e32 v17, 5, v0
	v_and_b32_e32 v17, 6, v17
	v_add_lshl_u32 v0, v17, v0, 1
	ds_read_u16 v0, v0
	s_waitcnt lgkmcnt(0)
	global_store_short v[32:33], v0, off
	s_or_b64 exec, exec, s[2:3]
	v_cmp_gt_u32_e32 vcc, s6, v2
	s_and_saveexec_b64 s[2:3], vcc
	s_cbranch_execz .LBB544_111
.LBB544_130:
	s_waitcnt lgkmcnt(14)
	global_store_short v[32:33], v34, off offset:512
	s_or_b64 exec, exec, s[2:3]
	v_cmp_gt_u32_e32 vcc, s6, v4
	s_and_saveexec_b64 s[2:3], vcc
	s_cbranch_execz .LBB544_112
.LBB544_131:
	s_waitcnt lgkmcnt(13)
	global_store_short v[32:33], v31, off offset:1024
	s_or_b64 exec, exec, s[2:3]
	v_cmp_gt_u32_e32 vcc, s6, v6
	s_and_saveexec_b64 s[2:3], vcc
	s_cbranch_execz .LBB544_113
.LBB544_132:
	s_waitcnt lgkmcnt(12)
	global_store_short v[32:33], v29, off offset:1536
	s_or_b64 exec, exec, s[2:3]
	v_cmp_gt_u32_e32 vcc, s6, v8
	s_and_saveexec_b64 s[2:3], vcc
	s_cbranch_execz .LBB544_114
.LBB544_133:
	s_waitcnt lgkmcnt(11)
	global_store_short v[32:33], v27, off offset:2048
	s_or_b64 exec, exec, s[2:3]
	v_cmp_gt_u32_e32 vcc, s6, v10
	s_and_saveexec_b64 s[2:3], vcc
	s_cbranch_execz .LBB544_115
.LBB544_134:
	s_waitcnt lgkmcnt(10)
	global_store_short v[32:33], v25, off offset:2560
	s_or_b64 exec, exec, s[2:3]
	v_cmp_gt_u32_e32 vcc, s6, v12
	s_and_saveexec_b64 s[2:3], vcc
	s_cbranch_execz .LBB544_116
.LBB544_135:
	s_waitcnt lgkmcnt(9)
	global_store_short v[32:33], v23, off offset:3072
	s_or_b64 exec, exec, s[2:3]
	v_cmp_gt_u32_e32 vcc, s6, v14
	s_and_saveexec_b64 s[2:3], vcc
	s_cbranch_execz .LBB544_117
.LBB544_136:
	s_waitcnt lgkmcnt(8)
	global_store_short v[32:33], v21, off offset:3584
	s_or_b64 exec, exec, s[2:3]
	v_cmp_gt_u32_e32 vcc, s6, v16
	s_and_saveexec_b64 s[2:3], vcc
	s_cbranch_execz .LBB544_118
.LBB544_137:
	v_add_co_u32_e32 v16, vcc, 0x1000, v32
	v_addc_co_u32_e32 v17, vcc, 0, v33, vcc
	s_waitcnt lgkmcnt(7)
	global_store_short v[16:17], v19, off
	s_or_b64 exec, exec, s[2:3]
	v_cmp_gt_u32_e32 vcc, s6, v18
	s_and_saveexec_b64 s[2:3], vcc
	s_cbranch_execz .LBB544_119
.LBB544_138:
	v_add_co_u32_e32 v16, vcc, 0x1000, v32
	v_addc_co_u32_e32 v17, vcc, 0, v33, vcc
	s_waitcnt lgkmcnt(6)
	global_store_short v[16:17], v15, off offset:512
	s_or_b64 exec, exec, s[2:3]
	v_cmp_gt_u32_e32 vcc, s6, v20
	s_and_saveexec_b64 s[2:3], vcc
	s_cbranch_execz .LBB544_120
.LBB544_139:
	v_add_co_u32_e32 v14, vcc, 0x1000, v32
	s_waitcnt lgkmcnt(6)
	v_addc_co_u32_e32 v15, vcc, 0, v33, vcc
	s_waitcnt lgkmcnt(5)
	global_store_short v[14:15], v13, off offset:1024
	s_or_b64 exec, exec, s[2:3]
	v_cmp_gt_u32_e32 vcc, s6, v22
	s_and_saveexec_b64 s[2:3], vcc
	s_cbranch_execz .LBB544_121
.LBB544_140:
	v_add_co_u32_e32 v12, vcc, 0x1000, v32
	s_waitcnt lgkmcnt(5)
	v_addc_co_u32_e32 v13, vcc, 0, v33, vcc
	s_waitcnt lgkmcnt(4)
	global_store_short v[12:13], v11, off offset:1536
	s_or_b64 exec, exec, s[2:3]
	v_cmp_gt_u32_e32 vcc, s6, v24
	s_and_saveexec_b64 s[2:3], vcc
	s_cbranch_execz .LBB544_122
.LBB544_141:
	v_add_co_u32_e32 v10, vcc, 0x1000, v32
	s_waitcnt lgkmcnt(4)
	v_addc_co_u32_e32 v11, vcc, 0, v33, vcc
	s_waitcnt lgkmcnt(3)
	global_store_short v[10:11], v9, off offset:2048
	s_or_b64 exec, exec, s[2:3]
	v_cmp_gt_u32_e32 vcc, s6, v26
	s_and_saveexec_b64 s[2:3], vcc
	s_cbranch_execz .LBB544_123
.LBB544_142:
	v_add_co_u32_e32 v8, vcc, 0x1000, v32
	s_waitcnt lgkmcnt(3)
	v_addc_co_u32_e32 v9, vcc, 0, v33, vcc
	s_waitcnt lgkmcnt(2)
	global_store_short v[8:9], v7, off offset:2560
	s_or_b64 exec, exec, s[2:3]
	v_cmp_gt_u32_e32 vcc, s6, v28
	s_and_saveexec_b64 s[2:3], vcc
	s_cbranch_execnz .LBB544_124
	s_branch .LBB544_125
	.section	.rodata,"a",@progbits
	.p2align	6, 0x0
	.amdhsa_kernel _ZN7rocprim17ROCPRIM_400000_NS6detail17trampoline_kernelINS0_14default_configENS1_21merge_config_selectorItNS0_10empty_typeEEEZNS1_10merge_implIS3_N6thrust23THRUST_200600_302600_NS6detail15normal_iteratorINS9_10device_ptrIKtEEEESF_NSB_INSC_ItEEEEPS5_SI_SI_NS9_7greaterItEEEE10hipError_tPvRmT0_T1_T2_T3_T4_T5_mmT6_P12ihipStream_tbEUlT_E0_NS1_11comp_targetILNS1_3genE4ELNS1_11target_archE910ELNS1_3gpuE8ELNS1_3repE0EEENS1_30default_config_static_selectorELNS0_4arch9wavefront6targetE1EEEvSP_
		.amdhsa_group_segment_fixed_size 8448
		.amdhsa_private_segment_fixed_size 0
		.amdhsa_kernarg_size 88
		.amdhsa_user_sgpr_count 6
		.amdhsa_user_sgpr_private_segment_buffer 1
		.amdhsa_user_sgpr_dispatch_ptr 0
		.amdhsa_user_sgpr_queue_ptr 0
		.amdhsa_user_sgpr_kernarg_segment_ptr 1
		.amdhsa_user_sgpr_dispatch_id 0
		.amdhsa_user_sgpr_flat_scratch_init 0
		.amdhsa_user_sgpr_kernarg_preload_length 0
		.amdhsa_user_sgpr_kernarg_preload_offset 0
		.amdhsa_user_sgpr_private_segment_size 0
		.amdhsa_uses_dynamic_stack 0
		.amdhsa_system_sgpr_private_segment_wavefront_offset 0
		.amdhsa_system_sgpr_workgroup_id_x 1
		.amdhsa_system_sgpr_workgroup_id_y 0
		.amdhsa_system_sgpr_workgroup_id_z 0
		.amdhsa_system_sgpr_workgroup_info 0
		.amdhsa_system_vgpr_workitem_id 0
		.amdhsa_next_free_vgpr 50
		.amdhsa_next_free_sgpr 36
		.amdhsa_accum_offset 52
		.amdhsa_reserve_vcc 1
		.amdhsa_reserve_flat_scratch 0
		.amdhsa_float_round_mode_32 0
		.amdhsa_float_round_mode_16_64 0
		.amdhsa_float_denorm_mode_32 3
		.amdhsa_float_denorm_mode_16_64 3
		.amdhsa_dx10_clamp 1
		.amdhsa_ieee_mode 1
		.amdhsa_fp16_overflow 0
		.amdhsa_tg_split 0
		.amdhsa_exception_fp_ieee_invalid_op 0
		.amdhsa_exception_fp_denorm_src 0
		.amdhsa_exception_fp_ieee_div_zero 0
		.amdhsa_exception_fp_ieee_overflow 0
		.amdhsa_exception_fp_ieee_underflow 0
		.amdhsa_exception_fp_ieee_inexact 0
		.amdhsa_exception_int_div_zero 0
	.end_amdhsa_kernel
	.section	.text._ZN7rocprim17ROCPRIM_400000_NS6detail17trampoline_kernelINS0_14default_configENS1_21merge_config_selectorItNS0_10empty_typeEEEZNS1_10merge_implIS3_N6thrust23THRUST_200600_302600_NS6detail15normal_iteratorINS9_10device_ptrIKtEEEESF_NSB_INSC_ItEEEEPS5_SI_SI_NS9_7greaterItEEEE10hipError_tPvRmT0_T1_T2_T3_T4_T5_mmT6_P12ihipStream_tbEUlT_E0_NS1_11comp_targetILNS1_3genE4ELNS1_11target_archE910ELNS1_3gpuE8ELNS1_3repE0EEENS1_30default_config_static_selectorELNS0_4arch9wavefront6targetE1EEEvSP_,"axG",@progbits,_ZN7rocprim17ROCPRIM_400000_NS6detail17trampoline_kernelINS0_14default_configENS1_21merge_config_selectorItNS0_10empty_typeEEEZNS1_10merge_implIS3_N6thrust23THRUST_200600_302600_NS6detail15normal_iteratorINS9_10device_ptrIKtEEEESF_NSB_INSC_ItEEEEPS5_SI_SI_NS9_7greaterItEEEE10hipError_tPvRmT0_T1_T2_T3_T4_T5_mmT6_P12ihipStream_tbEUlT_E0_NS1_11comp_targetILNS1_3genE4ELNS1_11target_archE910ELNS1_3gpuE8ELNS1_3repE0EEENS1_30default_config_static_selectorELNS0_4arch9wavefront6targetE1EEEvSP_,comdat
.Lfunc_end544:
	.size	_ZN7rocprim17ROCPRIM_400000_NS6detail17trampoline_kernelINS0_14default_configENS1_21merge_config_selectorItNS0_10empty_typeEEEZNS1_10merge_implIS3_N6thrust23THRUST_200600_302600_NS6detail15normal_iteratorINS9_10device_ptrIKtEEEESF_NSB_INSC_ItEEEEPS5_SI_SI_NS9_7greaterItEEEE10hipError_tPvRmT0_T1_T2_T3_T4_T5_mmT6_P12ihipStream_tbEUlT_E0_NS1_11comp_targetILNS1_3genE4ELNS1_11target_archE910ELNS1_3gpuE8ELNS1_3repE0EEENS1_30default_config_static_selectorELNS0_4arch9wavefront6targetE1EEEvSP_, .Lfunc_end544-_ZN7rocprim17ROCPRIM_400000_NS6detail17trampoline_kernelINS0_14default_configENS1_21merge_config_selectorItNS0_10empty_typeEEEZNS1_10merge_implIS3_N6thrust23THRUST_200600_302600_NS6detail15normal_iteratorINS9_10device_ptrIKtEEEESF_NSB_INSC_ItEEEEPS5_SI_SI_NS9_7greaterItEEEE10hipError_tPvRmT0_T1_T2_T3_T4_T5_mmT6_P12ihipStream_tbEUlT_E0_NS1_11comp_targetILNS1_3genE4ELNS1_11target_archE910ELNS1_3gpuE8ELNS1_3repE0EEENS1_30default_config_static_selectorELNS0_4arch9wavefront6targetE1EEEvSP_
                                        ; -- End function
	.section	.AMDGPU.csdata,"",@progbits
; Kernel info:
; codeLenInByte = 6164
; NumSgprs: 40
; NumVgprs: 50
; NumAgprs: 0
; TotalNumVgprs: 50
; ScratchSize: 0
; MemoryBound: 0
; FloatMode: 240
; IeeeMode: 1
; LDSByteSize: 8448 bytes/workgroup (compile time only)
; SGPRBlocks: 4
; VGPRBlocks: 6
; NumSGPRsForWavesPerEU: 40
; NumVGPRsForWavesPerEU: 50
; AccumOffset: 52
; Occupancy: 7
; WaveLimiterHint : 1
; COMPUTE_PGM_RSRC2:SCRATCH_EN: 0
; COMPUTE_PGM_RSRC2:USER_SGPR: 6
; COMPUTE_PGM_RSRC2:TRAP_HANDLER: 0
; COMPUTE_PGM_RSRC2:TGID_X_EN: 1
; COMPUTE_PGM_RSRC2:TGID_Y_EN: 0
; COMPUTE_PGM_RSRC2:TGID_Z_EN: 0
; COMPUTE_PGM_RSRC2:TIDIG_COMP_CNT: 0
; COMPUTE_PGM_RSRC3_GFX90A:ACCUM_OFFSET: 12
; COMPUTE_PGM_RSRC3_GFX90A:TG_SPLIT: 0
	.section	.text._ZN7rocprim17ROCPRIM_400000_NS6detail17trampoline_kernelINS0_14default_configENS1_21merge_config_selectorItNS0_10empty_typeEEEZNS1_10merge_implIS3_N6thrust23THRUST_200600_302600_NS6detail15normal_iteratorINS9_10device_ptrIKtEEEESF_NSB_INSC_ItEEEEPS5_SI_SI_NS9_7greaterItEEEE10hipError_tPvRmT0_T1_T2_T3_T4_T5_mmT6_P12ihipStream_tbEUlT_E0_NS1_11comp_targetILNS1_3genE3ELNS1_11target_archE908ELNS1_3gpuE7ELNS1_3repE0EEENS1_30default_config_static_selectorELNS0_4arch9wavefront6targetE1EEEvSP_,"axG",@progbits,_ZN7rocprim17ROCPRIM_400000_NS6detail17trampoline_kernelINS0_14default_configENS1_21merge_config_selectorItNS0_10empty_typeEEEZNS1_10merge_implIS3_N6thrust23THRUST_200600_302600_NS6detail15normal_iteratorINS9_10device_ptrIKtEEEESF_NSB_INSC_ItEEEEPS5_SI_SI_NS9_7greaterItEEEE10hipError_tPvRmT0_T1_T2_T3_T4_T5_mmT6_P12ihipStream_tbEUlT_E0_NS1_11comp_targetILNS1_3genE3ELNS1_11target_archE908ELNS1_3gpuE7ELNS1_3repE0EEENS1_30default_config_static_selectorELNS0_4arch9wavefront6targetE1EEEvSP_,comdat
	.protected	_ZN7rocprim17ROCPRIM_400000_NS6detail17trampoline_kernelINS0_14default_configENS1_21merge_config_selectorItNS0_10empty_typeEEEZNS1_10merge_implIS3_N6thrust23THRUST_200600_302600_NS6detail15normal_iteratorINS9_10device_ptrIKtEEEESF_NSB_INSC_ItEEEEPS5_SI_SI_NS9_7greaterItEEEE10hipError_tPvRmT0_T1_T2_T3_T4_T5_mmT6_P12ihipStream_tbEUlT_E0_NS1_11comp_targetILNS1_3genE3ELNS1_11target_archE908ELNS1_3gpuE7ELNS1_3repE0EEENS1_30default_config_static_selectorELNS0_4arch9wavefront6targetE1EEEvSP_ ; -- Begin function _ZN7rocprim17ROCPRIM_400000_NS6detail17trampoline_kernelINS0_14default_configENS1_21merge_config_selectorItNS0_10empty_typeEEEZNS1_10merge_implIS3_N6thrust23THRUST_200600_302600_NS6detail15normal_iteratorINS9_10device_ptrIKtEEEESF_NSB_INSC_ItEEEEPS5_SI_SI_NS9_7greaterItEEEE10hipError_tPvRmT0_T1_T2_T3_T4_T5_mmT6_P12ihipStream_tbEUlT_E0_NS1_11comp_targetILNS1_3genE3ELNS1_11target_archE908ELNS1_3gpuE7ELNS1_3repE0EEENS1_30default_config_static_selectorELNS0_4arch9wavefront6targetE1EEEvSP_
	.globl	_ZN7rocprim17ROCPRIM_400000_NS6detail17trampoline_kernelINS0_14default_configENS1_21merge_config_selectorItNS0_10empty_typeEEEZNS1_10merge_implIS3_N6thrust23THRUST_200600_302600_NS6detail15normal_iteratorINS9_10device_ptrIKtEEEESF_NSB_INSC_ItEEEEPS5_SI_SI_NS9_7greaterItEEEE10hipError_tPvRmT0_T1_T2_T3_T4_T5_mmT6_P12ihipStream_tbEUlT_E0_NS1_11comp_targetILNS1_3genE3ELNS1_11target_archE908ELNS1_3gpuE7ELNS1_3repE0EEENS1_30default_config_static_selectorELNS0_4arch9wavefront6targetE1EEEvSP_
	.p2align	8
	.type	_ZN7rocprim17ROCPRIM_400000_NS6detail17trampoline_kernelINS0_14default_configENS1_21merge_config_selectorItNS0_10empty_typeEEEZNS1_10merge_implIS3_N6thrust23THRUST_200600_302600_NS6detail15normal_iteratorINS9_10device_ptrIKtEEEESF_NSB_INSC_ItEEEEPS5_SI_SI_NS9_7greaterItEEEE10hipError_tPvRmT0_T1_T2_T3_T4_T5_mmT6_P12ihipStream_tbEUlT_E0_NS1_11comp_targetILNS1_3genE3ELNS1_11target_archE908ELNS1_3gpuE7ELNS1_3repE0EEENS1_30default_config_static_selectorELNS0_4arch9wavefront6targetE1EEEvSP_,@function
_ZN7rocprim17ROCPRIM_400000_NS6detail17trampoline_kernelINS0_14default_configENS1_21merge_config_selectorItNS0_10empty_typeEEEZNS1_10merge_implIS3_N6thrust23THRUST_200600_302600_NS6detail15normal_iteratorINS9_10device_ptrIKtEEEESF_NSB_INSC_ItEEEEPS5_SI_SI_NS9_7greaterItEEEE10hipError_tPvRmT0_T1_T2_T3_T4_T5_mmT6_P12ihipStream_tbEUlT_E0_NS1_11comp_targetILNS1_3genE3ELNS1_11target_archE908ELNS1_3gpuE7ELNS1_3repE0EEENS1_30default_config_static_selectorELNS0_4arch9wavefront6targetE1EEEvSP_: ; @_ZN7rocprim17ROCPRIM_400000_NS6detail17trampoline_kernelINS0_14default_configENS1_21merge_config_selectorItNS0_10empty_typeEEEZNS1_10merge_implIS3_N6thrust23THRUST_200600_302600_NS6detail15normal_iteratorINS9_10device_ptrIKtEEEESF_NSB_INSC_ItEEEEPS5_SI_SI_NS9_7greaterItEEEE10hipError_tPvRmT0_T1_T2_T3_T4_T5_mmT6_P12ihipStream_tbEUlT_E0_NS1_11comp_targetILNS1_3genE3ELNS1_11target_archE908ELNS1_3gpuE7ELNS1_3repE0EEENS1_30default_config_static_selectorELNS0_4arch9wavefront6targetE1EEEvSP_
; %bb.0:
	.section	.rodata,"a",@progbits
	.p2align	6, 0x0
	.amdhsa_kernel _ZN7rocprim17ROCPRIM_400000_NS6detail17trampoline_kernelINS0_14default_configENS1_21merge_config_selectorItNS0_10empty_typeEEEZNS1_10merge_implIS3_N6thrust23THRUST_200600_302600_NS6detail15normal_iteratorINS9_10device_ptrIKtEEEESF_NSB_INSC_ItEEEEPS5_SI_SI_NS9_7greaterItEEEE10hipError_tPvRmT0_T1_T2_T3_T4_T5_mmT6_P12ihipStream_tbEUlT_E0_NS1_11comp_targetILNS1_3genE3ELNS1_11target_archE908ELNS1_3gpuE7ELNS1_3repE0EEENS1_30default_config_static_selectorELNS0_4arch9wavefront6targetE1EEEvSP_
		.amdhsa_group_segment_fixed_size 0
		.amdhsa_private_segment_fixed_size 0
		.amdhsa_kernarg_size 88
		.amdhsa_user_sgpr_count 6
		.amdhsa_user_sgpr_private_segment_buffer 1
		.amdhsa_user_sgpr_dispatch_ptr 0
		.amdhsa_user_sgpr_queue_ptr 0
		.amdhsa_user_sgpr_kernarg_segment_ptr 1
		.amdhsa_user_sgpr_dispatch_id 0
		.amdhsa_user_sgpr_flat_scratch_init 0
		.amdhsa_user_sgpr_kernarg_preload_length 0
		.amdhsa_user_sgpr_kernarg_preload_offset 0
		.amdhsa_user_sgpr_private_segment_size 0
		.amdhsa_uses_dynamic_stack 0
		.amdhsa_system_sgpr_private_segment_wavefront_offset 0
		.amdhsa_system_sgpr_workgroup_id_x 1
		.amdhsa_system_sgpr_workgroup_id_y 0
		.amdhsa_system_sgpr_workgroup_id_z 0
		.amdhsa_system_sgpr_workgroup_info 0
		.amdhsa_system_vgpr_workitem_id 0
		.amdhsa_next_free_vgpr 1
		.amdhsa_next_free_sgpr 0
		.amdhsa_accum_offset 4
		.amdhsa_reserve_vcc 0
		.amdhsa_reserve_flat_scratch 0
		.amdhsa_float_round_mode_32 0
		.amdhsa_float_round_mode_16_64 0
		.amdhsa_float_denorm_mode_32 3
		.amdhsa_float_denorm_mode_16_64 3
		.amdhsa_dx10_clamp 1
		.amdhsa_ieee_mode 1
		.amdhsa_fp16_overflow 0
		.amdhsa_tg_split 0
		.amdhsa_exception_fp_ieee_invalid_op 0
		.amdhsa_exception_fp_denorm_src 0
		.amdhsa_exception_fp_ieee_div_zero 0
		.amdhsa_exception_fp_ieee_overflow 0
		.amdhsa_exception_fp_ieee_underflow 0
		.amdhsa_exception_fp_ieee_inexact 0
		.amdhsa_exception_int_div_zero 0
	.end_amdhsa_kernel
	.section	.text._ZN7rocprim17ROCPRIM_400000_NS6detail17trampoline_kernelINS0_14default_configENS1_21merge_config_selectorItNS0_10empty_typeEEEZNS1_10merge_implIS3_N6thrust23THRUST_200600_302600_NS6detail15normal_iteratorINS9_10device_ptrIKtEEEESF_NSB_INSC_ItEEEEPS5_SI_SI_NS9_7greaterItEEEE10hipError_tPvRmT0_T1_T2_T3_T4_T5_mmT6_P12ihipStream_tbEUlT_E0_NS1_11comp_targetILNS1_3genE3ELNS1_11target_archE908ELNS1_3gpuE7ELNS1_3repE0EEENS1_30default_config_static_selectorELNS0_4arch9wavefront6targetE1EEEvSP_,"axG",@progbits,_ZN7rocprim17ROCPRIM_400000_NS6detail17trampoline_kernelINS0_14default_configENS1_21merge_config_selectorItNS0_10empty_typeEEEZNS1_10merge_implIS3_N6thrust23THRUST_200600_302600_NS6detail15normal_iteratorINS9_10device_ptrIKtEEEESF_NSB_INSC_ItEEEEPS5_SI_SI_NS9_7greaterItEEEE10hipError_tPvRmT0_T1_T2_T3_T4_T5_mmT6_P12ihipStream_tbEUlT_E0_NS1_11comp_targetILNS1_3genE3ELNS1_11target_archE908ELNS1_3gpuE7ELNS1_3repE0EEENS1_30default_config_static_selectorELNS0_4arch9wavefront6targetE1EEEvSP_,comdat
.Lfunc_end545:
	.size	_ZN7rocprim17ROCPRIM_400000_NS6detail17trampoline_kernelINS0_14default_configENS1_21merge_config_selectorItNS0_10empty_typeEEEZNS1_10merge_implIS3_N6thrust23THRUST_200600_302600_NS6detail15normal_iteratorINS9_10device_ptrIKtEEEESF_NSB_INSC_ItEEEEPS5_SI_SI_NS9_7greaterItEEEE10hipError_tPvRmT0_T1_T2_T3_T4_T5_mmT6_P12ihipStream_tbEUlT_E0_NS1_11comp_targetILNS1_3genE3ELNS1_11target_archE908ELNS1_3gpuE7ELNS1_3repE0EEENS1_30default_config_static_selectorELNS0_4arch9wavefront6targetE1EEEvSP_, .Lfunc_end545-_ZN7rocprim17ROCPRIM_400000_NS6detail17trampoline_kernelINS0_14default_configENS1_21merge_config_selectorItNS0_10empty_typeEEEZNS1_10merge_implIS3_N6thrust23THRUST_200600_302600_NS6detail15normal_iteratorINS9_10device_ptrIKtEEEESF_NSB_INSC_ItEEEEPS5_SI_SI_NS9_7greaterItEEEE10hipError_tPvRmT0_T1_T2_T3_T4_T5_mmT6_P12ihipStream_tbEUlT_E0_NS1_11comp_targetILNS1_3genE3ELNS1_11target_archE908ELNS1_3gpuE7ELNS1_3repE0EEENS1_30default_config_static_selectorELNS0_4arch9wavefront6targetE1EEEvSP_
                                        ; -- End function
	.section	.AMDGPU.csdata,"",@progbits
; Kernel info:
; codeLenInByte = 0
; NumSgprs: 4
; NumVgprs: 0
; NumAgprs: 0
; TotalNumVgprs: 0
; ScratchSize: 0
; MemoryBound: 0
; FloatMode: 240
; IeeeMode: 1
; LDSByteSize: 0 bytes/workgroup (compile time only)
; SGPRBlocks: 0
; VGPRBlocks: 0
; NumSGPRsForWavesPerEU: 4
; NumVGPRsForWavesPerEU: 1
; AccumOffset: 4
; Occupancy: 8
; WaveLimiterHint : 0
; COMPUTE_PGM_RSRC2:SCRATCH_EN: 0
; COMPUTE_PGM_RSRC2:USER_SGPR: 6
; COMPUTE_PGM_RSRC2:TRAP_HANDLER: 0
; COMPUTE_PGM_RSRC2:TGID_X_EN: 1
; COMPUTE_PGM_RSRC2:TGID_Y_EN: 0
; COMPUTE_PGM_RSRC2:TGID_Z_EN: 0
; COMPUTE_PGM_RSRC2:TIDIG_COMP_CNT: 0
; COMPUTE_PGM_RSRC3_GFX90A:ACCUM_OFFSET: 0
; COMPUTE_PGM_RSRC3_GFX90A:TG_SPLIT: 0
	.section	.text._ZN7rocprim17ROCPRIM_400000_NS6detail17trampoline_kernelINS0_14default_configENS1_21merge_config_selectorItNS0_10empty_typeEEEZNS1_10merge_implIS3_N6thrust23THRUST_200600_302600_NS6detail15normal_iteratorINS9_10device_ptrIKtEEEESF_NSB_INSC_ItEEEEPS5_SI_SI_NS9_7greaterItEEEE10hipError_tPvRmT0_T1_T2_T3_T4_T5_mmT6_P12ihipStream_tbEUlT_E0_NS1_11comp_targetILNS1_3genE2ELNS1_11target_archE906ELNS1_3gpuE6ELNS1_3repE0EEENS1_30default_config_static_selectorELNS0_4arch9wavefront6targetE1EEEvSP_,"axG",@progbits,_ZN7rocprim17ROCPRIM_400000_NS6detail17trampoline_kernelINS0_14default_configENS1_21merge_config_selectorItNS0_10empty_typeEEEZNS1_10merge_implIS3_N6thrust23THRUST_200600_302600_NS6detail15normal_iteratorINS9_10device_ptrIKtEEEESF_NSB_INSC_ItEEEEPS5_SI_SI_NS9_7greaterItEEEE10hipError_tPvRmT0_T1_T2_T3_T4_T5_mmT6_P12ihipStream_tbEUlT_E0_NS1_11comp_targetILNS1_3genE2ELNS1_11target_archE906ELNS1_3gpuE6ELNS1_3repE0EEENS1_30default_config_static_selectorELNS0_4arch9wavefront6targetE1EEEvSP_,comdat
	.protected	_ZN7rocprim17ROCPRIM_400000_NS6detail17trampoline_kernelINS0_14default_configENS1_21merge_config_selectorItNS0_10empty_typeEEEZNS1_10merge_implIS3_N6thrust23THRUST_200600_302600_NS6detail15normal_iteratorINS9_10device_ptrIKtEEEESF_NSB_INSC_ItEEEEPS5_SI_SI_NS9_7greaterItEEEE10hipError_tPvRmT0_T1_T2_T3_T4_T5_mmT6_P12ihipStream_tbEUlT_E0_NS1_11comp_targetILNS1_3genE2ELNS1_11target_archE906ELNS1_3gpuE6ELNS1_3repE0EEENS1_30default_config_static_selectorELNS0_4arch9wavefront6targetE1EEEvSP_ ; -- Begin function _ZN7rocprim17ROCPRIM_400000_NS6detail17trampoline_kernelINS0_14default_configENS1_21merge_config_selectorItNS0_10empty_typeEEEZNS1_10merge_implIS3_N6thrust23THRUST_200600_302600_NS6detail15normal_iteratorINS9_10device_ptrIKtEEEESF_NSB_INSC_ItEEEEPS5_SI_SI_NS9_7greaterItEEEE10hipError_tPvRmT0_T1_T2_T3_T4_T5_mmT6_P12ihipStream_tbEUlT_E0_NS1_11comp_targetILNS1_3genE2ELNS1_11target_archE906ELNS1_3gpuE6ELNS1_3repE0EEENS1_30default_config_static_selectorELNS0_4arch9wavefront6targetE1EEEvSP_
	.globl	_ZN7rocprim17ROCPRIM_400000_NS6detail17trampoline_kernelINS0_14default_configENS1_21merge_config_selectorItNS0_10empty_typeEEEZNS1_10merge_implIS3_N6thrust23THRUST_200600_302600_NS6detail15normal_iteratorINS9_10device_ptrIKtEEEESF_NSB_INSC_ItEEEEPS5_SI_SI_NS9_7greaterItEEEE10hipError_tPvRmT0_T1_T2_T3_T4_T5_mmT6_P12ihipStream_tbEUlT_E0_NS1_11comp_targetILNS1_3genE2ELNS1_11target_archE906ELNS1_3gpuE6ELNS1_3repE0EEENS1_30default_config_static_selectorELNS0_4arch9wavefront6targetE1EEEvSP_
	.p2align	8
	.type	_ZN7rocprim17ROCPRIM_400000_NS6detail17trampoline_kernelINS0_14default_configENS1_21merge_config_selectorItNS0_10empty_typeEEEZNS1_10merge_implIS3_N6thrust23THRUST_200600_302600_NS6detail15normal_iteratorINS9_10device_ptrIKtEEEESF_NSB_INSC_ItEEEEPS5_SI_SI_NS9_7greaterItEEEE10hipError_tPvRmT0_T1_T2_T3_T4_T5_mmT6_P12ihipStream_tbEUlT_E0_NS1_11comp_targetILNS1_3genE2ELNS1_11target_archE906ELNS1_3gpuE6ELNS1_3repE0EEENS1_30default_config_static_selectorELNS0_4arch9wavefront6targetE1EEEvSP_,@function
_ZN7rocprim17ROCPRIM_400000_NS6detail17trampoline_kernelINS0_14default_configENS1_21merge_config_selectorItNS0_10empty_typeEEEZNS1_10merge_implIS3_N6thrust23THRUST_200600_302600_NS6detail15normal_iteratorINS9_10device_ptrIKtEEEESF_NSB_INSC_ItEEEEPS5_SI_SI_NS9_7greaterItEEEE10hipError_tPvRmT0_T1_T2_T3_T4_T5_mmT6_P12ihipStream_tbEUlT_E0_NS1_11comp_targetILNS1_3genE2ELNS1_11target_archE906ELNS1_3gpuE6ELNS1_3repE0EEENS1_30default_config_static_selectorELNS0_4arch9wavefront6targetE1EEEvSP_: ; @_ZN7rocprim17ROCPRIM_400000_NS6detail17trampoline_kernelINS0_14default_configENS1_21merge_config_selectorItNS0_10empty_typeEEEZNS1_10merge_implIS3_N6thrust23THRUST_200600_302600_NS6detail15normal_iteratorINS9_10device_ptrIKtEEEESF_NSB_INSC_ItEEEEPS5_SI_SI_NS9_7greaterItEEEE10hipError_tPvRmT0_T1_T2_T3_T4_T5_mmT6_P12ihipStream_tbEUlT_E0_NS1_11comp_targetILNS1_3genE2ELNS1_11target_archE906ELNS1_3gpuE6ELNS1_3repE0EEENS1_30default_config_static_selectorELNS0_4arch9wavefront6targetE1EEEvSP_
; %bb.0:
	.section	.rodata,"a",@progbits
	.p2align	6, 0x0
	.amdhsa_kernel _ZN7rocprim17ROCPRIM_400000_NS6detail17trampoline_kernelINS0_14default_configENS1_21merge_config_selectorItNS0_10empty_typeEEEZNS1_10merge_implIS3_N6thrust23THRUST_200600_302600_NS6detail15normal_iteratorINS9_10device_ptrIKtEEEESF_NSB_INSC_ItEEEEPS5_SI_SI_NS9_7greaterItEEEE10hipError_tPvRmT0_T1_T2_T3_T4_T5_mmT6_P12ihipStream_tbEUlT_E0_NS1_11comp_targetILNS1_3genE2ELNS1_11target_archE906ELNS1_3gpuE6ELNS1_3repE0EEENS1_30default_config_static_selectorELNS0_4arch9wavefront6targetE1EEEvSP_
		.amdhsa_group_segment_fixed_size 0
		.amdhsa_private_segment_fixed_size 0
		.amdhsa_kernarg_size 88
		.amdhsa_user_sgpr_count 6
		.amdhsa_user_sgpr_private_segment_buffer 1
		.amdhsa_user_sgpr_dispatch_ptr 0
		.amdhsa_user_sgpr_queue_ptr 0
		.amdhsa_user_sgpr_kernarg_segment_ptr 1
		.amdhsa_user_sgpr_dispatch_id 0
		.amdhsa_user_sgpr_flat_scratch_init 0
		.amdhsa_user_sgpr_kernarg_preload_length 0
		.amdhsa_user_sgpr_kernarg_preload_offset 0
		.amdhsa_user_sgpr_private_segment_size 0
		.amdhsa_uses_dynamic_stack 0
		.amdhsa_system_sgpr_private_segment_wavefront_offset 0
		.amdhsa_system_sgpr_workgroup_id_x 1
		.amdhsa_system_sgpr_workgroup_id_y 0
		.amdhsa_system_sgpr_workgroup_id_z 0
		.amdhsa_system_sgpr_workgroup_info 0
		.amdhsa_system_vgpr_workitem_id 0
		.amdhsa_next_free_vgpr 1
		.amdhsa_next_free_sgpr 0
		.amdhsa_accum_offset 4
		.amdhsa_reserve_vcc 0
		.amdhsa_reserve_flat_scratch 0
		.amdhsa_float_round_mode_32 0
		.amdhsa_float_round_mode_16_64 0
		.amdhsa_float_denorm_mode_32 3
		.amdhsa_float_denorm_mode_16_64 3
		.amdhsa_dx10_clamp 1
		.amdhsa_ieee_mode 1
		.amdhsa_fp16_overflow 0
		.amdhsa_tg_split 0
		.amdhsa_exception_fp_ieee_invalid_op 0
		.amdhsa_exception_fp_denorm_src 0
		.amdhsa_exception_fp_ieee_div_zero 0
		.amdhsa_exception_fp_ieee_overflow 0
		.amdhsa_exception_fp_ieee_underflow 0
		.amdhsa_exception_fp_ieee_inexact 0
		.amdhsa_exception_int_div_zero 0
	.end_amdhsa_kernel
	.section	.text._ZN7rocprim17ROCPRIM_400000_NS6detail17trampoline_kernelINS0_14default_configENS1_21merge_config_selectorItNS0_10empty_typeEEEZNS1_10merge_implIS3_N6thrust23THRUST_200600_302600_NS6detail15normal_iteratorINS9_10device_ptrIKtEEEESF_NSB_INSC_ItEEEEPS5_SI_SI_NS9_7greaterItEEEE10hipError_tPvRmT0_T1_T2_T3_T4_T5_mmT6_P12ihipStream_tbEUlT_E0_NS1_11comp_targetILNS1_3genE2ELNS1_11target_archE906ELNS1_3gpuE6ELNS1_3repE0EEENS1_30default_config_static_selectorELNS0_4arch9wavefront6targetE1EEEvSP_,"axG",@progbits,_ZN7rocprim17ROCPRIM_400000_NS6detail17trampoline_kernelINS0_14default_configENS1_21merge_config_selectorItNS0_10empty_typeEEEZNS1_10merge_implIS3_N6thrust23THRUST_200600_302600_NS6detail15normal_iteratorINS9_10device_ptrIKtEEEESF_NSB_INSC_ItEEEEPS5_SI_SI_NS9_7greaterItEEEE10hipError_tPvRmT0_T1_T2_T3_T4_T5_mmT6_P12ihipStream_tbEUlT_E0_NS1_11comp_targetILNS1_3genE2ELNS1_11target_archE906ELNS1_3gpuE6ELNS1_3repE0EEENS1_30default_config_static_selectorELNS0_4arch9wavefront6targetE1EEEvSP_,comdat
.Lfunc_end546:
	.size	_ZN7rocprim17ROCPRIM_400000_NS6detail17trampoline_kernelINS0_14default_configENS1_21merge_config_selectorItNS0_10empty_typeEEEZNS1_10merge_implIS3_N6thrust23THRUST_200600_302600_NS6detail15normal_iteratorINS9_10device_ptrIKtEEEESF_NSB_INSC_ItEEEEPS5_SI_SI_NS9_7greaterItEEEE10hipError_tPvRmT0_T1_T2_T3_T4_T5_mmT6_P12ihipStream_tbEUlT_E0_NS1_11comp_targetILNS1_3genE2ELNS1_11target_archE906ELNS1_3gpuE6ELNS1_3repE0EEENS1_30default_config_static_selectorELNS0_4arch9wavefront6targetE1EEEvSP_, .Lfunc_end546-_ZN7rocprim17ROCPRIM_400000_NS6detail17trampoline_kernelINS0_14default_configENS1_21merge_config_selectorItNS0_10empty_typeEEEZNS1_10merge_implIS3_N6thrust23THRUST_200600_302600_NS6detail15normal_iteratorINS9_10device_ptrIKtEEEESF_NSB_INSC_ItEEEEPS5_SI_SI_NS9_7greaterItEEEE10hipError_tPvRmT0_T1_T2_T3_T4_T5_mmT6_P12ihipStream_tbEUlT_E0_NS1_11comp_targetILNS1_3genE2ELNS1_11target_archE906ELNS1_3gpuE6ELNS1_3repE0EEENS1_30default_config_static_selectorELNS0_4arch9wavefront6targetE1EEEvSP_
                                        ; -- End function
	.section	.AMDGPU.csdata,"",@progbits
; Kernel info:
; codeLenInByte = 0
; NumSgprs: 4
; NumVgprs: 0
; NumAgprs: 0
; TotalNumVgprs: 0
; ScratchSize: 0
; MemoryBound: 0
; FloatMode: 240
; IeeeMode: 1
; LDSByteSize: 0 bytes/workgroup (compile time only)
; SGPRBlocks: 0
; VGPRBlocks: 0
; NumSGPRsForWavesPerEU: 4
; NumVGPRsForWavesPerEU: 1
; AccumOffset: 4
; Occupancy: 8
; WaveLimiterHint : 0
; COMPUTE_PGM_RSRC2:SCRATCH_EN: 0
; COMPUTE_PGM_RSRC2:USER_SGPR: 6
; COMPUTE_PGM_RSRC2:TRAP_HANDLER: 0
; COMPUTE_PGM_RSRC2:TGID_X_EN: 1
; COMPUTE_PGM_RSRC2:TGID_Y_EN: 0
; COMPUTE_PGM_RSRC2:TGID_Z_EN: 0
; COMPUTE_PGM_RSRC2:TIDIG_COMP_CNT: 0
; COMPUTE_PGM_RSRC3_GFX90A:ACCUM_OFFSET: 0
; COMPUTE_PGM_RSRC3_GFX90A:TG_SPLIT: 0
	.section	.text._ZN7rocprim17ROCPRIM_400000_NS6detail17trampoline_kernelINS0_14default_configENS1_21merge_config_selectorItNS0_10empty_typeEEEZNS1_10merge_implIS3_N6thrust23THRUST_200600_302600_NS6detail15normal_iteratorINS9_10device_ptrIKtEEEESF_NSB_INSC_ItEEEEPS5_SI_SI_NS9_7greaterItEEEE10hipError_tPvRmT0_T1_T2_T3_T4_T5_mmT6_P12ihipStream_tbEUlT_E0_NS1_11comp_targetILNS1_3genE10ELNS1_11target_archE1201ELNS1_3gpuE5ELNS1_3repE0EEENS1_30default_config_static_selectorELNS0_4arch9wavefront6targetE1EEEvSP_,"axG",@progbits,_ZN7rocprim17ROCPRIM_400000_NS6detail17trampoline_kernelINS0_14default_configENS1_21merge_config_selectorItNS0_10empty_typeEEEZNS1_10merge_implIS3_N6thrust23THRUST_200600_302600_NS6detail15normal_iteratorINS9_10device_ptrIKtEEEESF_NSB_INSC_ItEEEEPS5_SI_SI_NS9_7greaterItEEEE10hipError_tPvRmT0_T1_T2_T3_T4_T5_mmT6_P12ihipStream_tbEUlT_E0_NS1_11comp_targetILNS1_3genE10ELNS1_11target_archE1201ELNS1_3gpuE5ELNS1_3repE0EEENS1_30default_config_static_selectorELNS0_4arch9wavefront6targetE1EEEvSP_,comdat
	.protected	_ZN7rocprim17ROCPRIM_400000_NS6detail17trampoline_kernelINS0_14default_configENS1_21merge_config_selectorItNS0_10empty_typeEEEZNS1_10merge_implIS3_N6thrust23THRUST_200600_302600_NS6detail15normal_iteratorINS9_10device_ptrIKtEEEESF_NSB_INSC_ItEEEEPS5_SI_SI_NS9_7greaterItEEEE10hipError_tPvRmT0_T1_T2_T3_T4_T5_mmT6_P12ihipStream_tbEUlT_E0_NS1_11comp_targetILNS1_3genE10ELNS1_11target_archE1201ELNS1_3gpuE5ELNS1_3repE0EEENS1_30default_config_static_selectorELNS0_4arch9wavefront6targetE1EEEvSP_ ; -- Begin function _ZN7rocprim17ROCPRIM_400000_NS6detail17trampoline_kernelINS0_14default_configENS1_21merge_config_selectorItNS0_10empty_typeEEEZNS1_10merge_implIS3_N6thrust23THRUST_200600_302600_NS6detail15normal_iteratorINS9_10device_ptrIKtEEEESF_NSB_INSC_ItEEEEPS5_SI_SI_NS9_7greaterItEEEE10hipError_tPvRmT0_T1_T2_T3_T4_T5_mmT6_P12ihipStream_tbEUlT_E0_NS1_11comp_targetILNS1_3genE10ELNS1_11target_archE1201ELNS1_3gpuE5ELNS1_3repE0EEENS1_30default_config_static_selectorELNS0_4arch9wavefront6targetE1EEEvSP_
	.globl	_ZN7rocprim17ROCPRIM_400000_NS6detail17trampoline_kernelINS0_14default_configENS1_21merge_config_selectorItNS0_10empty_typeEEEZNS1_10merge_implIS3_N6thrust23THRUST_200600_302600_NS6detail15normal_iteratorINS9_10device_ptrIKtEEEESF_NSB_INSC_ItEEEEPS5_SI_SI_NS9_7greaterItEEEE10hipError_tPvRmT0_T1_T2_T3_T4_T5_mmT6_P12ihipStream_tbEUlT_E0_NS1_11comp_targetILNS1_3genE10ELNS1_11target_archE1201ELNS1_3gpuE5ELNS1_3repE0EEENS1_30default_config_static_selectorELNS0_4arch9wavefront6targetE1EEEvSP_
	.p2align	8
	.type	_ZN7rocprim17ROCPRIM_400000_NS6detail17trampoline_kernelINS0_14default_configENS1_21merge_config_selectorItNS0_10empty_typeEEEZNS1_10merge_implIS3_N6thrust23THRUST_200600_302600_NS6detail15normal_iteratorINS9_10device_ptrIKtEEEESF_NSB_INSC_ItEEEEPS5_SI_SI_NS9_7greaterItEEEE10hipError_tPvRmT0_T1_T2_T3_T4_T5_mmT6_P12ihipStream_tbEUlT_E0_NS1_11comp_targetILNS1_3genE10ELNS1_11target_archE1201ELNS1_3gpuE5ELNS1_3repE0EEENS1_30default_config_static_selectorELNS0_4arch9wavefront6targetE1EEEvSP_,@function
_ZN7rocprim17ROCPRIM_400000_NS6detail17trampoline_kernelINS0_14default_configENS1_21merge_config_selectorItNS0_10empty_typeEEEZNS1_10merge_implIS3_N6thrust23THRUST_200600_302600_NS6detail15normal_iteratorINS9_10device_ptrIKtEEEESF_NSB_INSC_ItEEEEPS5_SI_SI_NS9_7greaterItEEEE10hipError_tPvRmT0_T1_T2_T3_T4_T5_mmT6_P12ihipStream_tbEUlT_E0_NS1_11comp_targetILNS1_3genE10ELNS1_11target_archE1201ELNS1_3gpuE5ELNS1_3repE0EEENS1_30default_config_static_selectorELNS0_4arch9wavefront6targetE1EEEvSP_: ; @_ZN7rocprim17ROCPRIM_400000_NS6detail17trampoline_kernelINS0_14default_configENS1_21merge_config_selectorItNS0_10empty_typeEEEZNS1_10merge_implIS3_N6thrust23THRUST_200600_302600_NS6detail15normal_iteratorINS9_10device_ptrIKtEEEESF_NSB_INSC_ItEEEEPS5_SI_SI_NS9_7greaterItEEEE10hipError_tPvRmT0_T1_T2_T3_T4_T5_mmT6_P12ihipStream_tbEUlT_E0_NS1_11comp_targetILNS1_3genE10ELNS1_11target_archE1201ELNS1_3gpuE5ELNS1_3repE0EEENS1_30default_config_static_selectorELNS0_4arch9wavefront6targetE1EEEvSP_
; %bb.0:
	.section	.rodata,"a",@progbits
	.p2align	6, 0x0
	.amdhsa_kernel _ZN7rocprim17ROCPRIM_400000_NS6detail17trampoline_kernelINS0_14default_configENS1_21merge_config_selectorItNS0_10empty_typeEEEZNS1_10merge_implIS3_N6thrust23THRUST_200600_302600_NS6detail15normal_iteratorINS9_10device_ptrIKtEEEESF_NSB_INSC_ItEEEEPS5_SI_SI_NS9_7greaterItEEEE10hipError_tPvRmT0_T1_T2_T3_T4_T5_mmT6_P12ihipStream_tbEUlT_E0_NS1_11comp_targetILNS1_3genE10ELNS1_11target_archE1201ELNS1_3gpuE5ELNS1_3repE0EEENS1_30default_config_static_selectorELNS0_4arch9wavefront6targetE1EEEvSP_
		.amdhsa_group_segment_fixed_size 0
		.amdhsa_private_segment_fixed_size 0
		.amdhsa_kernarg_size 88
		.amdhsa_user_sgpr_count 6
		.amdhsa_user_sgpr_private_segment_buffer 1
		.amdhsa_user_sgpr_dispatch_ptr 0
		.amdhsa_user_sgpr_queue_ptr 0
		.amdhsa_user_sgpr_kernarg_segment_ptr 1
		.amdhsa_user_sgpr_dispatch_id 0
		.amdhsa_user_sgpr_flat_scratch_init 0
		.amdhsa_user_sgpr_kernarg_preload_length 0
		.amdhsa_user_sgpr_kernarg_preload_offset 0
		.amdhsa_user_sgpr_private_segment_size 0
		.amdhsa_uses_dynamic_stack 0
		.amdhsa_system_sgpr_private_segment_wavefront_offset 0
		.amdhsa_system_sgpr_workgroup_id_x 1
		.amdhsa_system_sgpr_workgroup_id_y 0
		.amdhsa_system_sgpr_workgroup_id_z 0
		.amdhsa_system_sgpr_workgroup_info 0
		.amdhsa_system_vgpr_workitem_id 0
		.amdhsa_next_free_vgpr 1
		.amdhsa_next_free_sgpr 0
		.amdhsa_accum_offset 4
		.amdhsa_reserve_vcc 0
		.amdhsa_reserve_flat_scratch 0
		.amdhsa_float_round_mode_32 0
		.amdhsa_float_round_mode_16_64 0
		.amdhsa_float_denorm_mode_32 3
		.amdhsa_float_denorm_mode_16_64 3
		.amdhsa_dx10_clamp 1
		.amdhsa_ieee_mode 1
		.amdhsa_fp16_overflow 0
		.amdhsa_tg_split 0
		.amdhsa_exception_fp_ieee_invalid_op 0
		.amdhsa_exception_fp_denorm_src 0
		.amdhsa_exception_fp_ieee_div_zero 0
		.amdhsa_exception_fp_ieee_overflow 0
		.amdhsa_exception_fp_ieee_underflow 0
		.amdhsa_exception_fp_ieee_inexact 0
		.amdhsa_exception_int_div_zero 0
	.end_amdhsa_kernel
	.section	.text._ZN7rocprim17ROCPRIM_400000_NS6detail17trampoline_kernelINS0_14default_configENS1_21merge_config_selectorItNS0_10empty_typeEEEZNS1_10merge_implIS3_N6thrust23THRUST_200600_302600_NS6detail15normal_iteratorINS9_10device_ptrIKtEEEESF_NSB_INSC_ItEEEEPS5_SI_SI_NS9_7greaterItEEEE10hipError_tPvRmT0_T1_T2_T3_T4_T5_mmT6_P12ihipStream_tbEUlT_E0_NS1_11comp_targetILNS1_3genE10ELNS1_11target_archE1201ELNS1_3gpuE5ELNS1_3repE0EEENS1_30default_config_static_selectorELNS0_4arch9wavefront6targetE1EEEvSP_,"axG",@progbits,_ZN7rocprim17ROCPRIM_400000_NS6detail17trampoline_kernelINS0_14default_configENS1_21merge_config_selectorItNS0_10empty_typeEEEZNS1_10merge_implIS3_N6thrust23THRUST_200600_302600_NS6detail15normal_iteratorINS9_10device_ptrIKtEEEESF_NSB_INSC_ItEEEEPS5_SI_SI_NS9_7greaterItEEEE10hipError_tPvRmT0_T1_T2_T3_T4_T5_mmT6_P12ihipStream_tbEUlT_E0_NS1_11comp_targetILNS1_3genE10ELNS1_11target_archE1201ELNS1_3gpuE5ELNS1_3repE0EEENS1_30default_config_static_selectorELNS0_4arch9wavefront6targetE1EEEvSP_,comdat
.Lfunc_end547:
	.size	_ZN7rocprim17ROCPRIM_400000_NS6detail17trampoline_kernelINS0_14default_configENS1_21merge_config_selectorItNS0_10empty_typeEEEZNS1_10merge_implIS3_N6thrust23THRUST_200600_302600_NS6detail15normal_iteratorINS9_10device_ptrIKtEEEESF_NSB_INSC_ItEEEEPS5_SI_SI_NS9_7greaterItEEEE10hipError_tPvRmT0_T1_T2_T3_T4_T5_mmT6_P12ihipStream_tbEUlT_E0_NS1_11comp_targetILNS1_3genE10ELNS1_11target_archE1201ELNS1_3gpuE5ELNS1_3repE0EEENS1_30default_config_static_selectorELNS0_4arch9wavefront6targetE1EEEvSP_, .Lfunc_end547-_ZN7rocprim17ROCPRIM_400000_NS6detail17trampoline_kernelINS0_14default_configENS1_21merge_config_selectorItNS0_10empty_typeEEEZNS1_10merge_implIS3_N6thrust23THRUST_200600_302600_NS6detail15normal_iteratorINS9_10device_ptrIKtEEEESF_NSB_INSC_ItEEEEPS5_SI_SI_NS9_7greaterItEEEE10hipError_tPvRmT0_T1_T2_T3_T4_T5_mmT6_P12ihipStream_tbEUlT_E0_NS1_11comp_targetILNS1_3genE10ELNS1_11target_archE1201ELNS1_3gpuE5ELNS1_3repE0EEENS1_30default_config_static_selectorELNS0_4arch9wavefront6targetE1EEEvSP_
                                        ; -- End function
	.section	.AMDGPU.csdata,"",@progbits
; Kernel info:
; codeLenInByte = 0
; NumSgprs: 4
; NumVgprs: 0
; NumAgprs: 0
; TotalNumVgprs: 0
; ScratchSize: 0
; MemoryBound: 0
; FloatMode: 240
; IeeeMode: 1
; LDSByteSize: 0 bytes/workgroup (compile time only)
; SGPRBlocks: 0
; VGPRBlocks: 0
; NumSGPRsForWavesPerEU: 4
; NumVGPRsForWavesPerEU: 1
; AccumOffset: 4
; Occupancy: 8
; WaveLimiterHint : 0
; COMPUTE_PGM_RSRC2:SCRATCH_EN: 0
; COMPUTE_PGM_RSRC2:USER_SGPR: 6
; COMPUTE_PGM_RSRC2:TRAP_HANDLER: 0
; COMPUTE_PGM_RSRC2:TGID_X_EN: 1
; COMPUTE_PGM_RSRC2:TGID_Y_EN: 0
; COMPUTE_PGM_RSRC2:TGID_Z_EN: 0
; COMPUTE_PGM_RSRC2:TIDIG_COMP_CNT: 0
; COMPUTE_PGM_RSRC3_GFX90A:ACCUM_OFFSET: 0
; COMPUTE_PGM_RSRC3_GFX90A:TG_SPLIT: 0
	.section	.text._ZN7rocprim17ROCPRIM_400000_NS6detail17trampoline_kernelINS0_14default_configENS1_21merge_config_selectorItNS0_10empty_typeEEEZNS1_10merge_implIS3_N6thrust23THRUST_200600_302600_NS6detail15normal_iteratorINS9_10device_ptrIKtEEEESF_NSB_INSC_ItEEEEPS5_SI_SI_NS9_7greaterItEEEE10hipError_tPvRmT0_T1_T2_T3_T4_T5_mmT6_P12ihipStream_tbEUlT_E0_NS1_11comp_targetILNS1_3genE10ELNS1_11target_archE1200ELNS1_3gpuE4ELNS1_3repE0EEENS1_30default_config_static_selectorELNS0_4arch9wavefront6targetE1EEEvSP_,"axG",@progbits,_ZN7rocprim17ROCPRIM_400000_NS6detail17trampoline_kernelINS0_14default_configENS1_21merge_config_selectorItNS0_10empty_typeEEEZNS1_10merge_implIS3_N6thrust23THRUST_200600_302600_NS6detail15normal_iteratorINS9_10device_ptrIKtEEEESF_NSB_INSC_ItEEEEPS5_SI_SI_NS9_7greaterItEEEE10hipError_tPvRmT0_T1_T2_T3_T4_T5_mmT6_P12ihipStream_tbEUlT_E0_NS1_11comp_targetILNS1_3genE10ELNS1_11target_archE1200ELNS1_3gpuE4ELNS1_3repE0EEENS1_30default_config_static_selectorELNS0_4arch9wavefront6targetE1EEEvSP_,comdat
	.protected	_ZN7rocprim17ROCPRIM_400000_NS6detail17trampoline_kernelINS0_14default_configENS1_21merge_config_selectorItNS0_10empty_typeEEEZNS1_10merge_implIS3_N6thrust23THRUST_200600_302600_NS6detail15normal_iteratorINS9_10device_ptrIKtEEEESF_NSB_INSC_ItEEEEPS5_SI_SI_NS9_7greaterItEEEE10hipError_tPvRmT0_T1_T2_T3_T4_T5_mmT6_P12ihipStream_tbEUlT_E0_NS1_11comp_targetILNS1_3genE10ELNS1_11target_archE1200ELNS1_3gpuE4ELNS1_3repE0EEENS1_30default_config_static_selectorELNS0_4arch9wavefront6targetE1EEEvSP_ ; -- Begin function _ZN7rocprim17ROCPRIM_400000_NS6detail17trampoline_kernelINS0_14default_configENS1_21merge_config_selectorItNS0_10empty_typeEEEZNS1_10merge_implIS3_N6thrust23THRUST_200600_302600_NS6detail15normal_iteratorINS9_10device_ptrIKtEEEESF_NSB_INSC_ItEEEEPS5_SI_SI_NS9_7greaterItEEEE10hipError_tPvRmT0_T1_T2_T3_T4_T5_mmT6_P12ihipStream_tbEUlT_E0_NS1_11comp_targetILNS1_3genE10ELNS1_11target_archE1200ELNS1_3gpuE4ELNS1_3repE0EEENS1_30default_config_static_selectorELNS0_4arch9wavefront6targetE1EEEvSP_
	.globl	_ZN7rocprim17ROCPRIM_400000_NS6detail17trampoline_kernelINS0_14default_configENS1_21merge_config_selectorItNS0_10empty_typeEEEZNS1_10merge_implIS3_N6thrust23THRUST_200600_302600_NS6detail15normal_iteratorINS9_10device_ptrIKtEEEESF_NSB_INSC_ItEEEEPS5_SI_SI_NS9_7greaterItEEEE10hipError_tPvRmT0_T1_T2_T3_T4_T5_mmT6_P12ihipStream_tbEUlT_E0_NS1_11comp_targetILNS1_3genE10ELNS1_11target_archE1200ELNS1_3gpuE4ELNS1_3repE0EEENS1_30default_config_static_selectorELNS0_4arch9wavefront6targetE1EEEvSP_
	.p2align	8
	.type	_ZN7rocprim17ROCPRIM_400000_NS6detail17trampoline_kernelINS0_14default_configENS1_21merge_config_selectorItNS0_10empty_typeEEEZNS1_10merge_implIS3_N6thrust23THRUST_200600_302600_NS6detail15normal_iteratorINS9_10device_ptrIKtEEEESF_NSB_INSC_ItEEEEPS5_SI_SI_NS9_7greaterItEEEE10hipError_tPvRmT0_T1_T2_T3_T4_T5_mmT6_P12ihipStream_tbEUlT_E0_NS1_11comp_targetILNS1_3genE10ELNS1_11target_archE1200ELNS1_3gpuE4ELNS1_3repE0EEENS1_30default_config_static_selectorELNS0_4arch9wavefront6targetE1EEEvSP_,@function
_ZN7rocprim17ROCPRIM_400000_NS6detail17trampoline_kernelINS0_14default_configENS1_21merge_config_selectorItNS0_10empty_typeEEEZNS1_10merge_implIS3_N6thrust23THRUST_200600_302600_NS6detail15normal_iteratorINS9_10device_ptrIKtEEEESF_NSB_INSC_ItEEEEPS5_SI_SI_NS9_7greaterItEEEE10hipError_tPvRmT0_T1_T2_T3_T4_T5_mmT6_P12ihipStream_tbEUlT_E0_NS1_11comp_targetILNS1_3genE10ELNS1_11target_archE1200ELNS1_3gpuE4ELNS1_3repE0EEENS1_30default_config_static_selectorELNS0_4arch9wavefront6targetE1EEEvSP_: ; @_ZN7rocprim17ROCPRIM_400000_NS6detail17trampoline_kernelINS0_14default_configENS1_21merge_config_selectorItNS0_10empty_typeEEEZNS1_10merge_implIS3_N6thrust23THRUST_200600_302600_NS6detail15normal_iteratorINS9_10device_ptrIKtEEEESF_NSB_INSC_ItEEEEPS5_SI_SI_NS9_7greaterItEEEE10hipError_tPvRmT0_T1_T2_T3_T4_T5_mmT6_P12ihipStream_tbEUlT_E0_NS1_11comp_targetILNS1_3genE10ELNS1_11target_archE1200ELNS1_3gpuE4ELNS1_3repE0EEENS1_30default_config_static_selectorELNS0_4arch9wavefront6targetE1EEEvSP_
; %bb.0:
	.section	.rodata,"a",@progbits
	.p2align	6, 0x0
	.amdhsa_kernel _ZN7rocprim17ROCPRIM_400000_NS6detail17trampoline_kernelINS0_14default_configENS1_21merge_config_selectorItNS0_10empty_typeEEEZNS1_10merge_implIS3_N6thrust23THRUST_200600_302600_NS6detail15normal_iteratorINS9_10device_ptrIKtEEEESF_NSB_INSC_ItEEEEPS5_SI_SI_NS9_7greaterItEEEE10hipError_tPvRmT0_T1_T2_T3_T4_T5_mmT6_P12ihipStream_tbEUlT_E0_NS1_11comp_targetILNS1_3genE10ELNS1_11target_archE1200ELNS1_3gpuE4ELNS1_3repE0EEENS1_30default_config_static_selectorELNS0_4arch9wavefront6targetE1EEEvSP_
		.amdhsa_group_segment_fixed_size 0
		.amdhsa_private_segment_fixed_size 0
		.amdhsa_kernarg_size 88
		.amdhsa_user_sgpr_count 6
		.amdhsa_user_sgpr_private_segment_buffer 1
		.amdhsa_user_sgpr_dispatch_ptr 0
		.amdhsa_user_sgpr_queue_ptr 0
		.amdhsa_user_sgpr_kernarg_segment_ptr 1
		.amdhsa_user_sgpr_dispatch_id 0
		.amdhsa_user_sgpr_flat_scratch_init 0
		.amdhsa_user_sgpr_kernarg_preload_length 0
		.amdhsa_user_sgpr_kernarg_preload_offset 0
		.amdhsa_user_sgpr_private_segment_size 0
		.amdhsa_uses_dynamic_stack 0
		.amdhsa_system_sgpr_private_segment_wavefront_offset 0
		.amdhsa_system_sgpr_workgroup_id_x 1
		.amdhsa_system_sgpr_workgroup_id_y 0
		.amdhsa_system_sgpr_workgroup_id_z 0
		.amdhsa_system_sgpr_workgroup_info 0
		.amdhsa_system_vgpr_workitem_id 0
		.amdhsa_next_free_vgpr 1
		.amdhsa_next_free_sgpr 0
		.amdhsa_accum_offset 4
		.amdhsa_reserve_vcc 0
		.amdhsa_reserve_flat_scratch 0
		.amdhsa_float_round_mode_32 0
		.amdhsa_float_round_mode_16_64 0
		.amdhsa_float_denorm_mode_32 3
		.amdhsa_float_denorm_mode_16_64 3
		.amdhsa_dx10_clamp 1
		.amdhsa_ieee_mode 1
		.amdhsa_fp16_overflow 0
		.amdhsa_tg_split 0
		.amdhsa_exception_fp_ieee_invalid_op 0
		.amdhsa_exception_fp_denorm_src 0
		.amdhsa_exception_fp_ieee_div_zero 0
		.amdhsa_exception_fp_ieee_overflow 0
		.amdhsa_exception_fp_ieee_underflow 0
		.amdhsa_exception_fp_ieee_inexact 0
		.amdhsa_exception_int_div_zero 0
	.end_amdhsa_kernel
	.section	.text._ZN7rocprim17ROCPRIM_400000_NS6detail17trampoline_kernelINS0_14default_configENS1_21merge_config_selectorItNS0_10empty_typeEEEZNS1_10merge_implIS3_N6thrust23THRUST_200600_302600_NS6detail15normal_iteratorINS9_10device_ptrIKtEEEESF_NSB_INSC_ItEEEEPS5_SI_SI_NS9_7greaterItEEEE10hipError_tPvRmT0_T1_T2_T3_T4_T5_mmT6_P12ihipStream_tbEUlT_E0_NS1_11comp_targetILNS1_3genE10ELNS1_11target_archE1200ELNS1_3gpuE4ELNS1_3repE0EEENS1_30default_config_static_selectorELNS0_4arch9wavefront6targetE1EEEvSP_,"axG",@progbits,_ZN7rocprim17ROCPRIM_400000_NS6detail17trampoline_kernelINS0_14default_configENS1_21merge_config_selectorItNS0_10empty_typeEEEZNS1_10merge_implIS3_N6thrust23THRUST_200600_302600_NS6detail15normal_iteratorINS9_10device_ptrIKtEEEESF_NSB_INSC_ItEEEEPS5_SI_SI_NS9_7greaterItEEEE10hipError_tPvRmT0_T1_T2_T3_T4_T5_mmT6_P12ihipStream_tbEUlT_E0_NS1_11comp_targetILNS1_3genE10ELNS1_11target_archE1200ELNS1_3gpuE4ELNS1_3repE0EEENS1_30default_config_static_selectorELNS0_4arch9wavefront6targetE1EEEvSP_,comdat
.Lfunc_end548:
	.size	_ZN7rocprim17ROCPRIM_400000_NS6detail17trampoline_kernelINS0_14default_configENS1_21merge_config_selectorItNS0_10empty_typeEEEZNS1_10merge_implIS3_N6thrust23THRUST_200600_302600_NS6detail15normal_iteratorINS9_10device_ptrIKtEEEESF_NSB_INSC_ItEEEEPS5_SI_SI_NS9_7greaterItEEEE10hipError_tPvRmT0_T1_T2_T3_T4_T5_mmT6_P12ihipStream_tbEUlT_E0_NS1_11comp_targetILNS1_3genE10ELNS1_11target_archE1200ELNS1_3gpuE4ELNS1_3repE0EEENS1_30default_config_static_selectorELNS0_4arch9wavefront6targetE1EEEvSP_, .Lfunc_end548-_ZN7rocprim17ROCPRIM_400000_NS6detail17trampoline_kernelINS0_14default_configENS1_21merge_config_selectorItNS0_10empty_typeEEEZNS1_10merge_implIS3_N6thrust23THRUST_200600_302600_NS6detail15normal_iteratorINS9_10device_ptrIKtEEEESF_NSB_INSC_ItEEEEPS5_SI_SI_NS9_7greaterItEEEE10hipError_tPvRmT0_T1_T2_T3_T4_T5_mmT6_P12ihipStream_tbEUlT_E0_NS1_11comp_targetILNS1_3genE10ELNS1_11target_archE1200ELNS1_3gpuE4ELNS1_3repE0EEENS1_30default_config_static_selectorELNS0_4arch9wavefront6targetE1EEEvSP_
                                        ; -- End function
	.section	.AMDGPU.csdata,"",@progbits
; Kernel info:
; codeLenInByte = 0
; NumSgprs: 4
; NumVgprs: 0
; NumAgprs: 0
; TotalNumVgprs: 0
; ScratchSize: 0
; MemoryBound: 0
; FloatMode: 240
; IeeeMode: 1
; LDSByteSize: 0 bytes/workgroup (compile time only)
; SGPRBlocks: 0
; VGPRBlocks: 0
; NumSGPRsForWavesPerEU: 4
; NumVGPRsForWavesPerEU: 1
; AccumOffset: 4
; Occupancy: 8
; WaveLimiterHint : 0
; COMPUTE_PGM_RSRC2:SCRATCH_EN: 0
; COMPUTE_PGM_RSRC2:USER_SGPR: 6
; COMPUTE_PGM_RSRC2:TRAP_HANDLER: 0
; COMPUTE_PGM_RSRC2:TGID_X_EN: 1
; COMPUTE_PGM_RSRC2:TGID_Y_EN: 0
; COMPUTE_PGM_RSRC2:TGID_Z_EN: 0
; COMPUTE_PGM_RSRC2:TIDIG_COMP_CNT: 0
; COMPUTE_PGM_RSRC3_GFX90A:ACCUM_OFFSET: 0
; COMPUTE_PGM_RSRC3_GFX90A:TG_SPLIT: 0
	.section	.text._ZN7rocprim17ROCPRIM_400000_NS6detail17trampoline_kernelINS0_14default_configENS1_21merge_config_selectorItNS0_10empty_typeEEEZNS1_10merge_implIS3_N6thrust23THRUST_200600_302600_NS6detail15normal_iteratorINS9_10device_ptrIKtEEEESF_NSB_INSC_ItEEEEPS5_SI_SI_NS9_7greaterItEEEE10hipError_tPvRmT0_T1_T2_T3_T4_T5_mmT6_P12ihipStream_tbEUlT_E0_NS1_11comp_targetILNS1_3genE9ELNS1_11target_archE1100ELNS1_3gpuE3ELNS1_3repE0EEENS1_30default_config_static_selectorELNS0_4arch9wavefront6targetE1EEEvSP_,"axG",@progbits,_ZN7rocprim17ROCPRIM_400000_NS6detail17trampoline_kernelINS0_14default_configENS1_21merge_config_selectorItNS0_10empty_typeEEEZNS1_10merge_implIS3_N6thrust23THRUST_200600_302600_NS6detail15normal_iteratorINS9_10device_ptrIKtEEEESF_NSB_INSC_ItEEEEPS5_SI_SI_NS9_7greaterItEEEE10hipError_tPvRmT0_T1_T2_T3_T4_T5_mmT6_P12ihipStream_tbEUlT_E0_NS1_11comp_targetILNS1_3genE9ELNS1_11target_archE1100ELNS1_3gpuE3ELNS1_3repE0EEENS1_30default_config_static_selectorELNS0_4arch9wavefront6targetE1EEEvSP_,comdat
	.protected	_ZN7rocprim17ROCPRIM_400000_NS6detail17trampoline_kernelINS0_14default_configENS1_21merge_config_selectorItNS0_10empty_typeEEEZNS1_10merge_implIS3_N6thrust23THRUST_200600_302600_NS6detail15normal_iteratorINS9_10device_ptrIKtEEEESF_NSB_INSC_ItEEEEPS5_SI_SI_NS9_7greaterItEEEE10hipError_tPvRmT0_T1_T2_T3_T4_T5_mmT6_P12ihipStream_tbEUlT_E0_NS1_11comp_targetILNS1_3genE9ELNS1_11target_archE1100ELNS1_3gpuE3ELNS1_3repE0EEENS1_30default_config_static_selectorELNS0_4arch9wavefront6targetE1EEEvSP_ ; -- Begin function _ZN7rocprim17ROCPRIM_400000_NS6detail17trampoline_kernelINS0_14default_configENS1_21merge_config_selectorItNS0_10empty_typeEEEZNS1_10merge_implIS3_N6thrust23THRUST_200600_302600_NS6detail15normal_iteratorINS9_10device_ptrIKtEEEESF_NSB_INSC_ItEEEEPS5_SI_SI_NS9_7greaterItEEEE10hipError_tPvRmT0_T1_T2_T3_T4_T5_mmT6_P12ihipStream_tbEUlT_E0_NS1_11comp_targetILNS1_3genE9ELNS1_11target_archE1100ELNS1_3gpuE3ELNS1_3repE0EEENS1_30default_config_static_selectorELNS0_4arch9wavefront6targetE1EEEvSP_
	.globl	_ZN7rocprim17ROCPRIM_400000_NS6detail17trampoline_kernelINS0_14default_configENS1_21merge_config_selectorItNS0_10empty_typeEEEZNS1_10merge_implIS3_N6thrust23THRUST_200600_302600_NS6detail15normal_iteratorINS9_10device_ptrIKtEEEESF_NSB_INSC_ItEEEEPS5_SI_SI_NS9_7greaterItEEEE10hipError_tPvRmT0_T1_T2_T3_T4_T5_mmT6_P12ihipStream_tbEUlT_E0_NS1_11comp_targetILNS1_3genE9ELNS1_11target_archE1100ELNS1_3gpuE3ELNS1_3repE0EEENS1_30default_config_static_selectorELNS0_4arch9wavefront6targetE1EEEvSP_
	.p2align	8
	.type	_ZN7rocprim17ROCPRIM_400000_NS6detail17trampoline_kernelINS0_14default_configENS1_21merge_config_selectorItNS0_10empty_typeEEEZNS1_10merge_implIS3_N6thrust23THRUST_200600_302600_NS6detail15normal_iteratorINS9_10device_ptrIKtEEEESF_NSB_INSC_ItEEEEPS5_SI_SI_NS9_7greaterItEEEE10hipError_tPvRmT0_T1_T2_T3_T4_T5_mmT6_P12ihipStream_tbEUlT_E0_NS1_11comp_targetILNS1_3genE9ELNS1_11target_archE1100ELNS1_3gpuE3ELNS1_3repE0EEENS1_30default_config_static_selectorELNS0_4arch9wavefront6targetE1EEEvSP_,@function
_ZN7rocprim17ROCPRIM_400000_NS6detail17trampoline_kernelINS0_14default_configENS1_21merge_config_selectorItNS0_10empty_typeEEEZNS1_10merge_implIS3_N6thrust23THRUST_200600_302600_NS6detail15normal_iteratorINS9_10device_ptrIKtEEEESF_NSB_INSC_ItEEEEPS5_SI_SI_NS9_7greaterItEEEE10hipError_tPvRmT0_T1_T2_T3_T4_T5_mmT6_P12ihipStream_tbEUlT_E0_NS1_11comp_targetILNS1_3genE9ELNS1_11target_archE1100ELNS1_3gpuE3ELNS1_3repE0EEENS1_30default_config_static_selectorELNS0_4arch9wavefront6targetE1EEEvSP_: ; @_ZN7rocprim17ROCPRIM_400000_NS6detail17trampoline_kernelINS0_14default_configENS1_21merge_config_selectorItNS0_10empty_typeEEEZNS1_10merge_implIS3_N6thrust23THRUST_200600_302600_NS6detail15normal_iteratorINS9_10device_ptrIKtEEEESF_NSB_INSC_ItEEEEPS5_SI_SI_NS9_7greaterItEEEE10hipError_tPvRmT0_T1_T2_T3_T4_T5_mmT6_P12ihipStream_tbEUlT_E0_NS1_11comp_targetILNS1_3genE9ELNS1_11target_archE1100ELNS1_3gpuE3ELNS1_3repE0EEENS1_30default_config_static_selectorELNS0_4arch9wavefront6targetE1EEEvSP_
; %bb.0:
	.section	.rodata,"a",@progbits
	.p2align	6, 0x0
	.amdhsa_kernel _ZN7rocprim17ROCPRIM_400000_NS6detail17trampoline_kernelINS0_14default_configENS1_21merge_config_selectorItNS0_10empty_typeEEEZNS1_10merge_implIS3_N6thrust23THRUST_200600_302600_NS6detail15normal_iteratorINS9_10device_ptrIKtEEEESF_NSB_INSC_ItEEEEPS5_SI_SI_NS9_7greaterItEEEE10hipError_tPvRmT0_T1_T2_T3_T4_T5_mmT6_P12ihipStream_tbEUlT_E0_NS1_11comp_targetILNS1_3genE9ELNS1_11target_archE1100ELNS1_3gpuE3ELNS1_3repE0EEENS1_30default_config_static_selectorELNS0_4arch9wavefront6targetE1EEEvSP_
		.amdhsa_group_segment_fixed_size 0
		.amdhsa_private_segment_fixed_size 0
		.amdhsa_kernarg_size 88
		.amdhsa_user_sgpr_count 6
		.amdhsa_user_sgpr_private_segment_buffer 1
		.amdhsa_user_sgpr_dispatch_ptr 0
		.amdhsa_user_sgpr_queue_ptr 0
		.amdhsa_user_sgpr_kernarg_segment_ptr 1
		.amdhsa_user_sgpr_dispatch_id 0
		.amdhsa_user_sgpr_flat_scratch_init 0
		.amdhsa_user_sgpr_kernarg_preload_length 0
		.amdhsa_user_sgpr_kernarg_preload_offset 0
		.amdhsa_user_sgpr_private_segment_size 0
		.amdhsa_uses_dynamic_stack 0
		.amdhsa_system_sgpr_private_segment_wavefront_offset 0
		.amdhsa_system_sgpr_workgroup_id_x 1
		.amdhsa_system_sgpr_workgroup_id_y 0
		.amdhsa_system_sgpr_workgroup_id_z 0
		.amdhsa_system_sgpr_workgroup_info 0
		.amdhsa_system_vgpr_workitem_id 0
		.amdhsa_next_free_vgpr 1
		.amdhsa_next_free_sgpr 0
		.amdhsa_accum_offset 4
		.amdhsa_reserve_vcc 0
		.amdhsa_reserve_flat_scratch 0
		.amdhsa_float_round_mode_32 0
		.amdhsa_float_round_mode_16_64 0
		.amdhsa_float_denorm_mode_32 3
		.amdhsa_float_denorm_mode_16_64 3
		.amdhsa_dx10_clamp 1
		.amdhsa_ieee_mode 1
		.amdhsa_fp16_overflow 0
		.amdhsa_tg_split 0
		.amdhsa_exception_fp_ieee_invalid_op 0
		.amdhsa_exception_fp_denorm_src 0
		.amdhsa_exception_fp_ieee_div_zero 0
		.amdhsa_exception_fp_ieee_overflow 0
		.amdhsa_exception_fp_ieee_underflow 0
		.amdhsa_exception_fp_ieee_inexact 0
		.amdhsa_exception_int_div_zero 0
	.end_amdhsa_kernel
	.section	.text._ZN7rocprim17ROCPRIM_400000_NS6detail17trampoline_kernelINS0_14default_configENS1_21merge_config_selectorItNS0_10empty_typeEEEZNS1_10merge_implIS3_N6thrust23THRUST_200600_302600_NS6detail15normal_iteratorINS9_10device_ptrIKtEEEESF_NSB_INSC_ItEEEEPS5_SI_SI_NS9_7greaterItEEEE10hipError_tPvRmT0_T1_T2_T3_T4_T5_mmT6_P12ihipStream_tbEUlT_E0_NS1_11comp_targetILNS1_3genE9ELNS1_11target_archE1100ELNS1_3gpuE3ELNS1_3repE0EEENS1_30default_config_static_selectorELNS0_4arch9wavefront6targetE1EEEvSP_,"axG",@progbits,_ZN7rocprim17ROCPRIM_400000_NS6detail17trampoline_kernelINS0_14default_configENS1_21merge_config_selectorItNS0_10empty_typeEEEZNS1_10merge_implIS3_N6thrust23THRUST_200600_302600_NS6detail15normal_iteratorINS9_10device_ptrIKtEEEESF_NSB_INSC_ItEEEEPS5_SI_SI_NS9_7greaterItEEEE10hipError_tPvRmT0_T1_T2_T3_T4_T5_mmT6_P12ihipStream_tbEUlT_E0_NS1_11comp_targetILNS1_3genE9ELNS1_11target_archE1100ELNS1_3gpuE3ELNS1_3repE0EEENS1_30default_config_static_selectorELNS0_4arch9wavefront6targetE1EEEvSP_,comdat
.Lfunc_end549:
	.size	_ZN7rocprim17ROCPRIM_400000_NS6detail17trampoline_kernelINS0_14default_configENS1_21merge_config_selectorItNS0_10empty_typeEEEZNS1_10merge_implIS3_N6thrust23THRUST_200600_302600_NS6detail15normal_iteratorINS9_10device_ptrIKtEEEESF_NSB_INSC_ItEEEEPS5_SI_SI_NS9_7greaterItEEEE10hipError_tPvRmT0_T1_T2_T3_T4_T5_mmT6_P12ihipStream_tbEUlT_E0_NS1_11comp_targetILNS1_3genE9ELNS1_11target_archE1100ELNS1_3gpuE3ELNS1_3repE0EEENS1_30default_config_static_selectorELNS0_4arch9wavefront6targetE1EEEvSP_, .Lfunc_end549-_ZN7rocprim17ROCPRIM_400000_NS6detail17trampoline_kernelINS0_14default_configENS1_21merge_config_selectorItNS0_10empty_typeEEEZNS1_10merge_implIS3_N6thrust23THRUST_200600_302600_NS6detail15normal_iteratorINS9_10device_ptrIKtEEEESF_NSB_INSC_ItEEEEPS5_SI_SI_NS9_7greaterItEEEE10hipError_tPvRmT0_T1_T2_T3_T4_T5_mmT6_P12ihipStream_tbEUlT_E0_NS1_11comp_targetILNS1_3genE9ELNS1_11target_archE1100ELNS1_3gpuE3ELNS1_3repE0EEENS1_30default_config_static_selectorELNS0_4arch9wavefront6targetE1EEEvSP_
                                        ; -- End function
	.section	.AMDGPU.csdata,"",@progbits
; Kernel info:
; codeLenInByte = 0
; NumSgprs: 4
; NumVgprs: 0
; NumAgprs: 0
; TotalNumVgprs: 0
; ScratchSize: 0
; MemoryBound: 0
; FloatMode: 240
; IeeeMode: 1
; LDSByteSize: 0 bytes/workgroup (compile time only)
; SGPRBlocks: 0
; VGPRBlocks: 0
; NumSGPRsForWavesPerEU: 4
; NumVGPRsForWavesPerEU: 1
; AccumOffset: 4
; Occupancy: 8
; WaveLimiterHint : 0
; COMPUTE_PGM_RSRC2:SCRATCH_EN: 0
; COMPUTE_PGM_RSRC2:USER_SGPR: 6
; COMPUTE_PGM_RSRC2:TRAP_HANDLER: 0
; COMPUTE_PGM_RSRC2:TGID_X_EN: 1
; COMPUTE_PGM_RSRC2:TGID_Y_EN: 0
; COMPUTE_PGM_RSRC2:TGID_Z_EN: 0
; COMPUTE_PGM_RSRC2:TIDIG_COMP_CNT: 0
; COMPUTE_PGM_RSRC3_GFX90A:ACCUM_OFFSET: 0
; COMPUTE_PGM_RSRC3_GFX90A:TG_SPLIT: 0
	.section	.text._ZN7rocprim17ROCPRIM_400000_NS6detail17trampoline_kernelINS0_14default_configENS1_21merge_config_selectorItNS0_10empty_typeEEEZNS1_10merge_implIS3_N6thrust23THRUST_200600_302600_NS6detail15normal_iteratorINS9_10device_ptrIKtEEEESF_NSB_INSC_ItEEEEPS5_SI_SI_NS9_7greaterItEEEE10hipError_tPvRmT0_T1_T2_T3_T4_T5_mmT6_P12ihipStream_tbEUlT_E0_NS1_11comp_targetILNS1_3genE8ELNS1_11target_archE1030ELNS1_3gpuE2ELNS1_3repE0EEENS1_30default_config_static_selectorELNS0_4arch9wavefront6targetE1EEEvSP_,"axG",@progbits,_ZN7rocprim17ROCPRIM_400000_NS6detail17trampoline_kernelINS0_14default_configENS1_21merge_config_selectorItNS0_10empty_typeEEEZNS1_10merge_implIS3_N6thrust23THRUST_200600_302600_NS6detail15normal_iteratorINS9_10device_ptrIKtEEEESF_NSB_INSC_ItEEEEPS5_SI_SI_NS9_7greaterItEEEE10hipError_tPvRmT0_T1_T2_T3_T4_T5_mmT6_P12ihipStream_tbEUlT_E0_NS1_11comp_targetILNS1_3genE8ELNS1_11target_archE1030ELNS1_3gpuE2ELNS1_3repE0EEENS1_30default_config_static_selectorELNS0_4arch9wavefront6targetE1EEEvSP_,comdat
	.protected	_ZN7rocprim17ROCPRIM_400000_NS6detail17trampoline_kernelINS0_14default_configENS1_21merge_config_selectorItNS0_10empty_typeEEEZNS1_10merge_implIS3_N6thrust23THRUST_200600_302600_NS6detail15normal_iteratorINS9_10device_ptrIKtEEEESF_NSB_INSC_ItEEEEPS5_SI_SI_NS9_7greaterItEEEE10hipError_tPvRmT0_T1_T2_T3_T4_T5_mmT6_P12ihipStream_tbEUlT_E0_NS1_11comp_targetILNS1_3genE8ELNS1_11target_archE1030ELNS1_3gpuE2ELNS1_3repE0EEENS1_30default_config_static_selectorELNS0_4arch9wavefront6targetE1EEEvSP_ ; -- Begin function _ZN7rocprim17ROCPRIM_400000_NS6detail17trampoline_kernelINS0_14default_configENS1_21merge_config_selectorItNS0_10empty_typeEEEZNS1_10merge_implIS3_N6thrust23THRUST_200600_302600_NS6detail15normal_iteratorINS9_10device_ptrIKtEEEESF_NSB_INSC_ItEEEEPS5_SI_SI_NS9_7greaterItEEEE10hipError_tPvRmT0_T1_T2_T3_T4_T5_mmT6_P12ihipStream_tbEUlT_E0_NS1_11comp_targetILNS1_3genE8ELNS1_11target_archE1030ELNS1_3gpuE2ELNS1_3repE0EEENS1_30default_config_static_selectorELNS0_4arch9wavefront6targetE1EEEvSP_
	.globl	_ZN7rocprim17ROCPRIM_400000_NS6detail17trampoline_kernelINS0_14default_configENS1_21merge_config_selectorItNS0_10empty_typeEEEZNS1_10merge_implIS3_N6thrust23THRUST_200600_302600_NS6detail15normal_iteratorINS9_10device_ptrIKtEEEESF_NSB_INSC_ItEEEEPS5_SI_SI_NS9_7greaterItEEEE10hipError_tPvRmT0_T1_T2_T3_T4_T5_mmT6_P12ihipStream_tbEUlT_E0_NS1_11comp_targetILNS1_3genE8ELNS1_11target_archE1030ELNS1_3gpuE2ELNS1_3repE0EEENS1_30default_config_static_selectorELNS0_4arch9wavefront6targetE1EEEvSP_
	.p2align	8
	.type	_ZN7rocprim17ROCPRIM_400000_NS6detail17trampoline_kernelINS0_14default_configENS1_21merge_config_selectorItNS0_10empty_typeEEEZNS1_10merge_implIS3_N6thrust23THRUST_200600_302600_NS6detail15normal_iteratorINS9_10device_ptrIKtEEEESF_NSB_INSC_ItEEEEPS5_SI_SI_NS9_7greaterItEEEE10hipError_tPvRmT0_T1_T2_T3_T4_T5_mmT6_P12ihipStream_tbEUlT_E0_NS1_11comp_targetILNS1_3genE8ELNS1_11target_archE1030ELNS1_3gpuE2ELNS1_3repE0EEENS1_30default_config_static_selectorELNS0_4arch9wavefront6targetE1EEEvSP_,@function
_ZN7rocprim17ROCPRIM_400000_NS6detail17trampoline_kernelINS0_14default_configENS1_21merge_config_selectorItNS0_10empty_typeEEEZNS1_10merge_implIS3_N6thrust23THRUST_200600_302600_NS6detail15normal_iteratorINS9_10device_ptrIKtEEEESF_NSB_INSC_ItEEEEPS5_SI_SI_NS9_7greaterItEEEE10hipError_tPvRmT0_T1_T2_T3_T4_T5_mmT6_P12ihipStream_tbEUlT_E0_NS1_11comp_targetILNS1_3genE8ELNS1_11target_archE1030ELNS1_3gpuE2ELNS1_3repE0EEENS1_30default_config_static_selectorELNS0_4arch9wavefront6targetE1EEEvSP_: ; @_ZN7rocprim17ROCPRIM_400000_NS6detail17trampoline_kernelINS0_14default_configENS1_21merge_config_selectorItNS0_10empty_typeEEEZNS1_10merge_implIS3_N6thrust23THRUST_200600_302600_NS6detail15normal_iteratorINS9_10device_ptrIKtEEEESF_NSB_INSC_ItEEEEPS5_SI_SI_NS9_7greaterItEEEE10hipError_tPvRmT0_T1_T2_T3_T4_T5_mmT6_P12ihipStream_tbEUlT_E0_NS1_11comp_targetILNS1_3genE8ELNS1_11target_archE1030ELNS1_3gpuE2ELNS1_3repE0EEENS1_30default_config_static_selectorELNS0_4arch9wavefront6targetE1EEEvSP_
; %bb.0:
	.section	.rodata,"a",@progbits
	.p2align	6, 0x0
	.amdhsa_kernel _ZN7rocprim17ROCPRIM_400000_NS6detail17trampoline_kernelINS0_14default_configENS1_21merge_config_selectorItNS0_10empty_typeEEEZNS1_10merge_implIS3_N6thrust23THRUST_200600_302600_NS6detail15normal_iteratorINS9_10device_ptrIKtEEEESF_NSB_INSC_ItEEEEPS5_SI_SI_NS9_7greaterItEEEE10hipError_tPvRmT0_T1_T2_T3_T4_T5_mmT6_P12ihipStream_tbEUlT_E0_NS1_11comp_targetILNS1_3genE8ELNS1_11target_archE1030ELNS1_3gpuE2ELNS1_3repE0EEENS1_30default_config_static_selectorELNS0_4arch9wavefront6targetE1EEEvSP_
		.amdhsa_group_segment_fixed_size 0
		.amdhsa_private_segment_fixed_size 0
		.amdhsa_kernarg_size 88
		.amdhsa_user_sgpr_count 6
		.amdhsa_user_sgpr_private_segment_buffer 1
		.amdhsa_user_sgpr_dispatch_ptr 0
		.amdhsa_user_sgpr_queue_ptr 0
		.amdhsa_user_sgpr_kernarg_segment_ptr 1
		.amdhsa_user_sgpr_dispatch_id 0
		.amdhsa_user_sgpr_flat_scratch_init 0
		.amdhsa_user_sgpr_kernarg_preload_length 0
		.amdhsa_user_sgpr_kernarg_preload_offset 0
		.amdhsa_user_sgpr_private_segment_size 0
		.amdhsa_uses_dynamic_stack 0
		.amdhsa_system_sgpr_private_segment_wavefront_offset 0
		.amdhsa_system_sgpr_workgroup_id_x 1
		.amdhsa_system_sgpr_workgroup_id_y 0
		.amdhsa_system_sgpr_workgroup_id_z 0
		.amdhsa_system_sgpr_workgroup_info 0
		.amdhsa_system_vgpr_workitem_id 0
		.amdhsa_next_free_vgpr 1
		.amdhsa_next_free_sgpr 0
		.amdhsa_accum_offset 4
		.amdhsa_reserve_vcc 0
		.amdhsa_reserve_flat_scratch 0
		.amdhsa_float_round_mode_32 0
		.amdhsa_float_round_mode_16_64 0
		.amdhsa_float_denorm_mode_32 3
		.amdhsa_float_denorm_mode_16_64 3
		.amdhsa_dx10_clamp 1
		.amdhsa_ieee_mode 1
		.amdhsa_fp16_overflow 0
		.amdhsa_tg_split 0
		.amdhsa_exception_fp_ieee_invalid_op 0
		.amdhsa_exception_fp_denorm_src 0
		.amdhsa_exception_fp_ieee_div_zero 0
		.amdhsa_exception_fp_ieee_overflow 0
		.amdhsa_exception_fp_ieee_underflow 0
		.amdhsa_exception_fp_ieee_inexact 0
		.amdhsa_exception_int_div_zero 0
	.end_amdhsa_kernel
	.section	.text._ZN7rocprim17ROCPRIM_400000_NS6detail17trampoline_kernelINS0_14default_configENS1_21merge_config_selectorItNS0_10empty_typeEEEZNS1_10merge_implIS3_N6thrust23THRUST_200600_302600_NS6detail15normal_iteratorINS9_10device_ptrIKtEEEESF_NSB_INSC_ItEEEEPS5_SI_SI_NS9_7greaterItEEEE10hipError_tPvRmT0_T1_T2_T3_T4_T5_mmT6_P12ihipStream_tbEUlT_E0_NS1_11comp_targetILNS1_3genE8ELNS1_11target_archE1030ELNS1_3gpuE2ELNS1_3repE0EEENS1_30default_config_static_selectorELNS0_4arch9wavefront6targetE1EEEvSP_,"axG",@progbits,_ZN7rocprim17ROCPRIM_400000_NS6detail17trampoline_kernelINS0_14default_configENS1_21merge_config_selectorItNS0_10empty_typeEEEZNS1_10merge_implIS3_N6thrust23THRUST_200600_302600_NS6detail15normal_iteratorINS9_10device_ptrIKtEEEESF_NSB_INSC_ItEEEEPS5_SI_SI_NS9_7greaterItEEEE10hipError_tPvRmT0_T1_T2_T3_T4_T5_mmT6_P12ihipStream_tbEUlT_E0_NS1_11comp_targetILNS1_3genE8ELNS1_11target_archE1030ELNS1_3gpuE2ELNS1_3repE0EEENS1_30default_config_static_selectorELNS0_4arch9wavefront6targetE1EEEvSP_,comdat
.Lfunc_end550:
	.size	_ZN7rocprim17ROCPRIM_400000_NS6detail17trampoline_kernelINS0_14default_configENS1_21merge_config_selectorItNS0_10empty_typeEEEZNS1_10merge_implIS3_N6thrust23THRUST_200600_302600_NS6detail15normal_iteratorINS9_10device_ptrIKtEEEESF_NSB_INSC_ItEEEEPS5_SI_SI_NS9_7greaterItEEEE10hipError_tPvRmT0_T1_T2_T3_T4_T5_mmT6_P12ihipStream_tbEUlT_E0_NS1_11comp_targetILNS1_3genE8ELNS1_11target_archE1030ELNS1_3gpuE2ELNS1_3repE0EEENS1_30default_config_static_selectorELNS0_4arch9wavefront6targetE1EEEvSP_, .Lfunc_end550-_ZN7rocprim17ROCPRIM_400000_NS6detail17trampoline_kernelINS0_14default_configENS1_21merge_config_selectorItNS0_10empty_typeEEEZNS1_10merge_implIS3_N6thrust23THRUST_200600_302600_NS6detail15normal_iteratorINS9_10device_ptrIKtEEEESF_NSB_INSC_ItEEEEPS5_SI_SI_NS9_7greaterItEEEE10hipError_tPvRmT0_T1_T2_T3_T4_T5_mmT6_P12ihipStream_tbEUlT_E0_NS1_11comp_targetILNS1_3genE8ELNS1_11target_archE1030ELNS1_3gpuE2ELNS1_3repE0EEENS1_30default_config_static_selectorELNS0_4arch9wavefront6targetE1EEEvSP_
                                        ; -- End function
	.section	.AMDGPU.csdata,"",@progbits
; Kernel info:
; codeLenInByte = 0
; NumSgprs: 4
; NumVgprs: 0
; NumAgprs: 0
; TotalNumVgprs: 0
; ScratchSize: 0
; MemoryBound: 0
; FloatMode: 240
; IeeeMode: 1
; LDSByteSize: 0 bytes/workgroup (compile time only)
; SGPRBlocks: 0
; VGPRBlocks: 0
; NumSGPRsForWavesPerEU: 4
; NumVGPRsForWavesPerEU: 1
; AccumOffset: 4
; Occupancy: 8
; WaveLimiterHint : 0
; COMPUTE_PGM_RSRC2:SCRATCH_EN: 0
; COMPUTE_PGM_RSRC2:USER_SGPR: 6
; COMPUTE_PGM_RSRC2:TRAP_HANDLER: 0
; COMPUTE_PGM_RSRC2:TGID_X_EN: 1
; COMPUTE_PGM_RSRC2:TGID_Y_EN: 0
; COMPUTE_PGM_RSRC2:TGID_Z_EN: 0
; COMPUTE_PGM_RSRC2:TIDIG_COMP_CNT: 0
; COMPUTE_PGM_RSRC3_GFX90A:ACCUM_OFFSET: 0
; COMPUTE_PGM_RSRC3_GFX90A:TG_SPLIT: 0
	.section	.text._ZN7rocprim17ROCPRIM_400000_NS6detail17trampoline_kernelINS0_14default_configENS1_21merge_config_selectorIxNS0_10empty_typeEEEZNS1_10merge_implIS3_N6thrust23THRUST_200600_302600_NS6detail15normal_iteratorINS9_10device_ptrIKxEEEESF_NSB_INSC_IxEEEEPS5_SI_SI_NS9_7greaterIxEEEE10hipError_tPvRmT0_T1_T2_T3_T4_T5_mmT6_P12ihipStream_tbEUlT_E_NS1_11comp_targetILNS1_3genE0ELNS1_11target_archE4294967295ELNS1_3gpuE0ELNS1_3repE0EEENS1_30default_config_static_selectorELNS0_4arch9wavefront6targetE1EEEvSP_,"axG",@progbits,_ZN7rocprim17ROCPRIM_400000_NS6detail17trampoline_kernelINS0_14default_configENS1_21merge_config_selectorIxNS0_10empty_typeEEEZNS1_10merge_implIS3_N6thrust23THRUST_200600_302600_NS6detail15normal_iteratorINS9_10device_ptrIKxEEEESF_NSB_INSC_IxEEEEPS5_SI_SI_NS9_7greaterIxEEEE10hipError_tPvRmT0_T1_T2_T3_T4_T5_mmT6_P12ihipStream_tbEUlT_E_NS1_11comp_targetILNS1_3genE0ELNS1_11target_archE4294967295ELNS1_3gpuE0ELNS1_3repE0EEENS1_30default_config_static_selectorELNS0_4arch9wavefront6targetE1EEEvSP_,comdat
	.protected	_ZN7rocprim17ROCPRIM_400000_NS6detail17trampoline_kernelINS0_14default_configENS1_21merge_config_selectorIxNS0_10empty_typeEEEZNS1_10merge_implIS3_N6thrust23THRUST_200600_302600_NS6detail15normal_iteratorINS9_10device_ptrIKxEEEESF_NSB_INSC_IxEEEEPS5_SI_SI_NS9_7greaterIxEEEE10hipError_tPvRmT0_T1_T2_T3_T4_T5_mmT6_P12ihipStream_tbEUlT_E_NS1_11comp_targetILNS1_3genE0ELNS1_11target_archE4294967295ELNS1_3gpuE0ELNS1_3repE0EEENS1_30default_config_static_selectorELNS0_4arch9wavefront6targetE1EEEvSP_ ; -- Begin function _ZN7rocprim17ROCPRIM_400000_NS6detail17trampoline_kernelINS0_14default_configENS1_21merge_config_selectorIxNS0_10empty_typeEEEZNS1_10merge_implIS3_N6thrust23THRUST_200600_302600_NS6detail15normal_iteratorINS9_10device_ptrIKxEEEESF_NSB_INSC_IxEEEEPS5_SI_SI_NS9_7greaterIxEEEE10hipError_tPvRmT0_T1_T2_T3_T4_T5_mmT6_P12ihipStream_tbEUlT_E_NS1_11comp_targetILNS1_3genE0ELNS1_11target_archE4294967295ELNS1_3gpuE0ELNS1_3repE0EEENS1_30default_config_static_selectorELNS0_4arch9wavefront6targetE1EEEvSP_
	.globl	_ZN7rocprim17ROCPRIM_400000_NS6detail17trampoline_kernelINS0_14default_configENS1_21merge_config_selectorIxNS0_10empty_typeEEEZNS1_10merge_implIS3_N6thrust23THRUST_200600_302600_NS6detail15normal_iteratorINS9_10device_ptrIKxEEEESF_NSB_INSC_IxEEEEPS5_SI_SI_NS9_7greaterIxEEEE10hipError_tPvRmT0_T1_T2_T3_T4_T5_mmT6_P12ihipStream_tbEUlT_E_NS1_11comp_targetILNS1_3genE0ELNS1_11target_archE4294967295ELNS1_3gpuE0ELNS1_3repE0EEENS1_30default_config_static_selectorELNS0_4arch9wavefront6targetE1EEEvSP_
	.p2align	8
	.type	_ZN7rocprim17ROCPRIM_400000_NS6detail17trampoline_kernelINS0_14default_configENS1_21merge_config_selectorIxNS0_10empty_typeEEEZNS1_10merge_implIS3_N6thrust23THRUST_200600_302600_NS6detail15normal_iteratorINS9_10device_ptrIKxEEEESF_NSB_INSC_IxEEEEPS5_SI_SI_NS9_7greaterIxEEEE10hipError_tPvRmT0_T1_T2_T3_T4_T5_mmT6_P12ihipStream_tbEUlT_E_NS1_11comp_targetILNS1_3genE0ELNS1_11target_archE4294967295ELNS1_3gpuE0ELNS1_3repE0EEENS1_30default_config_static_selectorELNS0_4arch9wavefront6targetE1EEEvSP_,@function
_ZN7rocprim17ROCPRIM_400000_NS6detail17trampoline_kernelINS0_14default_configENS1_21merge_config_selectorIxNS0_10empty_typeEEEZNS1_10merge_implIS3_N6thrust23THRUST_200600_302600_NS6detail15normal_iteratorINS9_10device_ptrIKxEEEESF_NSB_INSC_IxEEEEPS5_SI_SI_NS9_7greaterIxEEEE10hipError_tPvRmT0_T1_T2_T3_T4_T5_mmT6_P12ihipStream_tbEUlT_E_NS1_11comp_targetILNS1_3genE0ELNS1_11target_archE4294967295ELNS1_3gpuE0ELNS1_3repE0EEENS1_30default_config_static_selectorELNS0_4arch9wavefront6targetE1EEEvSP_: ; @_ZN7rocprim17ROCPRIM_400000_NS6detail17trampoline_kernelINS0_14default_configENS1_21merge_config_selectorIxNS0_10empty_typeEEEZNS1_10merge_implIS3_N6thrust23THRUST_200600_302600_NS6detail15normal_iteratorINS9_10device_ptrIKxEEEESF_NSB_INSC_IxEEEEPS5_SI_SI_NS9_7greaterIxEEEE10hipError_tPvRmT0_T1_T2_T3_T4_T5_mmT6_P12ihipStream_tbEUlT_E_NS1_11comp_targetILNS1_3genE0ELNS1_11target_archE4294967295ELNS1_3gpuE0ELNS1_3repE0EEENS1_30default_config_static_selectorELNS0_4arch9wavefront6targetE1EEEvSP_
; %bb.0:
	.section	.rodata,"a",@progbits
	.p2align	6, 0x0
	.amdhsa_kernel _ZN7rocprim17ROCPRIM_400000_NS6detail17trampoline_kernelINS0_14default_configENS1_21merge_config_selectorIxNS0_10empty_typeEEEZNS1_10merge_implIS3_N6thrust23THRUST_200600_302600_NS6detail15normal_iteratorINS9_10device_ptrIKxEEEESF_NSB_INSC_IxEEEEPS5_SI_SI_NS9_7greaterIxEEEE10hipError_tPvRmT0_T1_T2_T3_T4_T5_mmT6_P12ihipStream_tbEUlT_E_NS1_11comp_targetILNS1_3genE0ELNS1_11target_archE4294967295ELNS1_3gpuE0ELNS1_3repE0EEENS1_30default_config_static_selectorELNS0_4arch9wavefront6targetE1EEEvSP_
		.amdhsa_group_segment_fixed_size 0
		.amdhsa_private_segment_fixed_size 0
		.amdhsa_kernarg_size 48
		.amdhsa_user_sgpr_count 6
		.amdhsa_user_sgpr_private_segment_buffer 1
		.amdhsa_user_sgpr_dispatch_ptr 0
		.amdhsa_user_sgpr_queue_ptr 0
		.amdhsa_user_sgpr_kernarg_segment_ptr 1
		.amdhsa_user_sgpr_dispatch_id 0
		.amdhsa_user_sgpr_flat_scratch_init 0
		.amdhsa_user_sgpr_kernarg_preload_length 0
		.amdhsa_user_sgpr_kernarg_preload_offset 0
		.amdhsa_user_sgpr_private_segment_size 0
		.amdhsa_uses_dynamic_stack 0
		.amdhsa_system_sgpr_private_segment_wavefront_offset 0
		.amdhsa_system_sgpr_workgroup_id_x 1
		.amdhsa_system_sgpr_workgroup_id_y 0
		.amdhsa_system_sgpr_workgroup_id_z 0
		.amdhsa_system_sgpr_workgroup_info 0
		.amdhsa_system_vgpr_workitem_id 0
		.amdhsa_next_free_vgpr 1
		.amdhsa_next_free_sgpr 0
		.amdhsa_accum_offset 4
		.amdhsa_reserve_vcc 0
		.amdhsa_reserve_flat_scratch 0
		.amdhsa_float_round_mode_32 0
		.amdhsa_float_round_mode_16_64 0
		.amdhsa_float_denorm_mode_32 3
		.amdhsa_float_denorm_mode_16_64 3
		.amdhsa_dx10_clamp 1
		.amdhsa_ieee_mode 1
		.amdhsa_fp16_overflow 0
		.amdhsa_tg_split 0
		.amdhsa_exception_fp_ieee_invalid_op 0
		.amdhsa_exception_fp_denorm_src 0
		.amdhsa_exception_fp_ieee_div_zero 0
		.amdhsa_exception_fp_ieee_overflow 0
		.amdhsa_exception_fp_ieee_underflow 0
		.amdhsa_exception_fp_ieee_inexact 0
		.amdhsa_exception_int_div_zero 0
	.end_amdhsa_kernel
	.section	.text._ZN7rocprim17ROCPRIM_400000_NS6detail17trampoline_kernelINS0_14default_configENS1_21merge_config_selectorIxNS0_10empty_typeEEEZNS1_10merge_implIS3_N6thrust23THRUST_200600_302600_NS6detail15normal_iteratorINS9_10device_ptrIKxEEEESF_NSB_INSC_IxEEEEPS5_SI_SI_NS9_7greaterIxEEEE10hipError_tPvRmT0_T1_T2_T3_T4_T5_mmT6_P12ihipStream_tbEUlT_E_NS1_11comp_targetILNS1_3genE0ELNS1_11target_archE4294967295ELNS1_3gpuE0ELNS1_3repE0EEENS1_30default_config_static_selectorELNS0_4arch9wavefront6targetE1EEEvSP_,"axG",@progbits,_ZN7rocprim17ROCPRIM_400000_NS6detail17trampoline_kernelINS0_14default_configENS1_21merge_config_selectorIxNS0_10empty_typeEEEZNS1_10merge_implIS3_N6thrust23THRUST_200600_302600_NS6detail15normal_iteratorINS9_10device_ptrIKxEEEESF_NSB_INSC_IxEEEEPS5_SI_SI_NS9_7greaterIxEEEE10hipError_tPvRmT0_T1_T2_T3_T4_T5_mmT6_P12ihipStream_tbEUlT_E_NS1_11comp_targetILNS1_3genE0ELNS1_11target_archE4294967295ELNS1_3gpuE0ELNS1_3repE0EEENS1_30default_config_static_selectorELNS0_4arch9wavefront6targetE1EEEvSP_,comdat
.Lfunc_end551:
	.size	_ZN7rocprim17ROCPRIM_400000_NS6detail17trampoline_kernelINS0_14default_configENS1_21merge_config_selectorIxNS0_10empty_typeEEEZNS1_10merge_implIS3_N6thrust23THRUST_200600_302600_NS6detail15normal_iteratorINS9_10device_ptrIKxEEEESF_NSB_INSC_IxEEEEPS5_SI_SI_NS9_7greaterIxEEEE10hipError_tPvRmT0_T1_T2_T3_T4_T5_mmT6_P12ihipStream_tbEUlT_E_NS1_11comp_targetILNS1_3genE0ELNS1_11target_archE4294967295ELNS1_3gpuE0ELNS1_3repE0EEENS1_30default_config_static_selectorELNS0_4arch9wavefront6targetE1EEEvSP_, .Lfunc_end551-_ZN7rocprim17ROCPRIM_400000_NS6detail17trampoline_kernelINS0_14default_configENS1_21merge_config_selectorIxNS0_10empty_typeEEEZNS1_10merge_implIS3_N6thrust23THRUST_200600_302600_NS6detail15normal_iteratorINS9_10device_ptrIKxEEEESF_NSB_INSC_IxEEEEPS5_SI_SI_NS9_7greaterIxEEEE10hipError_tPvRmT0_T1_T2_T3_T4_T5_mmT6_P12ihipStream_tbEUlT_E_NS1_11comp_targetILNS1_3genE0ELNS1_11target_archE4294967295ELNS1_3gpuE0ELNS1_3repE0EEENS1_30default_config_static_selectorELNS0_4arch9wavefront6targetE1EEEvSP_
                                        ; -- End function
	.section	.AMDGPU.csdata,"",@progbits
; Kernel info:
; codeLenInByte = 0
; NumSgprs: 4
; NumVgprs: 0
; NumAgprs: 0
; TotalNumVgprs: 0
; ScratchSize: 0
; MemoryBound: 0
; FloatMode: 240
; IeeeMode: 1
; LDSByteSize: 0 bytes/workgroup (compile time only)
; SGPRBlocks: 0
; VGPRBlocks: 0
; NumSGPRsForWavesPerEU: 4
; NumVGPRsForWavesPerEU: 1
; AccumOffset: 4
; Occupancy: 8
; WaveLimiterHint : 0
; COMPUTE_PGM_RSRC2:SCRATCH_EN: 0
; COMPUTE_PGM_RSRC2:USER_SGPR: 6
; COMPUTE_PGM_RSRC2:TRAP_HANDLER: 0
; COMPUTE_PGM_RSRC2:TGID_X_EN: 1
; COMPUTE_PGM_RSRC2:TGID_Y_EN: 0
; COMPUTE_PGM_RSRC2:TGID_Z_EN: 0
; COMPUTE_PGM_RSRC2:TIDIG_COMP_CNT: 0
; COMPUTE_PGM_RSRC3_GFX90A:ACCUM_OFFSET: 0
; COMPUTE_PGM_RSRC3_GFX90A:TG_SPLIT: 0
	.section	.text._ZN7rocprim17ROCPRIM_400000_NS6detail17trampoline_kernelINS0_14default_configENS1_21merge_config_selectorIxNS0_10empty_typeEEEZNS1_10merge_implIS3_N6thrust23THRUST_200600_302600_NS6detail15normal_iteratorINS9_10device_ptrIKxEEEESF_NSB_INSC_IxEEEEPS5_SI_SI_NS9_7greaterIxEEEE10hipError_tPvRmT0_T1_T2_T3_T4_T5_mmT6_P12ihipStream_tbEUlT_E_NS1_11comp_targetILNS1_3genE5ELNS1_11target_archE942ELNS1_3gpuE9ELNS1_3repE0EEENS1_30default_config_static_selectorELNS0_4arch9wavefront6targetE1EEEvSP_,"axG",@progbits,_ZN7rocprim17ROCPRIM_400000_NS6detail17trampoline_kernelINS0_14default_configENS1_21merge_config_selectorIxNS0_10empty_typeEEEZNS1_10merge_implIS3_N6thrust23THRUST_200600_302600_NS6detail15normal_iteratorINS9_10device_ptrIKxEEEESF_NSB_INSC_IxEEEEPS5_SI_SI_NS9_7greaterIxEEEE10hipError_tPvRmT0_T1_T2_T3_T4_T5_mmT6_P12ihipStream_tbEUlT_E_NS1_11comp_targetILNS1_3genE5ELNS1_11target_archE942ELNS1_3gpuE9ELNS1_3repE0EEENS1_30default_config_static_selectorELNS0_4arch9wavefront6targetE1EEEvSP_,comdat
	.protected	_ZN7rocprim17ROCPRIM_400000_NS6detail17trampoline_kernelINS0_14default_configENS1_21merge_config_selectorIxNS0_10empty_typeEEEZNS1_10merge_implIS3_N6thrust23THRUST_200600_302600_NS6detail15normal_iteratorINS9_10device_ptrIKxEEEESF_NSB_INSC_IxEEEEPS5_SI_SI_NS9_7greaterIxEEEE10hipError_tPvRmT0_T1_T2_T3_T4_T5_mmT6_P12ihipStream_tbEUlT_E_NS1_11comp_targetILNS1_3genE5ELNS1_11target_archE942ELNS1_3gpuE9ELNS1_3repE0EEENS1_30default_config_static_selectorELNS0_4arch9wavefront6targetE1EEEvSP_ ; -- Begin function _ZN7rocprim17ROCPRIM_400000_NS6detail17trampoline_kernelINS0_14default_configENS1_21merge_config_selectorIxNS0_10empty_typeEEEZNS1_10merge_implIS3_N6thrust23THRUST_200600_302600_NS6detail15normal_iteratorINS9_10device_ptrIKxEEEESF_NSB_INSC_IxEEEEPS5_SI_SI_NS9_7greaterIxEEEE10hipError_tPvRmT0_T1_T2_T3_T4_T5_mmT6_P12ihipStream_tbEUlT_E_NS1_11comp_targetILNS1_3genE5ELNS1_11target_archE942ELNS1_3gpuE9ELNS1_3repE0EEENS1_30default_config_static_selectorELNS0_4arch9wavefront6targetE1EEEvSP_
	.globl	_ZN7rocprim17ROCPRIM_400000_NS6detail17trampoline_kernelINS0_14default_configENS1_21merge_config_selectorIxNS0_10empty_typeEEEZNS1_10merge_implIS3_N6thrust23THRUST_200600_302600_NS6detail15normal_iteratorINS9_10device_ptrIKxEEEESF_NSB_INSC_IxEEEEPS5_SI_SI_NS9_7greaterIxEEEE10hipError_tPvRmT0_T1_T2_T3_T4_T5_mmT6_P12ihipStream_tbEUlT_E_NS1_11comp_targetILNS1_3genE5ELNS1_11target_archE942ELNS1_3gpuE9ELNS1_3repE0EEENS1_30default_config_static_selectorELNS0_4arch9wavefront6targetE1EEEvSP_
	.p2align	8
	.type	_ZN7rocprim17ROCPRIM_400000_NS6detail17trampoline_kernelINS0_14default_configENS1_21merge_config_selectorIxNS0_10empty_typeEEEZNS1_10merge_implIS3_N6thrust23THRUST_200600_302600_NS6detail15normal_iteratorINS9_10device_ptrIKxEEEESF_NSB_INSC_IxEEEEPS5_SI_SI_NS9_7greaterIxEEEE10hipError_tPvRmT0_T1_T2_T3_T4_T5_mmT6_P12ihipStream_tbEUlT_E_NS1_11comp_targetILNS1_3genE5ELNS1_11target_archE942ELNS1_3gpuE9ELNS1_3repE0EEENS1_30default_config_static_selectorELNS0_4arch9wavefront6targetE1EEEvSP_,@function
_ZN7rocprim17ROCPRIM_400000_NS6detail17trampoline_kernelINS0_14default_configENS1_21merge_config_selectorIxNS0_10empty_typeEEEZNS1_10merge_implIS3_N6thrust23THRUST_200600_302600_NS6detail15normal_iteratorINS9_10device_ptrIKxEEEESF_NSB_INSC_IxEEEEPS5_SI_SI_NS9_7greaterIxEEEE10hipError_tPvRmT0_T1_T2_T3_T4_T5_mmT6_P12ihipStream_tbEUlT_E_NS1_11comp_targetILNS1_3genE5ELNS1_11target_archE942ELNS1_3gpuE9ELNS1_3repE0EEENS1_30default_config_static_selectorELNS0_4arch9wavefront6targetE1EEEvSP_: ; @_ZN7rocprim17ROCPRIM_400000_NS6detail17trampoline_kernelINS0_14default_configENS1_21merge_config_selectorIxNS0_10empty_typeEEEZNS1_10merge_implIS3_N6thrust23THRUST_200600_302600_NS6detail15normal_iteratorINS9_10device_ptrIKxEEEESF_NSB_INSC_IxEEEEPS5_SI_SI_NS9_7greaterIxEEEE10hipError_tPvRmT0_T1_T2_T3_T4_T5_mmT6_P12ihipStream_tbEUlT_E_NS1_11comp_targetILNS1_3genE5ELNS1_11target_archE942ELNS1_3gpuE9ELNS1_3repE0EEENS1_30default_config_static_selectorELNS0_4arch9wavefront6targetE1EEEvSP_
; %bb.0:
	.section	.rodata,"a",@progbits
	.p2align	6, 0x0
	.amdhsa_kernel _ZN7rocprim17ROCPRIM_400000_NS6detail17trampoline_kernelINS0_14default_configENS1_21merge_config_selectorIxNS0_10empty_typeEEEZNS1_10merge_implIS3_N6thrust23THRUST_200600_302600_NS6detail15normal_iteratorINS9_10device_ptrIKxEEEESF_NSB_INSC_IxEEEEPS5_SI_SI_NS9_7greaterIxEEEE10hipError_tPvRmT0_T1_T2_T3_T4_T5_mmT6_P12ihipStream_tbEUlT_E_NS1_11comp_targetILNS1_3genE5ELNS1_11target_archE942ELNS1_3gpuE9ELNS1_3repE0EEENS1_30default_config_static_selectorELNS0_4arch9wavefront6targetE1EEEvSP_
		.amdhsa_group_segment_fixed_size 0
		.amdhsa_private_segment_fixed_size 0
		.amdhsa_kernarg_size 48
		.amdhsa_user_sgpr_count 6
		.amdhsa_user_sgpr_private_segment_buffer 1
		.amdhsa_user_sgpr_dispatch_ptr 0
		.amdhsa_user_sgpr_queue_ptr 0
		.amdhsa_user_sgpr_kernarg_segment_ptr 1
		.amdhsa_user_sgpr_dispatch_id 0
		.amdhsa_user_sgpr_flat_scratch_init 0
		.amdhsa_user_sgpr_kernarg_preload_length 0
		.amdhsa_user_sgpr_kernarg_preload_offset 0
		.amdhsa_user_sgpr_private_segment_size 0
		.amdhsa_uses_dynamic_stack 0
		.amdhsa_system_sgpr_private_segment_wavefront_offset 0
		.amdhsa_system_sgpr_workgroup_id_x 1
		.amdhsa_system_sgpr_workgroup_id_y 0
		.amdhsa_system_sgpr_workgroup_id_z 0
		.amdhsa_system_sgpr_workgroup_info 0
		.amdhsa_system_vgpr_workitem_id 0
		.amdhsa_next_free_vgpr 1
		.amdhsa_next_free_sgpr 0
		.amdhsa_accum_offset 4
		.amdhsa_reserve_vcc 0
		.amdhsa_reserve_flat_scratch 0
		.amdhsa_float_round_mode_32 0
		.amdhsa_float_round_mode_16_64 0
		.amdhsa_float_denorm_mode_32 3
		.amdhsa_float_denorm_mode_16_64 3
		.amdhsa_dx10_clamp 1
		.amdhsa_ieee_mode 1
		.amdhsa_fp16_overflow 0
		.amdhsa_tg_split 0
		.amdhsa_exception_fp_ieee_invalid_op 0
		.amdhsa_exception_fp_denorm_src 0
		.amdhsa_exception_fp_ieee_div_zero 0
		.amdhsa_exception_fp_ieee_overflow 0
		.amdhsa_exception_fp_ieee_underflow 0
		.amdhsa_exception_fp_ieee_inexact 0
		.amdhsa_exception_int_div_zero 0
	.end_amdhsa_kernel
	.section	.text._ZN7rocprim17ROCPRIM_400000_NS6detail17trampoline_kernelINS0_14default_configENS1_21merge_config_selectorIxNS0_10empty_typeEEEZNS1_10merge_implIS3_N6thrust23THRUST_200600_302600_NS6detail15normal_iteratorINS9_10device_ptrIKxEEEESF_NSB_INSC_IxEEEEPS5_SI_SI_NS9_7greaterIxEEEE10hipError_tPvRmT0_T1_T2_T3_T4_T5_mmT6_P12ihipStream_tbEUlT_E_NS1_11comp_targetILNS1_3genE5ELNS1_11target_archE942ELNS1_3gpuE9ELNS1_3repE0EEENS1_30default_config_static_selectorELNS0_4arch9wavefront6targetE1EEEvSP_,"axG",@progbits,_ZN7rocprim17ROCPRIM_400000_NS6detail17trampoline_kernelINS0_14default_configENS1_21merge_config_selectorIxNS0_10empty_typeEEEZNS1_10merge_implIS3_N6thrust23THRUST_200600_302600_NS6detail15normal_iteratorINS9_10device_ptrIKxEEEESF_NSB_INSC_IxEEEEPS5_SI_SI_NS9_7greaterIxEEEE10hipError_tPvRmT0_T1_T2_T3_T4_T5_mmT6_P12ihipStream_tbEUlT_E_NS1_11comp_targetILNS1_3genE5ELNS1_11target_archE942ELNS1_3gpuE9ELNS1_3repE0EEENS1_30default_config_static_selectorELNS0_4arch9wavefront6targetE1EEEvSP_,comdat
.Lfunc_end552:
	.size	_ZN7rocprim17ROCPRIM_400000_NS6detail17trampoline_kernelINS0_14default_configENS1_21merge_config_selectorIxNS0_10empty_typeEEEZNS1_10merge_implIS3_N6thrust23THRUST_200600_302600_NS6detail15normal_iteratorINS9_10device_ptrIKxEEEESF_NSB_INSC_IxEEEEPS5_SI_SI_NS9_7greaterIxEEEE10hipError_tPvRmT0_T1_T2_T3_T4_T5_mmT6_P12ihipStream_tbEUlT_E_NS1_11comp_targetILNS1_3genE5ELNS1_11target_archE942ELNS1_3gpuE9ELNS1_3repE0EEENS1_30default_config_static_selectorELNS0_4arch9wavefront6targetE1EEEvSP_, .Lfunc_end552-_ZN7rocprim17ROCPRIM_400000_NS6detail17trampoline_kernelINS0_14default_configENS1_21merge_config_selectorIxNS0_10empty_typeEEEZNS1_10merge_implIS3_N6thrust23THRUST_200600_302600_NS6detail15normal_iteratorINS9_10device_ptrIKxEEEESF_NSB_INSC_IxEEEEPS5_SI_SI_NS9_7greaterIxEEEE10hipError_tPvRmT0_T1_T2_T3_T4_T5_mmT6_P12ihipStream_tbEUlT_E_NS1_11comp_targetILNS1_3genE5ELNS1_11target_archE942ELNS1_3gpuE9ELNS1_3repE0EEENS1_30default_config_static_selectorELNS0_4arch9wavefront6targetE1EEEvSP_
                                        ; -- End function
	.section	.AMDGPU.csdata,"",@progbits
; Kernel info:
; codeLenInByte = 0
; NumSgprs: 4
; NumVgprs: 0
; NumAgprs: 0
; TotalNumVgprs: 0
; ScratchSize: 0
; MemoryBound: 0
; FloatMode: 240
; IeeeMode: 1
; LDSByteSize: 0 bytes/workgroup (compile time only)
; SGPRBlocks: 0
; VGPRBlocks: 0
; NumSGPRsForWavesPerEU: 4
; NumVGPRsForWavesPerEU: 1
; AccumOffset: 4
; Occupancy: 8
; WaveLimiterHint : 0
; COMPUTE_PGM_RSRC2:SCRATCH_EN: 0
; COMPUTE_PGM_RSRC2:USER_SGPR: 6
; COMPUTE_PGM_RSRC2:TRAP_HANDLER: 0
; COMPUTE_PGM_RSRC2:TGID_X_EN: 1
; COMPUTE_PGM_RSRC2:TGID_Y_EN: 0
; COMPUTE_PGM_RSRC2:TGID_Z_EN: 0
; COMPUTE_PGM_RSRC2:TIDIG_COMP_CNT: 0
; COMPUTE_PGM_RSRC3_GFX90A:ACCUM_OFFSET: 0
; COMPUTE_PGM_RSRC3_GFX90A:TG_SPLIT: 0
	.section	.text._ZN7rocprim17ROCPRIM_400000_NS6detail17trampoline_kernelINS0_14default_configENS1_21merge_config_selectorIxNS0_10empty_typeEEEZNS1_10merge_implIS3_N6thrust23THRUST_200600_302600_NS6detail15normal_iteratorINS9_10device_ptrIKxEEEESF_NSB_INSC_IxEEEEPS5_SI_SI_NS9_7greaterIxEEEE10hipError_tPvRmT0_T1_T2_T3_T4_T5_mmT6_P12ihipStream_tbEUlT_E_NS1_11comp_targetILNS1_3genE4ELNS1_11target_archE910ELNS1_3gpuE8ELNS1_3repE0EEENS1_30default_config_static_selectorELNS0_4arch9wavefront6targetE1EEEvSP_,"axG",@progbits,_ZN7rocprim17ROCPRIM_400000_NS6detail17trampoline_kernelINS0_14default_configENS1_21merge_config_selectorIxNS0_10empty_typeEEEZNS1_10merge_implIS3_N6thrust23THRUST_200600_302600_NS6detail15normal_iteratorINS9_10device_ptrIKxEEEESF_NSB_INSC_IxEEEEPS5_SI_SI_NS9_7greaterIxEEEE10hipError_tPvRmT0_T1_T2_T3_T4_T5_mmT6_P12ihipStream_tbEUlT_E_NS1_11comp_targetILNS1_3genE4ELNS1_11target_archE910ELNS1_3gpuE8ELNS1_3repE0EEENS1_30default_config_static_selectorELNS0_4arch9wavefront6targetE1EEEvSP_,comdat
	.protected	_ZN7rocprim17ROCPRIM_400000_NS6detail17trampoline_kernelINS0_14default_configENS1_21merge_config_selectorIxNS0_10empty_typeEEEZNS1_10merge_implIS3_N6thrust23THRUST_200600_302600_NS6detail15normal_iteratorINS9_10device_ptrIKxEEEESF_NSB_INSC_IxEEEEPS5_SI_SI_NS9_7greaterIxEEEE10hipError_tPvRmT0_T1_T2_T3_T4_T5_mmT6_P12ihipStream_tbEUlT_E_NS1_11comp_targetILNS1_3genE4ELNS1_11target_archE910ELNS1_3gpuE8ELNS1_3repE0EEENS1_30default_config_static_selectorELNS0_4arch9wavefront6targetE1EEEvSP_ ; -- Begin function _ZN7rocprim17ROCPRIM_400000_NS6detail17trampoline_kernelINS0_14default_configENS1_21merge_config_selectorIxNS0_10empty_typeEEEZNS1_10merge_implIS3_N6thrust23THRUST_200600_302600_NS6detail15normal_iteratorINS9_10device_ptrIKxEEEESF_NSB_INSC_IxEEEEPS5_SI_SI_NS9_7greaterIxEEEE10hipError_tPvRmT0_T1_T2_T3_T4_T5_mmT6_P12ihipStream_tbEUlT_E_NS1_11comp_targetILNS1_3genE4ELNS1_11target_archE910ELNS1_3gpuE8ELNS1_3repE0EEENS1_30default_config_static_selectorELNS0_4arch9wavefront6targetE1EEEvSP_
	.globl	_ZN7rocprim17ROCPRIM_400000_NS6detail17trampoline_kernelINS0_14default_configENS1_21merge_config_selectorIxNS0_10empty_typeEEEZNS1_10merge_implIS3_N6thrust23THRUST_200600_302600_NS6detail15normal_iteratorINS9_10device_ptrIKxEEEESF_NSB_INSC_IxEEEEPS5_SI_SI_NS9_7greaterIxEEEE10hipError_tPvRmT0_T1_T2_T3_T4_T5_mmT6_P12ihipStream_tbEUlT_E_NS1_11comp_targetILNS1_3genE4ELNS1_11target_archE910ELNS1_3gpuE8ELNS1_3repE0EEENS1_30default_config_static_selectorELNS0_4arch9wavefront6targetE1EEEvSP_
	.p2align	8
	.type	_ZN7rocprim17ROCPRIM_400000_NS6detail17trampoline_kernelINS0_14default_configENS1_21merge_config_selectorIxNS0_10empty_typeEEEZNS1_10merge_implIS3_N6thrust23THRUST_200600_302600_NS6detail15normal_iteratorINS9_10device_ptrIKxEEEESF_NSB_INSC_IxEEEEPS5_SI_SI_NS9_7greaterIxEEEE10hipError_tPvRmT0_T1_T2_T3_T4_T5_mmT6_P12ihipStream_tbEUlT_E_NS1_11comp_targetILNS1_3genE4ELNS1_11target_archE910ELNS1_3gpuE8ELNS1_3repE0EEENS1_30default_config_static_selectorELNS0_4arch9wavefront6targetE1EEEvSP_,@function
_ZN7rocprim17ROCPRIM_400000_NS6detail17trampoline_kernelINS0_14default_configENS1_21merge_config_selectorIxNS0_10empty_typeEEEZNS1_10merge_implIS3_N6thrust23THRUST_200600_302600_NS6detail15normal_iteratorINS9_10device_ptrIKxEEEESF_NSB_INSC_IxEEEEPS5_SI_SI_NS9_7greaterIxEEEE10hipError_tPvRmT0_T1_T2_T3_T4_T5_mmT6_P12ihipStream_tbEUlT_E_NS1_11comp_targetILNS1_3genE4ELNS1_11target_archE910ELNS1_3gpuE8ELNS1_3repE0EEENS1_30default_config_static_selectorELNS0_4arch9wavefront6targetE1EEEvSP_: ; @_ZN7rocprim17ROCPRIM_400000_NS6detail17trampoline_kernelINS0_14default_configENS1_21merge_config_selectorIxNS0_10empty_typeEEEZNS1_10merge_implIS3_N6thrust23THRUST_200600_302600_NS6detail15normal_iteratorINS9_10device_ptrIKxEEEESF_NSB_INSC_IxEEEEPS5_SI_SI_NS9_7greaterIxEEEE10hipError_tPvRmT0_T1_T2_T3_T4_T5_mmT6_P12ihipStream_tbEUlT_E_NS1_11comp_targetILNS1_3genE4ELNS1_11target_archE910ELNS1_3gpuE8ELNS1_3repE0EEENS1_30default_config_static_selectorELNS0_4arch9wavefront6targetE1EEEvSP_
; %bb.0:
	s_load_dword s7, s[4:5], 0x28
	s_load_dword s0, s[4:5], 0x3c
	s_load_dwordx4 s[8:11], s[4:5], 0x18
	s_waitcnt lgkmcnt(0)
	v_cvt_f32_u32_e32 v1, s7
	s_and_b32 s0, s0, 0xffff
	s_add_u32 s12, s10, s8
	s_addc_u32 s13, s11, s9
	v_rcp_iflag_f32_e32 v1, v1
	s_sub_i32 s1, 0, s7
	s_mul_i32 s6, s6, s0
	s_add_i32 s0, s7, s12
	v_mul_f32_e32 v1, 0x4f7ffffe, v1
	v_cvt_u32_f32_e32 v1, v1
	s_add_i32 s0, s0, -1
	v_add_u32_e32 v0, s6, v0
	v_readfirstlane_b32 s2, v1
	s_mul_i32 s1, s1, s2
	s_mul_hi_u32 s1, s2, s1
	s_add_i32 s2, s2, s1
	s_mul_hi_u32 s1, s0, s2
	s_mul_i32 s2, s1, s7
	s_sub_i32 s0, s0, s2
	s_add_i32 s3, s1, 1
	s_sub_i32 s2, s0, s7
	s_cmp_ge_u32 s0, s7
	s_cselect_b32 s1, s3, s1
	s_cselect_b32 s0, s2, s0
	s_add_i32 s2, s1, 1
	s_cmp_ge_u32 s0, s7
	s_cselect_b32 s0, s2, s1
	v_cmp_ge_u32_e32 vcc, s0, v0
	s_and_saveexec_b64 s[0:1], vcc
	s_cbranch_execz .LBB553_6
; %bb.1:
	v_mul_lo_u32 v2, v0, s7
	v_mov_b32_e32 v3, 0
	v_mov_b32_e32 v1, s13
	v_cmp_gt_u64_e32 vcc, s[12:13], v[2:3]
	v_cndmask_b32_e64 v7, v1, 0, vcc
	v_mov_b32_e32 v1, s12
	v_cndmask_b32_e32 v6, v1, v2, vcc
	v_mov_b32_e32 v1, s11
	v_subrev_co_u32_e32 v2, vcc, s10, v6
	v_subb_co_u32_e32 v3, vcc, v7, v1, vcc
	s_load_dwordx4 s[0:3], s[4:5], 0x0
	v_cmp_gt_u64_e32 vcc, v[2:3], v[6:7]
	v_cndmask_b32_e64 v3, v3, 0, vcc
	v_cndmask_b32_e64 v2, v2, 0, vcc
	v_mov_b32_e32 v1, s9
	v_cmp_gt_u64_e32 vcc, s[8:9], v[6:7]
	v_cndmask_b32_e32 v5, v1, v7, vcc
	v_mov_b32_e32 v1, s8
	v_cndmask_b32_e32 v4, v1, v6, vcc
	v_cmp_lt_u64_e32 vcc, v[2:3], v[4:5]
	s_and_saveexec_b64 s[6:7], vcc
	s_cbranch_execz .LBB553_5
; %bb.2:
	s_load_dwordx2 s[4:5], s[4:5], 0x10
	v_lshlrev_b64 v[6:7], 3, v[6:7]
	s_waitcnt lgkmcnt(0)
	v_mov_b32_e32 v8, s5
	v_add_co_u32_e32 v1, vcc, s4, v6
	v_addc_co_u32_e32 v6, vcc, v8, v7, vcc
	s_mov_b64 s[4:5], 0
	v_mov_b32_e32 v7, s3
.LBB553_3:                              ; =>This Inner Loop Header: Depth=1
	v_add_co_u32_e32 v8, vcc, v4, v2
	v_addc_co_u32_e32 v9, vcc, v5, v3, vcc
	v_lshrrev_b64 v[8:9], 1, v[8:9]
	v_lshlrev_b64 v[12:13], 3, v[8:9]
	v_not_b32_e32 v11, v9
	v_not_b32_e32 v10, v8
	v_add_co_u32_e32 v12, vcc, s2, v12
	v_addc_co_u32_e32 v13, vcc, v7, v13, vcc
	v_lshlrev_b64 v[10:11], 3, v[10:11]
	v_add_co_u32_e32 v10, vcc, v1, v10
	v_addc_co_u32_e32 v11, vcc, v6, v11, vcc
	global_load_dwordx2 v[12:13], v[12:13], off
	v_add_co_u32_e32 v14, vcc, 1, v8
	global_load_dwordx2 v[10:11], v[10:11], off
	v_addc_co_u32_e32 v15, vcc, 0, v9, vcc
	s_waitcnt vmcnt(0)
	v_cmp_gt_i64_e32 vcc, v[10:11], v[12:13]
	v_cndmask_b32_e32 v5, v5, v9, vcc
	v_cndmask_b32_e32 v4, v4, v8, vcc
	;; [unrolled: 1-line block ×4, first 2 shown]
	v_cmp_ge_u64_e32 vcc, v[2:3], v[4:5]
	s_or_b64 s[4:5], vcc, s[4:5]
	s_andn2_b64 exec, exec, s[4:5]
	s_cbranch_execnz .LBB553_3
; %bb.4:
	s_or_b64 exec, exec, s[4:5]
.LBB553_5:
	s_or_b64 exec, exec, s[6:7]
	v_mov_b32_e32 v1, 0
	v_lshlrev_b64 v[0:1], 2, v[0:1]
	s_waitcnt lgkmcnt(0)
	v_mov_b32_e32 v3, s1
	v_add_co_u32_e32 v0, vcc, s0, v0
	v_addc_co_u32_e32 v1, vcc, v3, v1, vcc
	global_store_dword v[0:1], v2, off
.LBB553_6:
	s_endpgm
	.section	.rodata,"a",@progbits
	.p2align	6, 0x0
	.amdhsa_kernel _ZN7rocprim17ROCPRIM_400000_NS6detail17trampoline_kernelINS0_14default_configENS1_21merge_config_selectorIxNS0_10empty_typeEEEZNS1_10merge_implIS3_N6thrust23THRUST_200600_302600_NS6detail15normal_iteratorINS9_10device_ptrIKxEEEESF_NSB_INSC_IxEEEEPS5_SI_SI_NS9_7greaterIxEEEE10hipError_tPvRmT0_T1_T2_T3_T4_T5_mmT6_P12ihipStream_tbEUlT_E_NS1_11comp_targetILNS1_3genE4ELNS1_11target_archE910ELNS1_3gpuE8ELNS1_3repE0EEENS1_30default_config_static_selectorELNS0_4arch9wavefront6targetE1EEEvSP_
		.amdhsa_group_segment_fixed_size 0
		.amdhsa_private_segment_fixed_size 0
		.amdhsa_kernarg_size 304
		.amdhsa_user_sgpr_count 6
		.amdhsa_user_sgpr_private_segment_buffer 1
		.amdhsa_user_sgpr_dispatch_ptr 0
		.amdhsa_user_sgpr_queue_ptr 0
		.amdhsa_user_sgpr_kernarg_segment_ptr 1
		.amdhsa_user_sgpr_dispatch_id 0
		.amdhsa_user_sgpr_flat_scratch_init 0
		.amdhsa_user_sgpr_kernarg_preload_length 0
		.amdhsa_user_sgpr_kernarg_preload_offset 0
		.amdhsa_user_sgpr_private_segment_size 0
		.amdhsa_uses_dynamic_stack 0
		.amdhsa_system_sgpr_private_segment_wavefront_offset 0
		.amdhsa_system_sgpr_workgroup_id_x 1
		.amdhsa_system_sgpr_workgroup_id_y 0
		.amdhsa_system_sgpr_workgroup_id_z 0
		.amdhsa_system_sgpr_workgroup_info 0
		.amdhsa_system_vgpr_workitem_id 0
		.amdhsa_next_free_vgpr 16
		.amdhsa_next_free_sgpr 14
		.amdhsa_accum_offset 16
		.amdhsa_reserve_vcc 1
		.amdhsa_reserve_flat_scratch 0
		.amdhsa_float_round_mode_32 0
		.amdhsa_float_round_mode_16_64 0
		.amdhsa_float_denorm_mode_32 3
		.amdhsa_float_denorm_mode_16_64 3
		.amdhsa_dx10_clamp 1
		.amdhsa_ieee_mode 1
		.amdhsa_fp16_overflow 0
		.amdhsa_tg_split 0
		.amdhsa_exception_fp_ieee_invalid_op 0
		.amdhsa_exception_fp_denorm_src 0
		.amdhsa_exception_fp_ieee_div_zero 0
		.amdhsa_exception_fp_ieee_overflow 0
		.amdhsa_exception_fp_ieee_underflow 0
		.amdhsa_exception_fp_ieee_inexact 0
		.amdhsa_exception_int_div_zero 0
	.end_amdhsa_kernel
	.section	.text._ZN7rocprim17ROCPRIM_400000_NS6detail17trampoline_kernelINS0_14default_configENS1_21merge_config_selectorIxNS0_10empty_typeEEEZNS1_10merge_implIS3_N6thrust23THRUST_200600_302600_NS6detail15normal_iteratorINS9_10device_ptrIKxEEEESF_NSB_INSC_IxEEEEPS5_SI_SI_NS9_7greaterIxEEEE10hipError_tPvRmT0_T1_T2_T3_T4_T5_mmT6_P12ihipStream_tbEUlT_E_NS1_11comp_targetILNS1_3genE4ELNS1_11target_archE910ELNS1_3gpuE8ELNS1_3repE0EEENS1_30default_config_static_selectorELNS0_4arch9wavefront6targetE1EEEvSP_,"axG",@progbits,_ZN7rocprim17ROCPRIM_400000_NS6detail17trampoline_kernelINS0_14default_configENS1_21merge_config_selectorIxNS0_10empty_typeEEEZNS1_10merge_implIS3_N6thrust23THRUST_200600_302600_NS6detail15normal_iteratorINS9_10device_ptrIKxEEEESF_NSB_INSC_IxEEEEPS5_SI_SI_NS9_7greaterIxEEEE10hipError_tPvRmT0_T1_T2_T3_T4_T5_mmT6_P12ihipStream_tbEUlT_E_NS1_11comp_targetILNS1_3genE4ELNS1_11target_archE910ELNS1_3gpuE8ELNS1_3repE0EEENS1_30default_config_static_selectorELNS0_4arch9wavefront6targetE1EEEvSP_,comdat
.Lfunc_end553:
	.size	_ZN7rocprim17ROCPRIM_400000_NS6detail17trampoline_kernelINS0_14default_configENS1_21merge_config_selectorIxNS0_10empty_typeEEEZNS1_10merge_implIS3_N6thrust23THRUST_200600_302600_NS6detail15normal_iteratorINS9_10device_ptrIKxEEEESF_NSB_INSC_IxEEEEPS5_SI_SI_NS9_7greaterIxEEEE10hipError_tPvRmT0_T1_T2_T3_T4_T5_mmT6_P12ihipStream_tbEUlT_E_NS1_11comp_targetILNS1_3genE4ELNS1_11target_archE910ELNS1_3gpuE8ELNS1_3repE0EEENS1_30default_config_static_selectorELNS0_4arch9wavefront6targetE1EEEvSP_, .Lfunc_end553-_ZN7rocprim17ROCPRIM_400000_NS6detail17trampoline_kernelINS0_14default_configENS1_21merge_config_selectorIxNS0_10empty_typeEEEZNS1_10merge_implIS3_N6thrust23THRUST_200600_302600_NS6detail15normal_iteratorINS9_10device_ptrIKxEEEESF_NSB_INSC_IxEEEEPS5_SI_SI_NS9_7greaterIxEEEE10hipError_tPvRmT0_T1_T2_T3_T4_T5_mmT6_P12ihipStream_tbEUlT_E_NS1_11comp_targetILNS1_3genE4ELNS1_11target_archE910ELNS1_3gpuE8ELNS1_3repE0EEENS1_30default_config_static_selectorELNS0_4arch9wavefront6targetE1EEEvSP_
                                        ; -- End function
	.section	.AMDGPU.csdata,"",@progbits
; Kernel info:
; codeLenInByte = 472
; NumSgprs: 18
; NumVgprs: 16
; NumAgprs: 0
; TotalNumVgprs: 16
; ScratchSize: 0
; MemoryBound: 0
; FloatMode: 240
; IeeeMode: 1
; LDSByteSize: 0 bytes/workgroup (compile time only)
; SGPRBlocks: 2
; VGPRBlocks: 1
; NumSGPRsForWavesPerEU: 18
; NumVGPRsForWavesPerEU: 16
; AccumOffset: 16
; Occupancy: 8
; WaveLimiterHint : 0
; COMPUTE_PGM_RSRC2:SCRATCH_EN: 0
; COMPUTE_PGM_RSRC2:USER_SGPR: 6
; COMPUTE_PGM_RSRC2:TRAP_HANDLER: 0
; COMPUTE_PGM_RSRC2:TGID_X_EN: 1
; COMPUTE_PGM_RSRC2:TGID_Y_EN: 0
; COMPUTE_PGM_RSRC2:TGID_Z_EN: 0
; COMPUTE_PGM_RSRC2:TIDIG_COMP_CNT: 0
; COMPUTE_PGM_RSRC3_GFX90A:ACCUM_OFFSET: 3
; COMPUTE_PGM_RSRC3_GFX90A:TG_SPLIT: 0
	.section	.text._ZN7rocprim17ROCPRIM_400000_NS6detail17trampoline_kernelINS0_14default_configENS1_21merge_config_selectorIxNS0_10empty_typeEEEZNS1_10merge_implIS3_N6thrust23THRUST_200600_302600_NS6detail15normal_iteratorINS9_10device_ptrIKxEEEESF_NSB_INSC_IxEEEEPS5_SI_SI_NS9_7greaterIxEEEE10hipError_tPvRmT0_T1_T2_T3_T4_T5_mmT6_P12ihipStream_tbEUlT_E_NS1_11comp_targetILNS1_3genE3ELNS1_11target_archE908ELNS1_3gpuE7ELNS1_3repE0EEENS1_30default_config_static_selectorELNS0_4arch9wavefront6targetE1EEEvSP_,"axG",@progbits,_ZN7rocprim17ROCPRIM_400000_NS6detail17trampoline_kernelINS0_14default_configENS1_21merge_config_selectorIxNS0_10empty_typeEEEZNS1_10merge_implIS3_N6thrust23THRUST_200600_302600_NS6detail15normal_iteratorINS9_10device_ptrIKxEEEESF_NSB_INSC_IxEEEEPS5_SI_SI_NS9_7greaterIxEEEE10hipError_tPvRmT0_T1_T2_T3_T4_T5_mmT6_P12ihipStream_tbEUlT_E_NS1_11comp_targetILNS1_3genE3ELNS1_11target_archE908ELNS1_3gpuE7ELNS1_3repE0EEENS1_30default_config_static_selectorELNS0_4arch9wavefront6targetE1EEEvSP_,comdat
	.protected	_ZN7rocprim17ROCPRIM_400000_NS6detail17trampoline_kernelINS0_14default_configENS1_21merge_config_selectorIxNS0_10empty_typeEEEZNS1_10merge_implIS3_N6thrust23THRUST_200600_302600_NS6detail15normal_iteratorINS9_10device_ptrIKxEEEESF_NSB_INSC_IxEEEEPS5_SI_SI_NS9_7greaterIxEEEE10hipError_tPvRmT0_T1_T2_T3_T4_T5_mmT6_P12ihipStream_tbEUlT_E_NS1_11comp_targetILNS1_3genE3ELNS1_11target_archE908ELNS1_3gpuE7ELNS1_3repE0EEENS1_30default_config_static_selectorELNS0_4arch9wavefront6targetE1EEEvSP_ ; -- Begin function _ZN7rocprim17ROCPRIM_400000_NS6detail17trampoline_kernelINS0_14default_configENS1_21merge_config_selectorIxNS0_10empty_typeEEEZNS1_10merge_implIS3_N6thrust23THRUST_200600_302600_NS6detail15normal_iteratorINS9_10device_ptrIKxEEEESF_NSB_INSC_IxEEEEPS5_SI_SI_NS9_7greaterIxEEEE10hipError_tPvRmT0_T1_T2_T3_T4_T5_mmT6_P12ihipStream_tbEUlT_E_NS1_11comp_targetILNS1_3genE3ELNS1_11target_archE908ELNS1_3gpuE7ELNS1_3repE0EEENS1_30default_config_static_selectorELNS0_4arch9wavefront6targetE1EEEvSP_
	.globl	_ZN7rocprim17ROCPRIM_400000_NS6detail17trampoline_kernelINS0_14default_configENS1_21merge_config_selectorIxNS0_10empty_typeEEEZNS1_10merge_implIS3_N6thrust23THRUST_200600_302600_NS6detail15normal_iteratorINS9_10device_ptrIKxEEEESF_NSB_INSC_IxEEEEPS5_SI_SI_NS9_7greaterIxEEEE10hipError_tPvRmT0_T1_T2_T3_T4_T5_mmT6_P12ihipStream_tbEUlT_E_NS1_11comp_targetILNS1_3genE3ELNS1_11target_archE908ELNS1_3gpuE7ELNS1_3repE0EEENS1_30default_config_static_selectorELNS0_4arch9wavefront6targetE1EEEvSP_
	.p2align	8
	.type	_ZN7rocprim17ROCPRIM_400000_NS6detail17trampoline_kernelINS0_14default_configENS1_21merge_config_selectorIxNS0_10empty_typeEEEZNS1_10merge_implIS3_N6thrust23THRUST_200600_302600_NS6detail15normal_iteratorINS9_10device_ptrIKxEEEESF_NSB_INSC_IxEEEEPS5_SI_SI_NS9_7greaterIxEEEE10hipError_tPvRmT0_T1_T2_T3_T4_T5_mmT6_P12ihipStream_tbEUlT_E_NS1_11comp_targetILNS1_3genE3ELNS1_11target_archE908ELNS1_3gpuE7ELNS1_3repE0EEENS1_30default_config_static_selectorELNS0_4arch9wavefront6targetE1EEEvSP_,@function
_ZN7rocprim17ROCPRIM_400000_NS6detail17trampoline_kernelINS0_14default_configENS1_21merge_config_selectorIxNS0_10empty_typeEEEZNS1_10merge_implIS3_N6thrust23THRUST_200600_302600_NS6detail15normal_iteratorINS9_10device_ptrIKxEEEESF_NSB_INSC_IxEEEEPS5_SI_SI_NS9_7greaterIxEEEE10hipError_tPvRmT0_T1_T2_T3_T4_T5_mmT6_P12ihipStream_tbEUlT_E_NS1_11comp_targetILNS1_3genE3ELNS1_11target_archE908ELNS1_3gpuE7ELNS1_3repE0EEENS1_30default_config_static_selectorELNS0_4arch9wavefront6targetE1EEEvSP_: ; @_ZN7rocprim17ROCPRIM_400000_NS6detail17trampoline_kernelINS0_14default_configENS1_21merge_config_selectorIxNS0_10empty_typeEEEZNS1_10merge_implIS3_N6thrust23THRUST_200600_302600_NS6detail15normal_iteratorINS9_10device_ptrIKxEEEESF_NSB_INSC_IxEEEEPS5_SI_SI_NS9_7greaterIxEEEE10hipError_tPvRmT0_T1_T2_T3_T4_T5_mmT6_P12ihipStream_tbEUlT_E_NS1_11comp_targetILNS1_3genE3ELNS1_11target_archE908ELNS1_3gpuE7ELNS1_3repE0EEENS1_30default_config_static_selectorELNS0_4arch9wavefront6targetE1EEEvSP_
; %bb.0:
	.section	.rodata,"a",@progbits
	.p2align	6, 0x0
	.amdhsa_kernel _ZN7rocprim17ROCPRIM_400000_NS6detail17trampoline_kernelINS0_14default_configENS1_21merge_config_selectorIxNS0_10empty_typeEEEZNS1_10merge_implIS3_N6thrust23THRUST_200600_302600_NS6detail15normal_iteratorINS9_10device_ptrIKxEEEESF_NSB_INSC_IxEEEEPS5_SI_SI_NS9_7greaterIxEEEE10hipError_tPvRmT0_T1_T2_T3_T4_T5_mmT6_P12ihipStream_tbEUlT_E_NS1_11comp_targetILNS1_3genE3ELNS1_11target_archE908ELNS1_3gpuE7ELNS1_3repE0EEENS1_30default_config_static_selectorELNS0_4arch9wavefront6targetE1EEEvSP_
		.amdhsa_group_segment_fixed_size 0
		.amdhsa_private_segment_fixed_size 0
		.amdhsa_kernarg_size 48
		.amdhsa_user_sgpr_count 6
		.amdhsa_user_sgpr_private_segment_buffer 1
		.amdhsa_user_sgpr_dispatch_ptr 0
		.amdhsa_user_sgpr_queue_ptr 0
		.amdhsa_user_sgpr_kernarg_segment_ptr 1
		.amdhsa_user_sgpr_dispatch_id 0
		.amdhsa_user_sgpr_flat_scratch_init 0
		.amdhsa_user_sgpr_kernarg_preload_length 0
		.amdhsa_user_sgpr_kernarg_preload_offset 0
		.amdhsa_user_sgpr_private_segment_size 0
		.amdhsa_uses_dynamic_stack 0
		.amdhsa_system_sgpr_private_segment_wavefront_offset 0
		.amdhsa_system_sgpr_workgroup_id_x 1
		.amdhsa_system_sgpr_workgroup_id_y 0
		.amdhsa_system_sgpr_workgroup_id_z 0
		.amdhsa_system_sgpr_workgroup_info 0
		.amdhsa_system_vgpr_workitem_id 0
		.amdhsa_next_free_vgpr 1
		.amdhsa_next_free_sgpr 0
		.amdhsa_accum_offset 4
		.amdhsa_reserve_vcc 0
		.amdhsa_reserve_flat_scratch 0
		.amdhsa_float_round_mode_32 0
		.amdhsa_float_round_mode_16_64 0
		.amdhsa_float_denorm_mode_32 3
		.amdhsa_float_denorm_mode_16_64 3
		.amdhsa_dx10_clamp 1
		.amdhsa_ieee_mode 1
		.amdhsa_fp16_overflow 0
		.amdhsa_tg_split 0
		.amdhsa_exception_fp_ieee_invalid_op 0
		.amdhsa_exception_fp_denorm_src 0
		.amdhsa_exception_fp_ieee_div_zero 0
		.amdhsa_exception_fp_ieee_overflow 0
		.amdhsa_exception_fp_ieee_underflow 0
		.amdhsa_exception_fp_ieee_inexact 0
		.amdhsa_exception_int_div_zero 0
	.end_amdhsa_kernel
	.section	.text._ZN7rocprim17ROCPRIM_400000_NS6detail17trampoline_kernelINS0_14default_configENS1_21merge_config_selectorIxNS0_10empty_typeEEEZNS1_10merge_implIS3_N6thrust23THRUST_200600_302600_NS6detail15normal_iteratorINS9_10device_ptrIKxEEEESF_NSB_INSC_IxEEEEPS5_SI_SI_NS9_7greaterIxEEEE10hipError_tPvRmT0_T1_T2_T3_T4_T5_mmT6_P12ihipStream_tbEUlT_E_NS1_11comp_targetILNS1_3genE3ELNS1_11target_archE908ELNS1_3gpuE7ELNS1_3repE0EEENS1_30default_config_static_selectorELNS0_4arch9wavefront6targetE1EEEvSP_,"axG",@progbits,_ZN7rocprim17ROCPRIM_400000_NS6detail17trampoline_kernelINS0_14default_configENS1_21merge_config_selectorIxNS0_10empty_typeEEEZNS1_10merge_implIS3_N6thrust23THRUST_200600_302600_NS6detail15normal_iteratorINS9_10device_ptrIKxEEEESF_NSB_INSC_IxEEEEPS5_SI_SI_NS9_7greaterIxEEEE10hipError_tPvRmT0_T1_T2_T3_T4_T5_mmT6_P12ihipStream_tbEUlT_E_NS1_11comp_targetILNS1_3genE3ELNS1_11target_archE908ELNS1_3gpuE7ELNS1_3repE0EEENS1_30default_config_static_selectorELNS0_4arch9wavefront6targetE1EEEvSP_,comdat
.Lfunc_end554:
	.size	_ZN7rocprim17ROCPRIM_400000_NS6detail17trampoline_kernelINS0_14default_configENS1_21merge_config_selectorIxNS0_10empty_typeEEEZNS1_10merge_implIS3_N6thrust23THRUST_200600_302600_NS6detail15normal_iteratorINS9_10device_ptrIKxEEEESF_NSB_INSC_IxEEEEPS5_SI_SI_NS9_7greaterIxEEEE10hipError_tPvRmT0_T1_T2_T3_T4_T5_mmT6_P12ihipStream_tbEUlT_E_NS1_11comp_targetILNS1_3genE3ELNS1_11target_archE908ELNS1_3gpuE7ELNS1_3repE0EEENS1_30default_config_static_selectorELNS0_4arch9wavefront6targetE1EEEvSP_, .Lfunc_end554-_ZN7rocprim17ROCPRIM_400000_NS6detail17trampoline_kernelINS0_14default_configENS1_21merge_config_selectorIxNS0_10empty_typeEEEZNS1_10merge_implIS3_N6thrust23THRUST_200600_302600_NS6detail15normal_iteratorINS9_10device_ptrIKxEEEESF_NSB_INSC_IxEEEEPS5_SI_SI_NS9_7greaterIxEEEE10hipError_tPvRmT0_T1_T2_T3_T4_T5_mmT6_P12ihipStream_tbEUlT_E_NS1_11comp_targetILNS1_3genE3ELNS1_11target_archE908ELNS1_3gpuE7ELNS1_3repE0EEENS1_30default_config_static_selectorELNS0_4arch9wavefront6targetE1EEEvSP_
                                        ; -- End function
	.section	.AMDGPU.csdata,"",@progbits
; Kernel info:
; codeLenInByte = 0
; NumSgprs: 4
; NumVgprs: 0
; NumAgprs: 0
; TotalNumVgprs: 0
; ScratchSize: 0
; MemoryBound: 0
; FloatMode: 240
; IeeeMode: 1
; LDSByteSize: 0 bytes/workgroup (compile time only)
; SGPRBlocks: 0
; VGPRBlocks: 0
; NumSGPRsForWavesPerEU: 4
; NumVGPRsForWavesPerEU: 1
; AccumOffset: 4
; Occupancy: 8
; WaveLimiterHint : 0
; COMPUTE_PGM_RSRC2:SCRATCH_EN: 0
; COMPUTE_PGM_RSRC2:USER_SGPR: 6
; COMPUTE_PGM_RSRC2:TRAP_HANDLER: 0
; COMPUTE_PGM_RSRC2:TGID_X_EN: 1
; COMPUTE_PGM_RSRC2:TGID_Y_EN: 0
; COMPUTE_PGM_RSRC2:TGID_Z_EN: 0
; COMPUTE_PGM_RSRC2:TIDIG_COMP_CNT: 0
; COMPUTE_PGM_RSRC3_GFX90A:ACCUM_OFFSET: 0
; COMPUTE_PGM_RSRC3_GFX90A:TG_SPLIT: 0
	.section	.text._ZN7rocprim17ROCPRIM_400000_NS6detail17trampoline_kernelINS0_14default_configENS1_21merge_config_selectorIxNS0_10empty_typeEEEZNS1_10merge_implIS3_N6thrust23THRUST_200600_302600_NS6detail15normal_iteratorINS9_10device_ptrIKxEEEESF_NSB_INSC_IxEEEEPS5_SI_SI_NS9_7greaterIxEEEE10hipError_tPvRmT0_T1_T2_T3_T4_T5_mmT6_P12ihipStream_tbEUlT_E_NS1_11comp_targetILNS1_3genE2ELNS1_11target_archE906ELNS1_3gpuE6ELNS1_3repE0EEENS1_30default_config_static_selectorELNS0_4arch9wavefront6targetE1EEEvSP_,"axG",@progbits,_ZN7rocprim17ROCPRIM_400000_NS6detail17trampoline_kernelINS0_14default_configENS1_21merge_config_selectorIxNS0_10empty_typeEEEZNS1_10merge_implIS3_N6thrust23THRUST_200600_302600_NS6detail15normal_iteratorINS9_10device_ptrIKxEEEESF_NSB_INSC_IxEEEEPS5_SI_SI_NS9_7greaterIxEEEE10hipError_tPvRmT0_T1_T2_T3_T4_T5_mmT6_P12ihipStream_tbEUlT_E_NS1_11comp_targetILNS1_3genE2ELNS1_11target_archE906ELNS1_3gpuE6ELNS1_3repE0EEENS1_30default_config_static_selectorELNS0_4arch9wavefront6targetE1EEEvSP_,comdat
	.protected	_ZN7rocprim17ROCPRIM_400000_NS6detail17trampoline_kernelINS0_14default_configENS1_21merge_config_selectorIxNS0_10empty_typeEEEZNS1_10merge_implIS3_N6thrust23THRUST_200600_302600_NS6detail15normal_iteratorINS9_10device_ptrIKxEEEESF_NSB_INSC_IxEEEEPS5_SI_SI_NS9_7greaterIxEEEE10hipError_tPvRmT0_T1_T2_T3_T4_T5_mmT6_P12ihipStream_tbEUlT_E_NS1_11comp_targetILNS1_3genE2ELNS1_11target_archE906ELNS1_3gpuE6ELNS1_3repE0EEENS1_30default_config_static_selectorELNS0_4arch9wavefront6targetE1EEEvSP_ ; -- Begin function _ZN7rocprim17ROCPRIM_400000_NS6detail17trampoline_kernelINS0_14default_configENS1_21merge_config_selectorIxNS0_10empty_typeEEEZNS1_10merge_implIS3_N6thrust23THRUST_200600_302600_NS6detail15normal_iteratorINS9_10device_ptrIKxEEEESF_NSB_INSC_IxEEEEPS5_SI_SI_NS9_7greaterIxEEEE10hipError_tPvRmT0_T1_T2_T3_T4_T5_mmT6_P12ihipStream_tbEUlT_E_NS1_11comp_targetILNS1_3genE2ELNS1_11target_archE906ELNS1_3gpuE6ELNS1_3repE0EEENS1_30default_config_static_selectorELNS0_4arch9wavefront6targetE1EEEvSP_
	.globl	_ZN7rocprim17ROCPRIM_400000_NS6detail17trampoline_kernelINS0_14default_configENS1_21merge_config_selectorIxNS0_10empty_typeEEEZNS1_10merge_implIS3_N6thrust23THRUST_200600_302600_NS6detail15normal_iteratorINS9_10device_ptrIKxEEEESF_NSB_INSC_IxEEEEPS5_SI_SI_NS9_7greaterIxEEEE10hipError_tPvRmT0_T1_T2_T3_T4_T5_mmT6_P12ihipStream_tbEUlT_E_NS1_11comp_targetILNS1_3genE2ELNS1_11target_archE906ELNS1_3gpuE6ELNS1_3repE0EEENS1_30default_config_static_selectorELNS0_4arch9wavefront6targetE1EEEvSP_
	.p2align	8
	.type	_ZN7rocprim17ROCPRIM_400000_NS6detail17trampoline_kernelINS0_14default_configENS1_21merge_config_selectorIxNS0_10empty_typeEEEZNS1_10merge_implIS3_N6thrust23THRUST_200600_302600_NS6detail15normal_iteratorINS9_10device_ptrIKxEEEESF_NSB_INSC_IxEEEEPS5_SI_SI_NS9_7greaterIxEEEE10hipError_tPvRmT0_T1_T2_T3_T4_T5_mmT6_P12ihipStream_tbEUlT_E_NS1_11comp_targetILNS1_3genE2ELNS1_11target_archE906ELNS1_3gpuE6ELNS1_3repE0EEENS1_30default_config_static_selectorELNS0_4arch9wavefront6targetE1EEEvSP_,@function
_ZN7rocprim17ROCPRIM_400000_NS6detail17trampoline_kernelINS0_14default_configENS1_21merge_config_selectorIxNS0_10empty_typeEEEZNS1_10merge_implIS3_N6thrust23THRUST_200600_302600_NS6detail15normal_iteratorINS9_10device_ptrIKxEEEESF_NSB_INSC_IxEEEEPS5_SI_SI_NS9_7greaterIxEEEE10hipError_tPvRmT0_T1_T2_T3_T4_T5_mmT6_P12ihipStream_tbEUlT_E_NS1_11comp_targetILNS1_3genE2ELNS1_11target_archE906ELNS1_3gpuE6ELNS1_3repE0EEENS1_30default_config_static_selectorELNS0_4arch9wavefront6targetE1EEEvSP_: ; @_ZN7rocprim17ROCPRIM_400000_NS6detail17trampoline_kernelINS0_14default_configENS1_21merge_config_selectorIxNS0_10empty_typeEEEZNS1_10merge_implIS3_N6thrust23THRUST_200600_302600_NS6detail15normal_iteratorINS9_10device_ptrIKxEEEESF_NSB_INSC_IxEEEEPS5_SI_SI_NS9_7greaterIxEEEE10hipError_tPvRmT0_T1_T2_T3_T4_T5_mmT6_P12ihipStream_tbEUlT_E_NS1_11comp_targetILNS1_3genE2ELNS1_11target_archE906ELNS1_3gpuE6ELNS1_3repE0EEENS1_30default_config_static_selectorELNS0_4arch9wavefront6targetE1EEEvSP_
; %bb.0:
	.section	.rodata,"a",@progbits
	.p2align	6, 0x0
	.amdhsa_kernel _ZN7rocprim17ROCPRIM_400000_NS6detail17trampoline_kernelINS0_14default_configENS1_21merge_config_selectorIxNS0_10empty_typeEEEZNS1_10merge_implIS3_N6thrust23THRUST_200600_302600_NS6detail15normal_iteratorINS9_10device_ptrIKxEEEESF_NSB_INSC_IxEEEEPS5_SI_SI_NS9_7greaterIxEEEE10hipError_tPvRmT0_T1_T2_T3_T4_T5_mmT6_P12ihipStream_tbEUlT_E_NS1_11comp_targetILNS1_3genE2ELNS1_11target_archE906ELNS1_3gpuE6ELNS1_3repE0EEENS1_30default_config_static_selectorELNS0_4arch9wavefront6targetE1EEEvSP_
		.amdhsa_group_segment_fixed_size 0
		.amdhsa_private_segment_fixed_size 0
		.amdhsa_kernarg_size 48
		.amdhsa_user_sgpr_count 6
		.amdhsa_user_sgpr_private_segment_buffer 1
		.amdhsa_user_sgpr_dispatch_ptr 0
		.amdhsa_user_sgpr_queue_ptr 0
		.amdhsa_user_sgpr_kernarg_segment_ptr 1
		.amdhsa_user_sgpr_dispatch_id 0
		.amdhsa_user_sgpr_flat_scratch_init 0
		.amdhsa_user_sgpr_kernarg_preload_length 0
		.amdhsa_user_sgpr_kernarg_preload_offset 0
		.amdhsa_user_sgpr_private_segment_size 0
		.amdhsa_uses_dynamic_stack 0
		.amdhsa_system_sgpr_private_segment_wavefront_offset 0
		.amdhsa_system_sgpr_workgroup_id_x 1
		.amdhsa_system_sgpr_workgroup_id_y 0
		.amdhsa_system_sgpr_workgroup_id_z 0
		.amdhsa_system_sgpr_workgroup_info 0
		.amdhsa_system_vgpr_workitem_id 0
		.amdhsa_next_free_vgpr 1
		.amdhsa_next_free_sgpr 0
		.amdhsa_accum_offset 4
		.amdhsa_reserve_vcc 0
		.amdhsa_reserve_flat_scratch 0
		.amdhsa_float_round_mode_32 0
		.amdhsa_float_round_mode_16_64 0
		.amdhsa_float_denorm_mode_32 3
		.amdhsa_float_denorm_mode_16_64 3
		.amdhsa_dx10_clamp 1
		.amdhsa_ieee_mode 1
		.amdhsa_fp16_overflow 0
		.amdhsa_tg_split 0
		.amdhsa_exception_fp_ieee_invalid_op 0
		.amdhsa_exception_fp_denorm_src 0
		.amdhsa_exception_fp_ieee_div_zero 0
		.amdhsa_exception_fp_ieee_overflow 0
		.amdhsa_exception_fp_ieee_underflow 0
		.amdhsa_exception_fp_ieee_inexact 0
		.amdhsa_exception_int_div_zero 0
	.end_amdhsa_kernel
	.section	.text._ZN7rocprim17ROCPRIM_400000_NS6detail17trampoline_kernelINS0_14default_configENS1_21merge_config_selectorIxNS0_10empty_typeEEEZNS1_10merge_implIS3_N6thrust23THRUST_200600_302600_NS6detail15normal_iteratorINS9_10device_ptrIKxEEEESF_NSB_INSC_IxEEEEPS5_SI_SI_NS9_7greaterIxEEEE10hipError_tPvRmT0_T1_T2_T3_T4_T5_mmT6_P12ihipStream_tbEUlT_E_NS1_11comp_targetILNS1_3genE2ELNS1_11target_archE906ELNS1_3gpuE6ELNS1_3repE0EEENS1_30default_config_static_selectorELNS0_4arch9wavefront6targetE1EEEvSP_,"axG",@progbits,_ZN7rocprim17ROCPRIM_400000_NS6detail17trampoline_kernelINS0_14default_configENS1_21merge_config_selectorIxNS0_10empty_typeEEEZNS1_10merge_implIS3_N6thrust23THRUST_200600_302600_NS6detail15normal_iteratorINS9_10device_ptrIKxEEEESF_NSB_INSC_IxEEEEPS5_SI_SI_NS9_7greaterIxEEEE10hipError_tPvRmT0_T1_T2_T3_T4_T5_mmT6_P12ihipStream_tbEUlT_E_NS1_11comp_targetILNS1_3genE2ELNS1_11target_archE906ELNS1_3gpuE6ELNS1_3repE0EEENS1_30default_config_static_selectorELNS0_4arch9wavefront6targetE1EEEvSP_,comdat
.Lfunc_end555:
	.size	_ZN7rocprim17ROCPRIM_400000_NS6detail17trampoline_kernelINS0_14default_configENS1_21merge_config_selectorIxNS0_10empty_typeEEEZNS1_10merge_implIS3_N6thrust23THRUST_200600_302600_NS6detail15normal_iteratorINS9_10device_ptrIKxEEEESF_NSB_INSC_IxEEEEPS5_SI_SI_NS9_7greaterIxEEEE10hipError_tPvRmT0_T1_T2_T3_T4_T5_mmT6_P12ihipStream_tbEUlT_E_NS1_11comp_targetILNS1_3genE2ELNS1_11target_archE906ELNS1_3gpuE6ELNS1_3repE0EEENS1_30default_config_static_selectorELNS0_4arch9wavefront6targetE1EEEvSP_, .Lfunc_end555-_ZN7rocprim17ROCPRIM_400000_NS6detail17trampoline_kernelINS0_14default_configENS1_21merge_config_selectorIxNS0_10empty_typeEEEZNS1_10merge_implIS3_N6thrust23THRUST_200600_302600_NS6detail15normal_iteratorINS9_10device_ptrIKxEEEESF_NSB_INSC_IxEEEEPS5_SI_SI_NS9_7greaterIxEEEE10hipError_tPvRmT0_T1_T2_T3_T4_T5_mmT6_P12ihipStream_tbEUlT_E_NS1_11comp_targetILNS1_3genE2ELNS1_11target_archE906ELNS1_3gpuE6ELNS1_3repE0EEENS1_30default_config_static_selectorELNS0_4arch9wavefront6targetE1EEEvSP_
                                        ; -- End function
	.section	.AMDGPU.csdata,"",@progbits
; Kernel info:
; codeLenInByte = 0
; NumSgprs: 4
; NumVgprs: 0
; NumAgprs: 0
; TotalNumVgprs: 0
; ScratchSize: 0
; MemoryBound: 0
; FloatMode: 240
; IeeeMode: 1
; LDSByteSize: 0 bytes/workgroup (compile time only)
; SGPRBlocks: 0
; VGPRBlocks: 0
; NumSGPRsForWavesPerEU: 4
; NumVGPRsForWavesPerEU: 1
; AccumOffset: 4
; Occupancy: 8
; WaveLimiterHint : 0
; COMPUTE_PGM_RSRC2:SCRATCH_EN: 0
; COMPUTE_PGM_RSRC2:USER_SGPR: 6
; COMPUTE_PGM_RSRC2:TRAP_HANDLER: 0
; COMPUTE_PGM_RSRC2:TGID_X_EN: 1
; COMPUTE_PGM_RSRC2:TGID_Y_EN: 0
; COMPUTE_PGM_RSRC2:TGID_Z_EN: 0
; COMPUTE_PGM_RSRC2:TIDIG_COMP_CNT: 0
; COMPUTE_PGM_RSRC3_GFX90A:ACCUM_OFFSET: 0
; COMPUTE_PGM_RSRC3_GFX90A:TG_SPLIT: 0
	.section	.text._ZN7rocprim17ROCPRIM_400000_NS6detail17trampoline_kernelINS0_14default_configENS1_21merge_config_selectorIxNS0_10empty_typeEEEZNS1_10merge_implIS3_N6thrust23THRUST_200600_302600_NS6detail15normal_iteratorINS9_10device_ptrIKxEEEESF_NSB_INSC_IxEEEEPS5_SI_SI_NS9_7greaterIxEEEE10hipError_tPvRmT0_T1_T2_T3_T4_T5_mmT6_P12ihipStream_tbEUlT_E_NS1_11comp_targetILNS1_3genE10ELNS1_11target_archE1201ELNS1_3gpuE5ELNS1_3repE0EEENS1_30default_config_static_selectorELNS0_4arch9wavefront6targetE1EEEvSP_,"axG",@progbits,_ZN7rocprim17ROCPRIM_400000_NS6detail17trampoline_kernelINS0_14default_configENS1_21merge_config_selectorIxNS0_10empty_typeEEEZNS1_10merge_implIS3_N6thrust23THRUST_200600_302600_NS6detail15normal_iteratorINS9_10device_ptrIKxEEEESF_NSB_INSC_IxEEEEPS5_SI_SI_NS9_7greaterIxEEEE10hipError_tPvRmT0_T1_T2_T3_T4_T5_mmT6_P12ihipStream_tbEUlT_E_NS1_11comp_targetILNS1_3genE10ELNS1_11target_archE1201ELNS1_3gpuE5ELNS1_3repE0EEENS1_30default_config_static_selectorELNS0_4arch9wavefront6targetE1EEEvSP_,comdat
	.protected	_ZN7rocprim17ROCPRIM_400000_NS6detail17trampoline_kernelINS0_14default_configENS1_21merge_config_selectorIxNS0_10empty_typeEEEZNS1_10merge_implIS3_N6thrust23THRUST_200600_302600_NS6detail15normal_iteratorINS9_10device_ptrIKxEEEESF_NSB_INSC_IxEEEEPS5_SI_SI_NS9_7greaterIxEEEE10hipError_tPvRmT0_T1_T2_T3_T4_T5_mmT6_P12ihipStream_tbEUlT_E_NS1_11comp_targetILNS1_3genE10ELNS1_11target_archE1201ELNS1_3gpuE5ELNS1_3repE0EEENS1_30default_config_static_selectorELNS0_4arch9wavefront6targetE1EEEvSP_ ; -- Begin function _ZN7rocprim17ROCPRIM_400000_NS6detail17trampoline_kernelINS0_14default_configENS1_21merge_config_selectorIxNS0_10empty_typeEEEZNS1_10merge_implIS3_N6thrust23THRUST_200600_302600_NS6detail15normal_iteratorINS9_10device_ptrIKxEEEESF_NSB_INSC_IxEEEEPS5_SI_SI_NS9_7greaterIxEEEE10hipError_tPvRmT0_T1_T2_T3_T4_T5_mmT6_P12ihipStream_tbEUlT_E_NS1_11comp_targetILNS1_3genE10ELNS1_11target_archE1201ELNS1_3gpuE5ELNS1_3repE0EEENS1_30default_config_static_selectorELNS0_4arch9wavefront6targetE1EEEvSP_
	.globl	_ZN7rocprim17ROCPRIM_400000_NS6detail17trampoline_kernelINS0_14default_configENS1_21merge_config_selectorIxNS0_10empty_typeEEEZNS1_10merge_implIS3_N6thrust23THRUST_200600_302600_NS6detail15normal_iteratorINS9_10device_ptrIKxEEEESF_NSB_INSC_IxEEEEPS5_SI_SI_NS9_7greaterIxEEEE10hipError_tPvRmT0_T1_T2_T3_T4_T5_mmT6_P12ihipStream_tbEUlT_E_NS1_11comp_targetILNS1_3genE10ELNS1_11target_archE1201ELNS1_3gpuE5ELNS1_3repE0EEENS1_30default_config_static_selectorELNS0_4arch9wavefront6targetE1EEEvSP_
	.p2align	8
	.type	_ZN7rocprim17ROCPRIM_400000_NS6detail17trampoline_kernelINS0_14default_configENS1_21merge_config_selectorIxNS0_10empty_typeEEEZNS1_10merge_implIS3_N6thrust23THRUST_200600_302600_NS6detail15normal_iteratorINS9_10device_ptrIKxEEEESF_NSB_INSC_IxEEEEPS5_SI_SI_NS9_7greaterIxEEEE10hipError_tPvRmT0_T1_T2_T3_T4_T5_mmT6_P12ihipStream_tbEUlT_E_NS1_11comp_targetILNS1_3genE10ELNS1_11target_archE1201ELNS1_3gpuE5ELNS1_3repE0EEENS1_30default_config_static_selectorELNS0_4arch9wavefront6targetE1EEEvSP_,@function
_ZN7rocprim17ROCPRIM_400000_NS6detail17trampoline_kernelINS0_14default_configENS1_21merge_config_selectorIxNS0_10empty_typeEEEZNS1_10merge_implIS3_N6thrust23THRUST_200600_302600_NS6detail15normal_iteratorINS9_10device_ptrIKxEEEESF_NSB_INSC_IxEEEEPS5_SI_SI_NS9_7greaterIxEEEE10hipError_tPvRmT0_T1_T2_T3_T4_T5_mmT6_P12ihipStream_tbEUlT_E_NS1_11comp_targetILNS1_3genE10ELNS1_11target_archE1201ELNS1_3gpuE5ELNS1_3repE0EEENS1_30default_config_static_selectorELNS0_4arch9wavefront6targetE1EEEvSP_: ; @_ZN7rocprim17ROCPRIM_400000_NS6detail17trampoline_kernelINS0_14default_configENS1_21merge_config_selectorIxNS0_10empty_typeEEEZNS1_10merge_implIS3_N6thrust23THRUST_200600_302600_NS6detail15normal_iteratorINS9_10device_ptrIKxEEEESF_NSB_INSC_IxEEEEPS5_SI_SI_NS9_7greaterIxEEEE10hipError_tPvRmT0_T1_T2_T3_T4_T5_mmT6_P12ihipStream_tbEUlT_E_NS1_11comp_targetILNS1_3genE10ELNS1_11target_archE1201ELNS1_3gpuE5ELNS1_3repE0EEENS1_30default_config_static_selectorELNS0_4arch9wavefront6targetE1EEEvSP_
; %bb.0:
	.section	.rodata,"a",@progbits
	.p2align	6, 0x0
	.amdhsa_kernel _ZN7rocprim17ROCPRIM_400000_NS6detail17trampoline_kernelINS0_14default_configENS1_21merge_config_selectorIxNS0_10empty_typeEEEZNS1_10merge_implIS3_N6thrust23THRUST_200600_302600_NS6detail15normal_iteratorINS9_10device_ptrIKxEEEESF_NSB_INSC_IxEEEEPS5_SI_SI_NS9_7greaterIxEEEE10hipError_tPvRmT0_T1_T2_T3_T4_T5_mmT6_P12ihipStream_tbEUlT_E_NS1_11comp_targetILNS1_3genE10ELNS1_11target_archE1201ELNS1_3gpuE5ELNS1_3repE0EEENS1_30default_config_static_selectorELNS0_4arch9wavefront6targetE1EEEvSP_
		.amdhsa_group_segment_fixed_size 0
		.amdhsa_private_segment_fixed_size 0
		.amdhsa_kernarg_size 48
		.amdhsa_user_sgpr_count 6
		.amdhsa_user_sgpr_private_segment_buffer 1
		.amdhsa_user_sgpr_dispatch_ptr 0
		.amdhsa_user_sgpr_queue_ptr 0
		.amdhsa_user_sgpr_kernarg_segment_ptr 1
		.amdhsa_user_sgpr_dispatch_id 0
		.amdhsa_user_sgpr_flat_scratch_init 0
		.amdhsa_user_sgpr_kernarg_preload_length 0
		.amdhsa_user_sgpr_kernarg_preload_offset 0
		.amdhsa_user_sgpr_private_segment_size 0
		.amdhsa_uses_dynamic_stack 0
		.amdhsa_system_sgpr_private_segment_wavefront_offset 0
		.amdhsa_system_sgpr_workgroup_id_x 1
		.amdhsa_system_sgpr_workgroup_id_y 0
		.amdhsa_system_sgpr_workgroup_id_z 0
		.amdhsa_system_sgpr_workgroup_info 0
		.amdhsa_system_vgpr_workitem_id 0
		.amdhsa_next_free_vgpr 1
		.amdhsa_next_free_sgpr 0
		.amdhsa_accum_offset 4
		.amdhsa_reserve_vcc 0
		.amdhsa_reserve_flat_scratch 0
		.amdhsa_float_round_mode_32 0
		.amdhsa_float_round_mode_16_64 0
		.amdhsa_float_denorm_mode_32 3
		.amdhsa_float_denorm_mode_16_64 3
		.amdhsa_dx10_clamp 1
		.amdhsa_ieee_mode 1
		.amdhsa_fp16_overflow 0
		.amdhsa_tg_split 0
		.amdhsa_exception_fp_ieee_invalid_op 0
		.amdhsa_exception_fp_denorm_src 0
		.amdhsa_exception_fp_ieee_div_zero 0
		.amdhsa_exception_fp_ieee_overflow 0
		.amdhsa_exception_fp_ieee_underflow 0
		.amdhsa_exception_fp_ieee_inexact 0
		.amdhsa_exception_int_div_zero 0
	.end_amdhsa_kernel
	.section	.text._ZN7rocprim17ROCPRIM_400000_NS6detail17trampoline_kernelINS0_14default_configENS1_21merge_config_selectorIxNS0_10empty_typeEEEZNS1_10merge_implIS3_N6thrust23THRUST_200600_302600_NS6detail15normal_iteratorINS9_10device_ptrIKxEEEESF_NSB_INSC_IxEEEEPS5_SI_SI_NS9_7greaterIxEEEE10hipError_tPvRmT0_T1_T2_T3_T4_T5_mmT6_P12ihipStream_tbEUlT_E_NS1_11comp_targetILNS1_3genE10ELNS1_11target_archE1201ELNS1_3gpuE5ELNS1_3repE0EEENS1_30default_config_static_selectorELNS0_4arch9wavefront6targetE1EEEvSP_,"axG",@progbits,_ZN7rocprim17ROCPRIM_400000_NS6detail17trampoline_kernelINS0_14default_configENS1_21merge_config_selectorIxNS0_10empty_typeEEEZNS1_10merge_implIS3_N6thrust23THRUST_200600_302600_NS6detail15normal_iteratorINS9_10device_ptrIKxEEEESF_NSB_INSC_IxEEEEPS5_SI_SI_NS9_7greaterIxEEEE10hipError_tPvRmT0_T1_T2_T3_T4_T5_mmT6_P12ihipStream_tbEUlT_E_NS1_11comp_targetILNS1_3genE10ELNS1_11target_archE1201ELNS1_3gpuE5ELNS1_3repE0EEENS1_30default_config_static_selectorELNS0_4arch9wavefront6targetE1EEEvSP_,comdat
.Lfunc_end556:
	.size	_ZN7rocprim17ROCPRIM_400000_NS6detail17trampoline_kernelINS0_14default_configENS1_21merge_config_selectorIxNS0_10empty_typeEEEZNS1_10merge_implIS3_N6thrust23THRUST_200600_302600_NS6detail15normal_iteratorINS9_10device_ptrIKxEEEESF_NSB_INSC_IxEEEEPS5_SI_SI_NS9_7greaterIxEEEE10hipError_tPvRmT0_T1_T2_T3_T4_T5_mmT6_P12ihipStream_tbEUlT_E_NS1_11comp_targetILNS1_3genE10ELNS1_11target_archE1201ELNS1_3gpuE5ELNS1_3repE0EEENS1_30default_config_static_selectorELNS0_4arch9wavefront6targetE1EEEvSP_, .Lfunc_end556-_ZN7rocprim17ROCPRIM_400000_NS6detail17trampoline_kernelINS0_14default_configENS1_21merge_config_selectorIxNS0_10empty_typeEEEZNS1_10merge_implIS3_N6thrust23THRUST_200600_302600_NS6detail15normal_iteratorINS9_10device_ptrIKxEEEESF_NSB_INSC_IxEEEEPS5_SI_SI_NS9_7greaterIxEEEE10hipError_tPvRmT0_T1_T2_T3_T4_T5_mmT6_P12ihipStream_tbEUlT_E_NS1_11comp_targetILNS1_3genE10ELNS1_11target_archE1201ELNS1_3gpuE5ELNS1_3repE0EEENS1_30default_config_static_selectorELNS0_4arch9wavefront6targetE1EEEvSP_
                                        ; -- End function
	.section	.AMDGPU.csdata,"",@progbits
; Kernel info:
; codeLenInByte = 0
; NumSgprs: 4
; NumVgprs: 0
; NumAgprs: 0
; TotalNumVgprs: 0
; ScratchSize: 0
; MemoryBound: 0
; FloatMode: 240
; IeeeMode: 1
; LDSByteSize: 0 bytes/workgroup (compile time only)
; SGPRBlocks: 0
; VGPRBlocks: 0
; NumSGPRsForWavesPerEU: 4
; NumVGPRsForWavesPerEU: 1
; AccumOffset: 4
; Occupancy: 8
; WaveLimiterHint : 0
; COMPUTE_PGM_RSRC2:SCRATCH_EN: 0
; COMPUTE_PGM_RSRC2:USER_SGPR: 6
; COMPUTE_PGM_RSRC2:TRAP_HANDLER: 0
; COMPUTE_PGM_RSRC2:TGID_X_EN: 1
; COMPUTE_PGM_RSRC2:TGID_Y_EN: 0
; COMPUTE_PGM_RSRC2:TGID_Z_EN: 0
; COMPUTE_PGM_RSRC2:TIDIG_COMP_CNT: 0
; COMPUTE_PGM_RSRC3_GFX90A:ACCUM_OFFSET: 0
; COMPUTE_PGM_RSRC3_GFX90A:TG_SPLIT: 0
	.section	.text._ZN7rocprim17ROCPRIM_400000_NS6detail17trampoline_kernelINS0_14default_configENS1_21merge_config_selectorIxNS0_10empty_typeEEEZNS1_10merge_implIS3_N6thrust23THRUST_200600_302600_NS6detail15normal_iteratorINS9_10device_ptrIKxEEEESF_NSB_INSC_IxEEEEPS5_SI_SI_NS9_7greaterIxEEEE10hipError_tPvRmT0_T1_T2_T3_T4_T5_mmT6_P12ihipStream_tbEUlT_E_NS1_11comp_targetILNS1_3genE10ELNS1_11target_archE1200ELNS1_3gpuE4ELNS1_3repE0EEENS1_30default_config_static_selectorELNS0_4arch9wavefront6targetE1EEEvSP_,"axG",@progbits,_ZN7rocprim17ROCPRIM_400000_NS6detail17trampoline_kernelINS0_14default_configENS1_21merge_config_selectorIxNS0_10empty_typeEEEZNS1_10merge_implIS3_N6thrust23THRUST_200600_302600_NS6detail15normal_iteratorINS9_10device_ptrIKxEEEESF_NSB_INSC_IxEEEEPS5_SI_SI_NS9_7greaterIxEEEE10hipError_tPvRmT0_T1_T2_T3_T4_T5_mmT6_P12ihipStream_tbEUlT_E_NS1_11comp_targetILNS1_3genE10ELNS1_11target_archE1200ELNS1_3gpuE4ELNS1_3repE0EEENS1_30default_config_static_selectorELNS0_4arch9wavefront6targetE1EEEvSP_,comdat
	.protected	_ZN7rocprim17ROCPRIM_400000_NS6detail17trampoline_kernelINS0_14default_configENS1_21merge_config_selectorIxNS0_10empty_typeEEEZNS1_10merge_implIS3_N6thrust23THRUST_200600_302600_NS6detail15normal_iteratorINS9_10device_ptrIKxEEEESF_NSB_INSC_IxEEEEPS5_SI_SI_NS9_7greaterIxEEEE10hipError_tPvRmT0_T1_T2_T3_T4_T5_mmT6_P12ihipStream_tbEUlT_E_NS1_11comp_targetILNS1_3genE10ELNS1_11target_archE1200ELNS1_3gpuE4ELNS1_3repE0EEENS1_30default_config_static_selectorELNS0_4arch9wavefront6targetE1EEEvSP_ ; -- Begin function _ZN7rocprim17ROCPRIM_400000_NS6detail17trampoline_kernelINS0_14default_configENS1_21merge_config_selectorIxNS0_10empty_typeEEEZNS1_10merge_implIS3_N6thrust23THRUST_200600_302600_NS6detail15normal_iteratorINS9_10device_ptrIKxEEEESF_NSB_INSC_IxEEEEPS5_SI_SI_NS9_7greaterIxEEEE10hipError_tPvRmT0_T1_T2_T3_T4_T5_mmT6_P12ihipStream_tbEUlT_E_NS1_11comp_targetILNS1_3genE10ELNS1_11target_archE1200ELNS1_3gpuE4ELNS1_3repE0EEENS1_30default_config_static_selectorELNS0_4arch9wavefront6targetE1EEEvSP_
	.globl	_ZN7rocprim17ROCPRIM_400000_NS6detail17trampoline_kernelINS0_14default_configENS1_21merge_config_selectorIxNS0_10empty_typeEEEZNS1_10merge_implIS3_N6thrust23THRUST_200600_302600_NS6detail15normal_iteratorINS9_10device_ptrIKxEEEESF_NSB_INSC_IxEEEEPS5_SI_SI_NS9_7greaterIxEEEE10hipError_tPvRmT0_T1_T2_T3_T4_T5_mmT6_P12ihipStream_tbEUlT_E_NS1_11comp_targetILNS1_3genE10ELNS1_11target_archE1200ELNS1_3gpuE4ELNS1_3repE0EEENS1_30default_config_static_selectorELNS0_4arch9wavefront6targetE1EEEvSP_
	.p2align	8
	.type	_ZN7rocprim17ROCPRIM_400000_NS6detail17trampoline_kernelINS0_14default_configENS1_21merge_config_selectorIxNS0_10empty_typeEEEZNS1_10merge_implIS3_N6thrust23THRUST_200600_302600_NS6detail15normal_iteratorINS9_10device_ptrIKxEEEESF_NSB_INSC_IxEEEEPS5_SI_SI_NS9_7greaterIxEEEE10hipError_tPvRmT0_T1_T2_T3_T4_T5_mmT6_P12ihipStream_tbEUlT_E_NS1_11comp_targetILNS1_3genE10ELNS1_11target_archE1200ELNS1_3gpuE4ELNS1_3repE0EEENS1_30default_config_static_selectorELNS0_4arch9wavefront6targetE1EEEvSP_,@function
_ZN7rocprim17ROCPRIM_400000_NS6detail17trampoline_kernelINS0_14default_configENS1_21merge_config_selectorIxNS0_10empty_typeEEEZNS1_10merge_implIS3_N6thrust23THRUST_200600_302600_NS6detail15normal_iteratorINS9_10device_ptrIKxEEEESF_NSB_INSC_IxEEEEPS5_SI_SI_NS9_7greaterIxEEEE10hipError_tPvRmT0_T1_T2_T3_T4_T5_mmT6_P12ihipStream_tbEUlT_E_NS1_11comp_targetILNS1_3genE10ELNS1_11target_archE1200ELNS1_3gpuE4ELNS1_3repE0EEENS1_30default_config_static_selectorELNS0_4arch9wavefront6targetE1EEEvSP_: ; @_ZN7rocprim17ROCPRIM_400000_NS6detail17trampoline_kernelINS0_14default_configENS1_21merge_config_selectorIxNS0_10empty_typeEEEZNS1_10merge_implIS3_N6thrust23THRUST_200600_302600_NS6detail15normal_iteratorINS9_10device_ptrIKxEEEESF_NSB_INSC_IxEEEEPS5_SI_SI_NS9_7greaterIxEEEE10hipError_tPvRmT0_T1_T2_T3_T4_T5_mmT6_P12ihipStream_tbEUlT_E_NS1_11comp_targetILNS1_3genE10ELNS1_11target_archE1200ELNS1_3gpuE4ELNS1_3repE0EEENS1_30default_config_static_selectorELNS0_4arch9wavefront6targetE1EEEvSP_
; %bb.0:
	.section	.rodata,"a",@progbits
	.p2align	6, 0x0
	.amdhsa_kernel _ZN7rocprim17ROCPRIM_400000_NS6detail17trampoline_kernelINS0_14default_configENS1_21merge_config_selectorIxNS0_10empty_typeEEEZNS1_10merge_implIS3_N6thrust23THRUST_200600_302600_NS6detail15normal_iteratorINS9_10device_ptrIKxEEEESF_NSB_INSC_IxEEEEPS5_SI_SI_NS9_7greaterIxEEEE10hipError_tPvRmT0_T1_T2_T3_T4_T5_mmT6_P12ihipStream_tbEUlT_E_NS1_11comp_targetILNS1_3genE10ELNS1_11target_archE1200ELNS1_3gpuE4ELNS1_3repE0EEENS1_30default_config_static_selectorELNS0_4arch9wavefront6targetE1EEEvSP_
		.amdhsa_group_segment_fixed_size 0
		.amdhsa_private_segment_fixed_size 0
		.amdhsa_kernarg_size 48
		.amdhsa_user_sgpr_count 6
		.amdhsa_user_sgpr_private_segment_buffer 1
		.amdhsa_user_sgpr_dispatch_ptr 0
		.amdhsa_user_sgpr_queue_ptr 0
		.amdhsa_user_sgpr_kernarg_segment_ptr 1
		.amdhsa_user_sgpr_dispatch_id 0
		.amdhsa_user_sgpr_flat_scratch_init 0
		.amdhsa_user_sgpr_kernarg_preload_length 0
		.amdhsa_user_sgpr_kernarg_preload_offset 0
		.amdhsa_user_sgpr_private_segment_size 0
		.amdhsa_uses_dynamic_stack 0
		.amdhsa_system_sgpr_private_segment_wavefront_offset 0
		.amdhsa_system_sgpr_workgroup_id_x 1
		.amdhsa_system_sgpr_workgroup_id_y 0
		.amdhsa_system_sgpr_workgroup_id_z 0
		.amdhsa_system_sgpr_workgroup_info 0
		.amdhsa_system_vgpr_workitem_id 0
		.amdhsa_next_free_vgpr 1
		.amdhsa_next_free_sgpr 0
		.amdhsa_accum_offset 4
		.amdhsa_reserve_vcc 0
		.amdhsa_reserve_flat_scratch 0
		.amdhsa_float_round_mode_32 0
		.amdhsa_float_round_mode_16_64 0
		.amdhsa_float_denorm_mode_32 3
		.amdhsa_float_denorm_mode_16_64 3
		.amdhsa_dx10_clamp 1
		.amdhsa_ieee_mode 1
		.amdhsa_fp16_overflow 0
		.amdhsa_tg_split 0
		.amdhsa_exception_fp_ieee_invalid_op 0
		.amdhsa_exception_fp_denorm_src 0
		.amdhsa_exception_fp_ieee_div_zero 0
		.amdhsa_exception_fp_ieee_overflow 0
		.amdhsa_exception_fp_ieee_underflow 0
		.amdhsa_exception_fp_ieee_inexact 0
		.amdhsa_exception_int_div_zero 0
	.end_amdhsa_kernel
	.section	.text._ZN7rocprim17ROCPRIM_400000_NS6detail17trampoline_kernelINS0_14default_configENS1_21merge_config_selectorIxNS0_10empty_typeEEEZNS1_10merge_implIS3_N6thrust23THRUST_200600_302600_NS6detail15normal_iteratorINS9_10device_ptrIKxEEEESF_NSB_INSC_IxEEEEPS5_SI_SI_NS9_7greaterIxEEEE10hipError_tPvRmT0_T1_T2_T3_T4_T5_mmT6_P12ihipStream_tbEUlT_E_NS1_11comp_targetILNS1_3genE10ELNS1_11target_archE1200ELNS1_3gpuE4ELNS1_3repE0EEENS1_30default_config_static_selectorELNS0_4arch9wavefront6targetE1EEEvSP_,"axG",@progbits,_ZN7rocprim17ROCPRIM_400000_NS6detail17trampoline_kernelINS0_14default_configENS1_21merge_config_selectorIxNS0_10empty_typeEEEZNS1_10merge_implIS3_N6thrust23THRUST_200600_302600_NS6detail15normal_iteratorINS9_10device_ptrIKxEEEESF_NSB_INSC_IxEEEEPS5_SI_SI_NS9_7greaterIxEEEE10hipError_tPvRmT0_T1_T2_T3_T4_T5_mmT6_P12ihipStream_tbEUlT_E_NS1_11comp_targetILNS1_3genE10ELNS1_11target_archE1200ELNS1_3gpuE4ELNS1_3repE0EEENS1_30default_config_static_selectorELNS0_4arch9wavefront6targetE1EEEvSP_,comdat
.Lfunc_end557:
	.size	_ZN7rocprim17ROCPRIM_400000_NS6detail17trampoline_kernelINS0_14default_configENS1_21merge_config_selectorIxNS0_10empty_typeEEEZNS1_10merge_implIS3_N6thrust23THRUST_200600_302600_NS6detail15normal_iteratorINS9_10device_ptrIKxEEEESF_NSB_INSC_IxEEEEPS5_SI_SI_NS9_7greaterIxEEEE10hipError_tPvRmT0_T1_T2_T3_T4_T5_mmT6_P12ihipStream_tbEUlT_E_NS1_11comp_targetILNS1_3genE10ELNS1_11target_archE1200ELNS1_3gpuE4ELNS1_3repE0EEENS1_30default_config_static_selectorELNS0_4arch9wavefront6targetE1EEEvSP_, .Lfunc_end557-_ZN7rocprim17ROCPRIM_400000_NS6detail17trampoline_kernelINS0_14default_configENS1_21merge_config_selectorIxNS0_10empty_typeEEEZNS1_10merge_implIS3_N6thrust23THRUST_200600_302600_NS6detail15normal_iteratorINS9_10device_ptrIKxEEEESF_NSB_INSC_IxEEEEPS5_SI_SI_NS9_7greaterIxEEEE10hipError_tPvRmT0_T1_T2_T3_T4_T5_mmT6_P12ihipStream_tbEUlT_E_NS1_11comp_targetILNS1_3genE10ELNS1_11target_archE1200ELNS1_3gpuE4ELNS1_3repE0EEENS1_30default_config_static_selectorELNS0_4arch9wavefront6targetE1EEEvSP_
                                        ; -- End function
	.section	.AMDGPU.csdata,"",@progbits
; Kernel info:
; codeLenInByte = 0
; NumSgprs: 4
; NumVgprs: 0
; NumAgprs: 0
; TotalNumVgprs: 0
; ScratchSize: 0
; MemoryBound: 0
; FloatMode: 240
; IeeeMode: 1
; LDSByteSize: 0 bytes/workgroup (compile time only)
; SGPRBlocks: 0
; VGPRBlocks: 0
; NumSGPRsForWavesPerEU: 4
; NumVGPRsForWavesPerEU: 1
; AccumOffset: 4
; Occupancy: 8
; WaveLimiterHint : 0
; COMPUTE_PGM_RSRC2:SCRATCH_EN: 0
; COMPUTE_PGM_RSRC2:USER_SGPR: 6
; COMPUTE_PGM_RSRC2:TRAP_HANDLER: 0
; COMPUTE_PGM_RSRC2:TGID_X_EN: 1
; COMPUTE_PGM_RSRC2:TGID_Y_EN: 0
; COMPUTE_PGM_RSRC2:TGID_Z_EN: 0
; COMPUTE_PGM_RSRC2:TIDIG_COMP_CNT: 0
; COMPUTE_PGM_RSRC3_GFX90A:ACCUM_OFFSET: 0
; COMPUTE_PGM_RSRC3_GFX90A:TG_SPLIT: 0
	.section	.text._ZN7rocprim17ROCPRIM_400000_NS6detail17trampoline_kernelINS0_14default_configENS1_21merge_config_selectorIxNS0_10empty_typeEEEZNS1_10merge_implIS3_N6thrust23THRUST_200600_302600_NS6detail15normal_iteratorINS9_10device_ptrIKxEEEESF_NSB_INSC_IxEEEEPS5_SI_SI_NS9_7greaterIxEEEE10hipError_tPvRmT0_T1_T2_T3_T4_T5_mmT6_P12ihipStream_tbEUlT_E_NS1_11comp_targetILNS1_3genE9ELNS1_11target_archE1100ELNS1_3gpuE3ELNS1_3repE0EEENS1_30default_config_static_selectorELNS0_4arch9wavefront6targetE1EEEvSP_,"axG",@progbits,_ZN7rocprim17ROCPRIM_400000_NS6detail17trampoline_kernelINS0_14default_configENS1_21merge_config_selectorIxNS0_10empty_typeEEEZNS1_10merge_implIS3_N6thrust23THRUST_200600_302600_NS6detail15normal_iteratorINS9_10device_ptrIKxEEEESF_NSB_INSC_IxEEEEPS5_SI_SI_NS9_7greaterIxEEEE10hipError_tPvRmT0_T1_T2_T3_T4_T5_mmT6_P12ihipStream_tbEUlT_E_NS1_11comp_targetILNS1_3genE9ELNS1_11target_archE1100ELNS1_3gpuE3ELNS1_3repE0EEENS1_30default_config_static_selectorELNS0_4arch9wavefront6targetE1EEEvSP_,comdat
	.protected	_ZN7rocprim17ROCPRIM_400000_NS6detail17trampoline_kernelINS0_14default_configENS1_21merge_config_selectorIxNS0_10empty_typeEEEZNS1_10merge_implIS3_N6thrust23THRUST_200600_302600_NS6detail15normal_iteratorINS9_10device_ptrIKxEEEESF_NSB_INSC_IxEEEEPS5_SI_SI_NS9_7greaterIxEEEE10hipError_tPvRmT0_T1_T2_T3_T4_T5_mmT6_P12ihipStream_tbEUlT_E_NS1_11comp_targetILNS1_3genE9ELNS1_11target_archE1100ELNS1_3gpuE3ELNS1_3repE0EEENS1_30default_config_static_selectorELNS0_4arch9wavefront6targetE1EEEvSP_ ; -- Begin function _ZN7rocprim17ROCPRIM_400000_NS6detail17trampoline_kernelINS0_14default_configENS1_21merge_config_selectorIxNS0_10empty_typeEEEZNS1_10merge_implIS3_N6thrust23THRUST_200600_302600_NS6detail15normal_iteratorINS9_10device_ptrIKxEEEESF_NSB_INSC_IxEEEEPS5_SI_SI_NS9_7greaterIxEEEE10hipError_tPvRmT0_T1_T2_T3_T4_T5_mmT6_P12ihipStream_tbEUlT_E_NS1_11comp_targetILNS1_3genE9ELNS1_11target_archE1100ELNS1_3gpuE3ELNS1_3repE0EEENS1_30default_config_static_selectorELNS0_4arch9wavefront6targetE1EEEvSP_
	.globl	_ZN7rocprim17ROCPRIM_400000_NS6detail17trampoline_kernelINS0_14default_configENS1_21merge_config_selectorIxNS0_10empty_typeEEEZNS1_10merge_implIS3_N6thrust23THRUST_200600_302600_NS6detail15normal_iteratorINS9_10device_ptrIKxEEEESF_NSB_INSC_IxEEEEPS5_SI_SI_NS9_7greaterIxEEEE10hipError_tPvRmT0_T1_T2_T3_T4_T5_mmT6_P12ihipStream_tbEUlT_E_NS1_11comp_targetILNS1_3genE9ELNS1_11target_archE1100ELNS1_3gpuE3ELNS1_3repE0EEENS1_30default_config_static_selectorELNS0_4arch9wavefront6targetE1EEEvSP_
	.p2align	8
	.type	_ZN7rocprim17ROCPRIM_400000_NS6detail17trampoline_kernelINS0_14default_configENS1_21merge_config_selectorIxNS0_10empty_typeEEEZNS1_10merge_implIS3_N6thrust23THRUST_200600_302600_NS6detail15normal_iteratorINS9_10device_ptrIKxEEEESF_NSB_INSC_IxEEEEPS5_SI_SI_NS9_7greaterIxEEEE10hipError_tPvRmT0_T1_T2_T3_T4_T5_mmT6_P12ihipStream_tbEUlT_E_NS1_11comp_targetILNS1_3genE9ELNS1_11target_archE1100ELNS1_3gpuE3ELNS1_3repE0EEENS1_30default_config_static_selectorELNS0_4arch9wavefront6targetE1EEEvSP_,@function
_ZN7rocprim17ROCPRIM_400000_NS6detail17trampoline_kernelINS0_14default_configENS1_21merge_config_selectorIxNS0_10empty_typeEEEZNS1_10merge_implIS3_N6thrust23THRUST_200600_302600_NS6detail15normal_iteratorINS9_10device_ptrIKxEEEESF_NSB_INSC_IxEEEEPS5_SI_SI_NS9_7greaterIxEEEE10hipError_tPvRmT0_T1_T2_T3_T4_T5_mmT6_P12ihipStream_tbEUlT_E_NS1_11comp_targetILNS1_3genE9ELNS1_11target_archE1100ELNS1_3gpuE3ELNS1_3repE0EEENS1_30default_config_static_selectorELNS0_4arch9wavefront6targetE1EEEvSP_: ; @_ZN7rocprim17ROCPRIM_400000_NS6detail17trampoline_kernelINS0_14default_configENS1_21merge_config_selectorIxNS0_10empty_typeEEEZNS1_10merge_implIS3_N6thrust23THRUST_200600_302600_NS6detail15normal_iteratorINS9_10device_ptrIKxEEEESF_NSB_INSC_IxEEEEPS5_SI_SI_NS9_7greaterIxEEEE10hipError_tPvRmT0_T1_T2_T3_T4_T5_mmT6_P12ihipStream_tbEUlT_E_NS1_11comp_targetILNS1_3genE9ELNS1_11target_archE1100ELNS1_3gpuE3ELNS1_3repE0EEENS1_30default_config_static_selectorELNS0_4arch9wavefront6targetE1EEEvSP_
; %bb.0:
	.section	.rodata,"a",@progbits
	.p2align	6, 0x0
	.amdhsa_kernel _ZN7rocprim17ROCPRIM_400000_NS6detail17trampoline_kernelINS0_14default_configENS1_21merge_config_selectorIxNS0_10empty_typeEEEZNS1_10merge_implIS3_N6thrust23THRUST_200600_302600_NS6detail15normal_iteratorINS9_10device_ptrIKxEEEESF_NSB_INSC_IxEEEEPS5_SI_SI_NS9_7greaterIxEEEE10hipError_tPvRmT0_T1_T2_T3_T4_T5_mmT6_P12ihipStream_tbEUlT_E_NS1_11comp_targetILNS1_3genE9ELNS1_11target_archE1100ELNS1_3gpuE3ELNS1_3repE0EEENS1_30default_config_static_selectorELNS0_4arch9wavefront6targetE1EEEvSP_
		.amdhsa_group_segment_fixed_size 0
		.amdhsa_private_segment_fixed_size 0
		.amdhsa_kernarg_size 48
		.amdhsa_user_sgpr_count 6
		.amdhsa_user_sgpr_private_segment_buffer 1
		.amdhsa_user_sgpr_dispatch_ptr 0
		.amdhsa_user_sgpr_queue_ptr 0
		.amdhsa_user_sgpr_kernarg_segment_ptr 1
		.amdhsa_user_sgpr_dispatch_id 0
		.amdhsa_user_sgpr_flat_scratch_init 0
		.amdhsa_user_sgpr_kernarg_preload_length 0
		.amdhsa_user_sgpr_kernarg_preload_offset 0
		.amdhsa_user_sgpr_private_segment_size 0
		.amdhsa_uses_dynamic_stack 0
		.amdhsa_system_sgpr_private_segment_wavefront_offset 0
		.amdhsa_system_sgpr_workgroup_id_x 1
		.amdhsa_system_sgpr_workgroup_id_y 0
		.amdhsa_system_sgpr_workgroup_id_z 0
		.amdhsa_system_sgpr_workgroup_info 0
		.amdhsa_system_vgpr_workitem_id 0
		.amdhsa_next_free_vgpr 1
		.amdhsa_next_free_sgpr 0
		.amdhsa_accum_offset 4
		.amdhsa_reserve_vcc 0
		.amdhsa_reserve_flat_scratch 0
		.amdhsa_float_round_mode_32 0
		.amdhsa_float_round_mode_16_64 0
		.amdhsa_float_denorm_mode_32 3
		.amdhsa_float_denorm_mode_16_64 3
		.amdhsa_dx10_clamp 1
		.amdhsa_ieee_mode 1
		.amdhsa_fp16_overflow 0
		.amdhsa_tg_split 0
		.amdhsa_exception_fp_ieee_invalid_op 0
		.amdhsa_exception_fp_denorm_src 0
		.amdhsa_exception_fp_ieee_div_zero 0
		.amdhsa_exception_fp_ieee_overflow 0
		.amdhsa_exception_fp_ieee_underflow 0
		.amdhsa_exception_fp_ieee_inexact 0
		.amdhsa_exception_int_div_zero 0
	.end_amdhsa_kernel
	.section	.text._ZN7rocprim17ROCPRIM_400000_NS6detail17trampoline_kernelINS0_14default_configENS1_21merge_config_selectorIxNS0_10empty_typeEEEZNS1_10merge_implIS3_N6thrust23THRUST_200600_302600_NS6detail15normal_iteratorINS9_10device_ptrIKxEEEESF_NSB_INSC_IxEEEEPS5_SI_SI_NS9_7greaterIxEEEE10hipError_tPvRmT0_T1_T2_T3_T4_T5_mmT6_P12ihipStream_tbEUlT_E_NS1_11comp_targetILNS1_3genE9ELNS1_11target_archE1100ELNS1_3gpuE3ELNS1_3repE0EEENS1_30default_config_static_selectorELNS0_4arch9wavefront6targetE1EEEvSP_,"axG",@progbits,_ZN7rocprim17ROCPRIM_400000_NS6detail17trampoline_kernelINS0_14default_configENS1_21merge_config_selectorIxNS0_10empty_typeEEEZNS1_10merge_implIS3_N6thrust23THRUST_200600_302600_NS6detail15normal_iteratorINS9_10device_ptrIKxEEEESF_NSB_INSC_IxEEEEPS5_SI_SI_NS9_7greaterIxEEEE10hipError_tPvRmT0_T1_T2_T3_T4_T5_mmT6_P12ihipStream_tbEUlT_E_NS1_11comp_targetILNS1_3genE9ELNS1_11target_archE1100ELNS1_3gpuE3ELNS1_3repE0EEENS1_30default_config_static_selectorELNS0_4arch9wavefront6targetE1EEEvSP_,comdat
.Lfunc_end558:
	.size	_ZN7rocprim17ROCPRIM_400000_NS6detail17trampoline_kernelINS0_14default_configENS1_21merge_config_selectorIxNS0_10empty_typeEEEZNS1_10merge_implIS3_N6thrust23THRUST_200600_302600_NS6detail15normal_iteratorINS9_10device_ptrIKxEEEESF_NSB_INSC_IxEEEEPS5_SI_SI_NS9_7greaterIxEEEE10hipError_tPvRmT0_T1_T2_T3_T4_T5_mmT6_P12ihipStream_tbEUlT_E_NS1_11comp_targetILNS1_3genE9ELNS1_11target_archE1100ELNS1_3gpuE3ELNS1_3repE0EEENS1_30default_config_static_selectorELNS0_4arch9wavefront6targetE1EEEvSP_, .Lfunc_end558-_ZN7rocprim17ROCPRIM_400000_NS6detail17trampoline_kernelINS0_14default_configENS1_21merge_config_selectorIxNS0_10empty_typeEEEZNS1_10merge_implIS3_N6thrust23THRUST_200600_302600_NS6detail15normal_iteratorINS9_10device_ptrIKxEEEESF_NSB_INSC_IxEEEEPS5_SI_SI_NS9_7greaterIxEEEE10hipError_tPvRmT0_T1_T2_T3_T4_T5_mmT6_P12ihipStream_tbEUlT_E_NS1_11comp_targetILNS1_3genE9ELNS1_11target_archE1100ELNS1_3gpuE3ELNS1_3repE0EEENS1_30default_config_static_selectorELNS0_4arch9wavefront6targetE1EEEvSP_
                                        ; -- End function
	.section	.AMDGPU.csdata,"",@progbits
; Kernel info:
; codeLenInByte = 0
; NumSgprs: 4
; NumVgprs: 0
; NumAgprs: 0
; TotalNumVgprs: 0
; ScratchSize: 0
; MemoryBound: 0
; FloatMode: 240
; IeeeMode: 1
; LDSByteSize: 0 bytes/workgroup (compile time only)
; SGPRBlocks: 0
; VGPRBlocks: 0
; NumSGPRsForWavesPerEU: 4
; NumVGPRsForWavesPerEU: 1
; AccumOffset: 4
; Occupancy: 8
; WaveLimiterHint : 0
; COMPUTE_PGM_RSRC2:SCRATCH_EN: 0
; COMPUTE_PGM_RSRC2:USER_SGPR: 6
; COMPUTE_PGM_RSRC2:TRAP_HANDLER: 0
; COMPUTE_PGM_RSRC2:TGID_X_EN: 1
; COMPUTE_PGM_RSRC2:TGID_Y_EN: 0
; COMPUTE_PGM_RSRC2:TGID_Z_EN: 0
; COMPUTE_PGM_RSRC2:TIDIG_COMP_CNT: 0
; COMPUTE_PGM_RSRC3_GFX90A:ACCUM_OFFSET: 0
; COMPUTE_PGM_RSRC3_GFX90A:TG_SPLIT: 0
	.section	.text._ZN7rocprim17ROCPRIM_400000_NS6detail17trampoline_kernelINS0_14default_configENS1_21merge_config_selectorIxNS0_10empty_typeEEEZNS1_10merge_implIS3_N6thrust23THRUST_200600_302600_NS6detail15normal_iteratorINS9_10device_ptrIKxEEEESF_NSB_INSC_IxEEEEPS5_SI_SI_NS9_7greaterIxEEEE10hipError_tPvRmT0_T1_T2_T3_T4_T5_mmT6_P12ihipStream_tbEUlT_E_NS1_11comp_targetILNS1_3genE8ELNS1_11target_archE1030ELNS1_3gpuE2ELNS1_3repE0EEENS1_30default_config_static_selectorELNS0_4arch9wavefront6targetE1EEEvSP_,"axG",@progbits,_ZN7rocprim17ROCPRIM_400000_NS6detail17trampoline_kernelINS0_14default_configENS1_21merge_config_selectorIxNS0_10empty_typeEEEZNS1_10merge_implIS3_N6thrust23THRUST_200600_302600_NS6detail15normal_iteratorINS9_10device_ptrIKxEEEESF_NSB_INSC_IxEEEEPS5_SI_SI_NS9_7greaterIxEEEE10hipError_tPvRmT0_T1_T2_T3_T4_T5_mmT6_P12ihipStream_tbEUlT_E_NS1_11comp_targetILNS1_3genE8ELNS1_11target_archE1030ELNS1_3gpuE2ELNS1_3repE0EEENS1_30default_config_static_selectorELNS0_4arch9wavefront6targetE1EEEvSP_,comdat
	.protected	_ZN7rocprim17ROCPRIM_400000_NS6detail17trampoline_kernelINS0_14default_configENS1_21merge_config_selectorIxNS0_10empty_typeEEEZNS1_10merge_implIS3_N6thrust23THRUST_200600_302600_NS6detail15normal_iteratorINS9_10device_ptrIKxEEEESF_NSB_INSC_IxEEEEPS5_SI_SI_NS9_7greaterIxEEEE10hipError_tPvRmT0_T1_T2_T3_T4_T5_mmT6_P12ihipStream_tbEUlT_E_NS1_11comp_targetILNS1_3genE8ELNS1_11target_archE1030ELNS1_3gpuE2ELNS1_3repE0EEENS1_30default_config_static_selectorELNS0_4arch9wavefront6targetE1EEEvSP_ ; -- Begin function _ZN7rocprim17ROCPRIM_400000_NS6detail17trampoline_kernelINS0_14default_configENS1_21merge_config_selectorIxNS0_10empty_typeEEEZNS1_10merge_implIS3_N6thrust23THRUST_200600_302600_NS6detail15normal_iteratorINS9_10device_ptrIKxEEEESF_NSB_INSC_IxEEEEPS5_SI_SI_NS9_7greaterIxEEEE10hipError_tPvRmT0_T1_T2_T3_T4_T5_mmT6_P12ihipStream_tbEUlT_E_NS1_11comp_targetILNS1_3genE8ELNS1_11target_archE1030ELNS1_3gpuE2ELNS1_3repE0EEENS1_30default_config_static_selectorELNS0_4arch9wavefront6targetE1EEEvSP_
	.globl	_ZN7rocprim17ROCPRIM_400000_NS6detail17trampoline_kernelINS0_14default_configENS1_21merge_config_selectorIxNS0_10empty_typeEEEZNS1_10merge_implIS3_N6thrust23THRUST_200600_302600_NS6detail15normal_iteratorINS9_10device_ptrIKxEEEESF_NSB_INSC_IxEEEEPS5_SI_SI_NS9_7greaterIxEEEE10hipError_tPvRmT0_T1_T2_T3_T4_T5_mmT6_P12ihipStream_tbEUlT_E_NS1_11comp_targetILNS1_3genE8ELNS1_11target_archE1030ELNS1_3gpuE2ELNS1_3repE0EEENS1_30default_config_static_selectorELNS0_4arch9wavefront6targetE1EEEvSP_
	.p2align	8
	.type	_ZN7rocprim17ROCPRIM_400000_NS6detail17trampoline_kernelINS0_14default_configENS1_21merge_config_selectorIxNS0_10empty_typeEEEZNS1_10merge_implIS3_N6thrust23THRUST_200600_302600_NS6detail15normal_iteratorINS9_10device_ptrIKxEEEESF_NSB_INSC_IxEEEEPS5_SI_SI_NS9_7greaterIxEEEE10hipError_tPvRmT0_T1_T2_T3_T4_T5_mmT6_P12ihipStream_tbEUlT_E_NS1_11comp_targetILNS1_3genE8ELNS1_11target_archE1030ELNS1_3gpuE2ELNS1_3repE0EEENS1_30default_config_static_selectorELNS0_4arch9wavefront6targetE1EEEvSP_,@function
_ZN7rocprim17ROCPRIM_400000_NS6detail17trampoline_kernelINS0_14default_configENS1_21merge_config_selectorIxNS0_10empty_typeEEEZNS1_10merge_implIS3_N6thrust23THRUST_200600_302600_NS6detail15normal_iteratorINS9_10device_ptrIKxEEEESF_NSB_INSC_IxEEEEPS5_SI_SI_NS9_7greaterIxEEEE10hipError_tPvRmT0_T1_T2_T3_T4_T5_mmT6_P12ihipStream_tbEUlT_E_NS1_11comp_targetILNS1_3genE8ELNS1_11target_archE1030ELNS1_3gpuE2ELNS1_3repE0EEENS1_30default_config_static_selectorELNS0_4arch9wavefront6targetE1EEEvSP_: ; @_ZN7rocprim17ROCPRIM_400000_NS6detail17trampoline_kernelINS0_14default_configENS1_21merge_config_selectorIxNS0_10empty_typeEEEZNS1_10merge_implIS3_N6thrust23THRUST_200600_302600_NS6detail15normal_iteratorINS9_10device_ptrIKxEEEESF_NSB_INSC_IxEEEEPS5_SI_SI_NS9_7greaterIxEEEE10hipError_tPvRmT0_T1_T2_T3_T4_T5_mmT6_P12ihipStream_tbEUlT_E_NS1_11comp_targetILNS1_3genE8ELNS1_11target_archE1030ELNS1_3gpuE2ELNS1_3repE0EEENS1_30default_config_static_selectorELNS0_4arch9wavefront6targetE1EEEvSP_
; %bb.0:
	.section	.rodata,"a",@progbits
	.p2align	6, 0x0
	.amdhsa_kernel _ZN7rocprim17ROCPRIM_400000_NS6detail17trampoline_kernelINS0_14default_configENS1_21merge_config_selectorIxNS0_10empty_typeEEEZNS1_10merge_implIS3_N6thrust23THRUST_200600_302600_NS6detail15normal_iteratorINS9_10device_ptrIKxEEEESF_NSB_INSC_IxEEEEPS5_SI_SI_NS9_7greaterIxEEEE10hipError_tPvRmT0_T1_T2_T3_T4_T5_mmT6_P12ihipStream_tbEUlT_E_NS1_11comp_targetILNS1_3genE8ELNS1_11target_archE1030ELNS1_3gpuE2ELNS1_3repE0EEENS1_30default_config_static_selectorELNS0_4arch9wavefront6targetE1EEEvSP_
		.amdhsa_group_segment_fixed_size 0
		.amdhsa_private_segment_fixed_size 0
		.amdhsa_kernarg_size 48
		.amdhsa_user_sgpr_count 6
		.amdhsa_user_sgpr_private_segment_buffer 1
		.amdhsa_user_sgpr_dispatch_ptr 0
		.amdhsa_user_sgpr_queue_ptr 0
		.amdhsa_user_sgpr_kernarg_segment_ptr 1
		.amdhsa_user_sgpr_dispatch_id 0
		.amdhsa_user_sgpr_flat_scratch_init 0
		.amdhsa_user_sgpr_kernarg_preload_length 0
		.amdhsa_user_sgpr_kernarg_preload_offset 0
		.amdhsa_user_sgpr_private_segment_size 0
		.amdhsa_uses_dynamic_stack 0
		.amdhsa_system_sgpr_private_segment_wavefront_offset 0
		.amdhsa_system_sgpr_workgroup_id_x 1
		.amdhsa_system_sgpr_workgroup_id_y 0
		.amdhsa_system_sgpr_workgroup_id_z 0
		.amdhsa_system_sgpr_workgroup_info 0
		.amdhsa_system_vgpr_workitem_id 0
		.amdhsa_next_free_vgpr 1
		.amdhsa_next_free_sgpr 0
		.amdhsa_accum_offset 4
		.amdhsa_reserve_vcc 0
		.amdhsa_reserve_flat_scratch 0
		.amdhsa_float_round_mode_32 0
		.amdhsa_float_round_mode_16_64 0
		.amdhsa_float_denorm_mode_32 3
		.amdhsa_float_denorm_mode_16_64 3
		.amdhsa_dx10_clamp 1
		.amdhsa_ieee_mode 1
		.amdhsa_fp16_overflow 0
		.amdhsa_tg_split 0
		.amdhsa_exception_fp_ieee_invalid_op 0
		.amdhsa_exception_fp_denorm_src 0
		.amdhsa_exception_fp_ieee_div_zero 0
		.amdhsa_exception_fp_ieee_overflow 0
		.amdhsa_exception_fp_ieee_underflow 0
		.amdhsa_exception_fp_ieee_inexact 0
		.amdhsa_exception_int_div_zero 0
	.end_amdhsa_kernel
	.section	.text._ZN7rocprim17ROCPRIM_400000_NS6detail17trampoline_kernelINS0_14default_configENS1_21merge_config_selectorIxNS0_10empty_typeEEEZNS1_10merge_implIS3_N6thrust23THRUST_200600_302600_NS6detail15normal_iteratorINS9_10device_ptrIKxEEEESF_NSB_INSC_IxEEEEPS5_SI_SI_NS9_7greaterIxEEEE10hipError_tPvRmT0_T1_T2_T3_T4_T5_mmT6_P12ihipStream_tbEUlT_E_NS1_11comp_targetILNS1_3genE8ELNS1_11target_archE1030ELNS1_3gpuE2ELNS1_3repE0EEENS1_30default_config_static_selectorELNS0_4arch9wavefront6targetE1EEEvSP_,"axG",@progbits,_ZN7rocprim17ROCPRIM_400000_NS6detail17trampoline_kernelINS0_14default_configENS1_21merge_config_selectorIxNS0_10empty_typeEEEZNS1_10merge_implIS3_N6thrust23THRUST_200600_302600_NS6detail15normal_iteratorINS9_10device_ptrIKxEEEESF_NSB_INSC_IxEEEEPS5_SI_SI_NS9_7greaterIxEEEE10hipError_tPvRmT0_T1_T2_T3_T4_T5_mmT6_P12ihipStream_tbEUlT_E_NS1_11comp_targetILNS1_3genE8ELNS1_11target_archE1030ELNS1_3gpuE2ELNS1_3repE0EEENS1_30default_config_static_selectorELNS0_4arch9wavefront6targetE1EEEvSP_,comdat
.Lfunc_end559:
	.size	_ZN7rocprim17ROCPRIM_400000_NS6detail17trampoline_kernelINS0_14default_configENS1_21merge_config_selectorIxNS0_10empty_typeEEEZNS1_10merge_implIS3_N6thrust23THRUST_200600_302600_NS6detail15normal_iteratorINS9_10device_ptrIKxEEEESF_NSB_INSC_IxEEEEPS5_SI_SI_NS9_7greaterIxEEEE10hipError_tPvRmT0_T1_T2_T3_T4_T5_mmT6_P12ihipStream_tbEUlT_E_NS1_11comp_targetILNS1_3genE8ELNS1_11target_archE1030ELNS1_3gpuE2ELNS1_3repE0EEENS1_30default_config_static_selectorELNS0_4arch9wavefront6targetE1EEEvSP_, .Lfunc_end559-_ZN7rocprim17ROCPRIM_400000_NS6detail17trampoline_kernelINS0_14default_configENS1_21merge_config_selectorIxNS0_10empty_typeEEEZNS1_10merge_implIS3_N6thrust23THRUST_200600_302600_NS6detail15normal_iteratorINS9_10device_ptrIKxEEEESF_NSB_INSC_IxEEEEPS5_SI_SI_NS9_7greaterIxEEEE10hipError_tPvRmT0_T1_T2_T3_T4_T5_mmT6_P12ihipStream_tbEUlT_E_NS1_11comp_targetILNS1_3genE8ELNS1_11target_archE1030ELNS1_3gpuE2ELNS1_3repE0EEENS1_30default_config_static_selectorELNS0_4arch9wavefront6targetE1EEEvSP_
                                        ; -- End function
	.section	.AMDGPU.csdata,"",@progbits
; Kernel info:
; codeLenInByte = 0
; NumSgprs: 4
; NumVgprs: 0
; NumAgprs: 0
; TotalNumVgprs: 0
; ScratchSize: 0
; MemoryBound: 0
; FloatMode: 240
; IeeeMode: 1
; LDSByteSize: 0 bytes/workgroup (compile time only)
; SGPRBlocks: 0
; VGPRBlocks: 0
; NumSGPRsForWavesPerEU: 4
; NumVGPRsForWavesPerEU: 1
; AccumOffset: 4
; Occupancy: 8
; WaveLimiterHint : 0
; COMPUTE_PGM_RSRC2:SCRATCH_EN: 0
; COMPUTE_PGM_RSRC2:USER_SGPR: 6
; COMPUTE_PGM_RSRC2:TRAP_HANDLER: 0
; COMPUTE_PGM_RSRC2:TGID_X_EN: 1
; COMPUTE_PGM_RSRC2:TGID_Y_EN: 0
; COMPUTE_PGM_RSRC2:TGID_Z_EN: 0
; COMPUTE_PGM_RSRC2:TIDIG_COMP_CNT: 0
; COMPUTE_PGM_RSRC3_GFX90A:ACCUM_OFFSET: 0
; COMPUTE_PGM_RSRC3_GFX90A:TG_SPLIT: 0
	.section	.text._ZN7rocprim17ROCPRIM_400000_NS6detail17trampoline_kernelINS0_14default_configENS1_21merge_config_selectorIxNS0_10empty_typeEEEZNS1_10merge_implIS3_N6thrust23THRUST_200600_302600_NS6detail15normal_iteratorINS9_10device_ptrIKxEEEESF_NSB_INSC_IxEEEEPS5_SI_SI_NS9_7greaterIxEEEE10hipError_tPvRmT0_T1_T2_T3_T4_T5_mmT6_P12ihipStream_tbEUlT_E0_NS1_11comp_targetILNS1_3genE0ELNS1_11target_archE4294967295ELNS1_3gpuE0ELNS1_3repE0EEENS1_30default_config_static_selectorELNS0_4arch9wavefront6targetE1EEEvSP_,"axG",@progbits,_ZN7rocprim17ROCPRIM_400000_NS6detail17trampoline_kernelINS0_14default_configENS1_21merge_config_selectorIxNS0_10empty_typeEEEZNS1_10merge_implIS3_N6thrust23THRUST_200600_302600_NS6detail15normal_iteratorINS9_10device_ptrIKxEEEESF_NSB_INSC_IxEEEEPS5_SI_SI_NS9_7greaterIxEEEE10hipError_tPvRmT0_T1_T2_T3_T4_T5_mmT6_P12ihipStream_tbEUlT_E0_NS1_11comp_targetILNS1_3genE0ELNS1_11target_archE4294967295ELNS1_3gpuE0ELNS1_3repE0EEENS1_30default_config_static_selectorELNS0_4arch9wavefront6targetE1EEEvSP_,comdat
	.protected	_ZN7rocprim17ROCPRIM_400000_NS6detail17trampoline_kernelINS0_14default_configENS1_21merge_config_selectorIxNS0_10empty_typeEEEZNS1_10merge_implIS3_N6thrust23THRUST_200600_302600_NS6detail15normal_iteratorINS9_10device_ptrIKxEEEESF_NSB_INSC_IxEEEEPS5_SI_SI_NS9_7greaterIxEEEE10hipError_tPvRmT0_T1_T2_T3_T4_T5_mmT6_P12ihipStream_tbEUlT_E0_NS1_11comp_targetILNS1_3genE0ELNS1_11target_archE4294967295ELNS1_3gpuE0ELNS1_3repE0EEENS1_30default_config_static_selectorELNS0_4arch9wavefront6targetE1EEEvSP_ ; -- Begin function _ZN7rocprim17ROCPRIM_400000_NS6detail17trampoline_kernelINS0_14default_configENS1_21merge_config_selectorIxNS0_10empty_typeEEEZNS1_10merge_implIS3_N6thrust23THRUST_200600_302600_NS6detail15normal_iteratorINS9_10device_ptrIKxEEEESF_NSB_INSC_IxEEEEPS5_SI_SI_NS9_7greaterIxEEEE10hipError_tPvRmT0_T1_T2_T3_T4_T5_mmT6_P12ihipStream_tbEUlT_E0_NS1_11comp_targetILNS1_3genE0ELNS1_11target_archE4294967295ELNS1_3gpuE0ELNS1_3repE0EEENS1_30default_config_static_selectorELNS0_4arch9wavefront6targetE1EEEvSP_
	.globl	_ZN7rocprim17ROCPRIM_400000_NS6detail17trampoline_kernelINS0_14default_configENS1_21merge_config_selectorIxNS0_10empty_typeEEEZNS1_10merge_implIS3_N6thrust23THRUST_200600_302600_NS6detail15normal_iteratorINS9_10device_ptrIKxEEEESF_NSB_INSC_IxEEEEPS5_SI_SI_NS9_7greaterIxEEEE10hipError_tPvRmT0_T1_T2_T3_T4_T5_mmT6_P12ihipStream_tbEUlT_E0_NS1_11comp_targetILNS1_3genE0ELNS1_11target_archE4294967295ELNS1_3gpuE0ELNS1_3repE0EEENS1_30default_config_static_selectorELNS0_4arch9wavefront6targetE1EEEvSP_
	.p2align	8
	.type	_ZN7rocprim17ROCPRIM_400000_NS6detail17trampoline_kernelINS0_14default_configENS1_21merge_config_selectorIxNS0_10empty_typeEEEZNS1_10merge_implIS3_N6thrust23THRUST_200600_302600_NS6detail15normal_iteratorINS9_10device_ptrIKxEEEESF_NSB_INSC_IxEEEEPS5_SI_SI_NS9_7greaterIxEEEE10hipError_tPvRmT0_T1_T2_T3_T4_T5_mmT6_P12ihipStream_tbEUlT_E0_NS1_11comp_targetILNS1_3genE0ELNS1_11target_archE4294967295ELNS1_3gpuE0ELNS1_3repE0EEENS1_30default_config_static_selectorELNS0_4arch9wavefront6targetE1EEEvSP_,@function
_ZN7rocprim17ROCPRIM_400000_NS6detail17trampoline_kernelINS0_14default_configENS1_21merge_config_selectorIxNS0_10empty_typeEEEZNS1_10merge_implIS3_N6thrust23THRUST_200600_302600_NS6detail15normal_iteratorINS9_10device_ptrIKxEEEESF_NSB_INSC_IxEEEEPS5_SI_SI_NS9_7greaterIxEEEE10hipError_tPvRmT0_T1_T2_T3_T4_T5_mmT6_P12ihipStream_tbEUlT_E0_NS1_11comp_targetILNS1_3genE0ELNS1_11target_archE4294967295ELNS1_3gpuE0ELNS1_3repE0EEENS1_30default_config_static_selectorELNS0_4arch9wavefront6targetE1EEEvSP_: ; @_ZN7rocprim17ROCPRIM_400000_NS6detail17trampoline_kernelINS0_14default_configENS1_21merge_config_selectorIxNS0_10empty_typeEEEZNS1_10merge_implIS3_N6thrust23THRUST_200600_302600_NS6detail15normal_iteratorINS9_10device_ptrIKxEEEESF_NSB_INSC_IxEEEEPS5_SI_SI_NS9_7greaterIxEEEE10hipError_tPvRmT0_T1_T2_T3_T4_T5_mmT6_P12ihipStream_tbEUlT_E0_NS1_11comp_targetILNS1_3genE0ELNS1_11target_archE4294967295ELNS1_3gpuE0ELNS1_3repE0EEENS1_30default_config_static_selectorELNS0_4arch9wavefront6targetE1EEEvSP_
; %bb.0:
	.section	.rodata,"a",@progbits
	.p2align	6, 0x0
	.amdhsa_kernel _ZN7rocprim17ROCPRIM_400000_NS6detail17trampoline_kernelINS0_14default_configENS1_21merge_config_selectorIxNS0_10empty_typeEEEZNS1_10merge_implIS3_N6thrust23THRUST_200600_302600_NS6detail15normal_iteratorINS9_10device_ptrIKxEEEESF_NSB_INSC_IxEEEEPS5_SI_SI_NS9_7greaterIxEEEE10hipError_tPvRmT0_T1_T2_T3_T4_T5_mmT6_P12ihipStream_tbEUlT_E0_NS1_11comp_targetILNS1_3genE0ELNS1_11target_archE4294967295ELNS1_3gpuE0ELNS1_3repE0EEENS1_30default_config_static_selectorELNS0_4arch9wavefront6targetE1EEEvSP_
		.amdhsa_group_segment_fixed_size 0
		.amdhsa_private_segment_fixed_size 0
		.amdhsa_kernarg_size 88
		.amdhsa_user_sgpr_count 6
		.amdhsa_user_sgpr_private_segment_buffer 1
		.amdhsa_user_sgpr_dispatch_ptr 0
		.amdhsa_user_sgpr_queue_ptr 0
		.amdhsa_user_sgpr_kernarg_segment_ptr 1
		.amdhsa_user_sgpr_dispatch_id 0
		.amdhsa_user_sgpr_flat_scratch_init 0
		.amdhsa_user_sgpr_kernarg_preload_length 0
		.amdhsa_user_sgpr_kernarg_preload_offset 0
		.amdhsa_user_sgpr_private_segment_size 0
		.amdhsa_uses_dynamic_stack 0
		.amdhsa_system_sgpr_private_segment_wavefront_offset 0
		.amdhsa_system_sgpr_workgroup_id_x 1
		.amdhsa_system_sgpr_workgroup_id_y 0
		.amdhsa_system_sgpr_workgroup_id_z 0
		.amdhsa_system_sgpr_workgroup_info 0
		.amdhsa_system_vgpr_workitem_id 0
		.amdhsa_next_free_vgpr 1
		.amdhsa_next_free_sgpr 0
		.amdhsa_accum_offset 4
		.amdhsa_reserve_vcc 0
		.amdhsa_reserve_flat_scratch 0
		.amdhsa_float_round_mode_32 0
		.amdhsa_float_round_mode_16_64 0
		.amdhsa_float_denorm_mode_32 3
		.amdhsa_float_denorm_mode_16_64 3
		.amdhsa_dx10_clamp 1
		.amdhsa_ieee_mode 1
		.amdhsa_fp16_overflow 0
		.amdhsa_tg_split 0
		.amdhsa_exception_fp_ieee_invalid_op 0
		.amdhsa_exception_fp_denorm_src 0
		.amdhsa_exception_fp_ieee_div_zero 0
		.amdhsa_exception_fp_ieee_overflow 0
		.amdhsa_exception_fp_ieee_underflow 0
		.amdhsa_exception_fp_ieee_inexact 0
		.amdhsa_exception_int_div_zero 0
	.end_amdhsa_kernel
	.section	.text._ZN7rocprim17ROCPRIM_400000_NS6detail17trampoline_kernelINS0_14default_configENS1_21merge_config_selectorIxNS0_10empty_typeEEEZNS1_10merge_implIS3_N6thrust23THRUST_200600_302600_NS6detail15normal_iteratorINS9_10device_ptrIKxEEEESF_NSB_INSC_IxEEEEPS5_SI_SI_NS9_7greaterIxEEEE10hipError_tPvRmT0_T1_T2_T3_T4_T5_mmT6_P12ihipStream_tbEUlT_E0_NS1_11comp_targetILNS1_3genE0ELNS1_11target_archE4294967295ELNS1_3gpuE0ELNS1_3repE0EEENS1_30default_config_static_selectorELNS0_4arch9wavefront6targetE1EEEvSP_,"axG",@progbits,_ZN7rocprim17ROCPRIM_400000_NS6detail17trampoline_kernelINS0_14default_configENS1_21merge_config_selectorIxNS0_10empty_typeEEEZNS1_10merge_implIS3_N6thrust23THRUST_200600_302600_NS6detail15normal_iteratorINS9_10device_ptrIKxEEEESF_NSB_INSC_IxEEEEPS5_SI_SI_NS9_7greaterIxEEEE10hipError_tPvRmT0_T1_T2_T3_T4_T5_mmT6_P12ihipStream_tbEUlT_E0_NS1_11comp_targetILNS1_3genE0ELNS1_11target_archE4294967295ELNS1_3gpuE0ELNS1_3repE0EEENS1_30default_config_static_selectorELNS0_4arch9wavefront6targetE1EEEvSP_,comdat
.Lfunc_end560:
	.size	_ZN7rocprim17ROCPRIM_400000_NS6detail17trampoline_kernelINS0_14default_configENS1_21merge_config_selectorIxNS0_10empty_typeEEEZNS1_10merge_implIS3_N6thrust23THRUST_200600_302600_NS6detail15normal_iteratorINS9_10device_ptrIKxEEEESF_NSB_INSC_IxEEEEPS5_SI_SI_NS9_7greaterIxEEEE10hipError_tPvRmT0_T1_T2_T3_T4_T5_mmT6_P12ihipStream_tbEUlT_E0_NS1_11comp_targetILNS1_3genE0ELNS1_11target_archE4294967295ELNS1_3gpuE0ELNS1_3repE0EEENS1_30default_config_static_selectorELNS0_4arch9wavefront6targetE1EEEvSP_, .Lfunc_end560-_ZN7rocprim17ROCPRIM_400000_NS6detail17trampoline_kernelINS0_14default_configENS1_21merge_config_selectorIxNS0_10empty_typeEEEZNS1_10merge_implIS3_N6thrust23THRUST_200600_302600_NS6detail15normal_iteratorINS9_10device_ptrIKxEEEESF_NSB_INSC_IxEEEEPS5_SI_SI_NS9_7greaterIxEEEE10hipError_tPvRmT0_T1_T2_T3_T4_T5_mmT6_P12ihipStream_tbEUlT_E0_NS1_11comp_targetILNS1_3genE0ELNS1_11target_archE4294967295ELNS1_3gpuE0ELNS1_3repE0EEENS1_30default_config_static_selectorELNS0_4arch9wavefront6targetE1EEEvSP_
                                        ; -- End function
	.section	.AMDGPU.csdata,"",@progbits
; Kernel info:
; codeLenInByte = 0
; NumSgprs: 4
; NumVgprs: 0
; NumAgprs: 0
; TotalNumVgprs: 0
; ScratchSize: 0
; MemoryBound: 0
; FloatMode: 240
; IeeeMode: 1
; LDSByteSize: 0 bytes/workgroup (compile time only)
; SGPRBlocks: 0
; VGPRBlocks: 0
; NumSGPRsForWavesPerEU: 4
; NumVGPRsForWavesPerEU: 1
; AccumOffset: 4
; Occupancy: 8
; WaveLimiterHint : 0
; COMPUTE_PGM_RSRC2:SCRATCH_EN: 0
; COMPUTE_PGM_RSRC2:USER_SGPR: 6
; COMPUTE_PGM_RSRC2:TRAP_HANDLER: 0
; COMPUTE_PGM_RSRC2:TGID_X_EN: 1
; COMPUTE_PGM_RSRC2:TGID_Y_EN: 0
; COMPUTE_PGM_RSRC2:TGID_Z_EN: 0
; COMPUTE_PGM_RSRC2:TIDIG_COMP_CNT: 0
; COMPUTE_PGM_RSRC3_GFX90A:ACCUM_OFFSET: 0
; COMPUTE_PGM_RSRC3_GFX90A:TG_SPLIT: 0
	.section	.text._ZN7rocprim17ROCPRIM_400000_NS6detail17trampoline_kernelINS0_14default_configENS1_21merge_config_selectorIxNS0_10empty_typeEEEZNS1_10merge_implIS3_N6thrust23THRUST_200600_302600_NS6detail15normal_iteratorINS9_10device_ptrIKxEEEESF_NSB_INSC_IxEEEEPS5_SI_SI_NS9_7greaterIxEEEE10hipError_tPvRmT0_T1_T2_T3_T4_T5_mmT6_P12ihipStream_tbEUlT_E0_NS1_11comp_targetILNS1_3genE5ELNS1_11target_archE942ELNS1_3gpuE9ELNS1_3repE0EEENS1_30default_config_static_selectorELNS0_4arch9wavefront6targetE1EEEvSP_,"axG",@progbits,_ZN7rocprim17ROCPRIM_400000_NS6detail17trampoline_kernelINS0_14default_configENS1_21merge_config_selectorIxNS0_10empty_typeEEEZNS1_10merge_implIS3_N6thrust23THRUST_200600_302600_NS6detail15normal_iteratorINS9_10device_ptrIKxEEEESF_NSB_INSC_IxEEEEPS5_SI_SI_NS9_7greaterIxEEEE10hipError_tPvRmT0_T1_T2_T3_T4_T5_mmT6_P12ihipStream_tbEUlT_E0_NS1_11comp_targetILNS1_3genE5ELNS1_11target_archE942ELNS1_3gpuE9ELNS1_3repE0EEENS1_30default_config_static_selectorELNS0_4arch9wavefront6targetE1EEEvSP_,comdat
	.protected	_ZN7rocprim17ROCPRIM_400000_NS6detail17trampoline_kernelINS0_14default_configENS1_21merge_config_selectorIxNS0_10empty_typeEEEZNS1_10merge_implIS3_N6thrust23THRUST_200600_302600_NS6detail15normal_iteratorINS9_10device_ptrIKxEEEESF_NSB_INSC_IxEEEEPS5_SI_SI_NS9_7greaterIxEEEE10hipError_tPvRmT0_T1_T2_T3_T4_T5_mmT6_P12ihipStream_tbEUlT_E0_NS1_11comp_targetILNS1_3genE5ELNS1_11target_archE942ELNS1_3gpuE9ELNS1_3repE0EEENS1_30default_config_static_selectorELNS0_4arch9wavefront6targetE1EEEvSP_ ; -- Begin function _ZN7rocprim17ROCPRIM_400000_NS6detail17trampoline_kernelINS0_14default_configENS1_21merge_config_selectorIxNS0_10empty_typeEEEZNS1_10merge_implIS3_N6thrust23THRUST_200600_302600_NS6detail15normal_iteratorINS9_10device_ptrIKxEEEESF_NSB_INSC_IxEEEEPS5_SI_SI_NS9_7greaterIxEEEE10hipError_tPvRmT0_T1_T2_T3_T4_T5_mmT6_P12ihipStream_tbEUlT_E0_NS1_11comp_targetILNS1_3genE5ELNS1_11target_archE942ELNS1_3gpuE9ELNS1_3repE0EEENS1_30default_config_static_selectorELNS0_4arch9wavefront6targetE1EEEvSP_
	.globl	_ZN7rocprim17ROCPRIM_400000_NS6detail17trampoline_kernelINS0_14default_configENS1_21merge_config_selectorIxNS0_10empty_typeEEEZNS1_10merge_implIS3_N6thrust23THRUST_200600_302600_NS6detail15normal_iteratorINS9_10device_ptrIKxEEEESF_NSB_INSC_IxEEEEPS5_SI_SI_NS9_7greaterIxEEEE10hipError_tPvRmT0_T1_T2_T3_T4_T5_mmT6_P12ihipStream_tbEUlT_E0_NS1_11comp_targetILNS1_3genE5ELNS1_11target_archE942ELNS1_3gpuE9ELNS1_3repE0EEENS1_30default_config_static_selectorELNS0_4arch9wavefront6targetE1EEEvSP_
	.p2align	8
	.type	_ZN7rocprim17ROCPRIM_400000_NS6detail17trampoline_kernelINS0_14default_configENS1_21merge_config_selectorIxNS0_10empty_typeEEEZNS1_10merge_implIS3_N6thrust23THRUST_200600_302600_NS6detail15normal_iteratorINS9_10device_ptrIKxEEEESF_NSB_INSC_IxEEEEPS5_SI_SI_NS9_7greaterIxEEEE10hipError_tPvRmT0_T1_T2_T3_T4_T5_mmT6_P12ihipStream_tbEUlT_E0_NS1_11comp_targetILNS1_3genE5ELNS1_11target_archE942ELNS1_3gpuE9ELNS1_3repE0EEENS1_30default_config_static_selectorELNS0_4arch9wavefront6targetE1EEEvSP_,@function
_ZN7rocprim17ROCPRIM_400000_NS6detail17trampoline_kernelINS0_14default_configENS1_21merge_config_selectorIxNS0_10empty_typeEEEZNS1_10merge_implIS3_N6thrust23THRUST_200600_302600_NS6detail15normal_iteratorINS9_10device_ptrIKxEEEESF_NSB_INSC_IxEEEEPS5_SI_SI_NS9_7greaterIxEEEE10hipError_tPvRmT0_T1_T2_T3_T4_T5_mmT6_P12ihipStream_tbEUlT_E0_NS1_11comp_targetILNS1_3genE5ELNS1_11target_archE942ELNS1_3gpuE9ELNS1_3repE0EEENS1_30default_config_static_selectorELNS0_4arch9wavefront6targetE1EEEvSP_: ; @_ZN7rocprim17ROCPRIM_400000_NS6detail17trampoline_kernelINS0_14default_configENS1_21merge_config_selectorIxNS0_10empty_typeEEEZNS1_10merge_implIS3_N6thrust23THRUST_200600_302600_NS6detail15normal_iteratorINS9_10device_ptrIKxEEEESF_NSB_INSC_IxEEEEPS5_SI_SI_NS9_7greaterIxEEEE10hipError_tPvRmT0_T1_T2_T3_T4_T5_mmT6_P12ihipStream_tbEUlT_E0_NS1_11comp_targetILNS1_3genE5ELNS1_11target_archE942ELNS1_3gpuE9ELNS1_3repE0EEENS1_30default_config_static_selectorELNS0_4arch9wavefront6targetE1EEEvSP_
; %bb.0:
	.section	.rodata,"a",@progbits
	.p2align	6, 0x0
	.amdhsa_kernel _ZN7rocprim17ROCPRIM_400000_NS6detail17trampoline_kernelINS0_14default_configENS1_21merge_config_selectorIxNS0_10empty_typeEEEZNS1_10merge_implIS3_N6thrust23THRUST_200600_302600_NS6detail15normal_iteratorINS9_10device_ptrIKxEEEESF_NSB_INSC_IxEEEEPS5_SI_SI_NS9_7greaterIxEEEE10hipError_tPvRmT0_T1_T2_T3_T4_T5_mmT6_P12ihipStream_tbEUlT_E0_NS1_11comp_targetILNS1_3genE5ELNS1_11target_archE942ELNS1_3gpuE9ELNS1_3repE0EEENS1_30default_config_static_selectorELNS0_4arch9wavefront6targetE1EEEvSP_
		.amdhsa_group_segment_fixed_size 0
		.amdhsa_private_segment_fixed_size 0
		.amdhsa_kernarg_size 88
		.amdhsa_user_sgpr_count 6
		.amdhsa_user_sgpr_private_segment_buffer 1
		.amdhsa_user_sgpr_dispatch_ptr 0
		.amdhsa_user_sgpr_queue_ptr 0
		.amdhsa_user_sgpr_kernarg_segment_ptr 1
		.amdhsa_user_sgpr_dispatch_id 0
		.amdhsa_user_sgpr_flat_scratch_init 0
		.amdhsa_user_sgpr_kernarg_preload_length 0
		.amdhsa_user_sgpr_kernarg_preload_offset 0
		.amdhsa_user_sgpr_private_segment_size 0
		.amdhsa_uses_dynamic_stack 0
		.amdhsa_system_sgpr_private_segment_wavefront_offset 0
		.amdhsa_system_sgpr_workgroup_id_x 1
		.amdhsa_system_sgpr_workgroup_id_y 0
		.amdhsa_system_sgpr_workgroup_id_z 0
		.amdhsa_system_sgpr_workgroup_info 0
		.amdhsa_system_vgpr_workitem_id 0
		.amdhsa_next_free_vgpr 1
		.amdhsa_next_free_sgpr 0
		.amdhsa_accum_offset 4
		.amdhsa_reserve_vcc 0
		.amdhsa_reserve_flat_scratch 0
		.amdhsa_float_round_mode_32 0
		.amdhsa_float_round_mode_16_64 0
		.amdhsa_float_denorm_mode_32 3
		.amdhsa_float_denorm_mode_16_64 3
		.amdhsa_dx10_clamp 1
		.amdhsa_ieee_mode 1
		.amdhsa_fp16_overflow 0
		.amdhsa_tg_split 0
		.amdhsa_exception_fp_ieee_invalid_op 0
		.amdhsa_exception_fp_denorm_src 0
		.amdhsa_exception_fp_ieee_div_zero 0
		.amdhsa_exception_fp_ieee_overflow 0
		.amdhsa_exception_fp_ieee_underflow 0
		.amdhsa_exception_fp_ieee_inexact 0
		.amdhsa_exception_int_div_zero 0
	.end_amdhsa_kernel
	.section	.text._ZN7rocprim17ROCPRIM_400000_NS6detail17trampoline_kernelINS0_14default_configENS1_21merge_config_selectorIxNS0_10empty_typeEEEZNS1_10merge_implIS3_N6thrust23THRUST_200600_302600_NS6detail15normal_iteratorINS9_10device_ptrIKxEEEESF_NSB_INSC_IxEEEEPS5_SI_SI_NS9_7greaterIxEEEE10hipError_tPvRmT0_T1_T2_T3_T4_T5_mmT6_P12ihipStream_tbEUlT_E0_NS1_11comp_targetILNS1_3genE5ELNS1_11target_archE942ELNS1_3gpuE9ELNS1_3repE0EEENS1_30default_config_static_selectorELNS0_4arch9wavefront6targetE1EEEvSP_,"axG",@progbits,_ZN7rocprim17ROCPRIM_400000_NS6detail17trampoline_kernelINS0_14default_configENS1_21merge_config_selectorIxNS0_10empty_typeEEEZNS1_10merge_implIS3_N6thrust23THRUST_200600_302600_NS6detail15normal_iteratorINS9_10device_ptrIKxEEEESF_NSB_INSC_IxEEEEPS5_SI_SI_NS9_7greaterIxEEEE10hipError_tPvRmT0_T1_T2_T3_T4_T5_mmT6_P12ihipStream_tbEUlT_E0_NS1_11comp_targetILNS1_3genE5ELNS1_11target_archE942ELNS1_3gpuE9ELNS1_3repE0EEENS1_30default_config_static_selectorELNS0_4arch9wavefront6targetE1EEEvSP_,comdat
.Lfunc_end561:
	.size	_ZN7rocprim17ROCPRIM_400000_NS6detail17trampoline_kernelINS0_14default_configENS1_21merge_config_selectorIxNS0_10empty_typeEEEZNS1_10merge_implIS3_N6thrust23THRUST_200600_302600_NS6detail15normal_iteratorINS9_10device_ptrIKxEEEESF_NSB_INSC_IxEEEEPS5_SI_SI_NS9_7greaterIxEEEE10hipError_tPvRmT0_T1_T2_T3_T4_T5_mmT6_P12ihipStream_tbEUlT_E0_NS1_11comp_targetILNS1_3genE5ELNS1_11target_archE942ELNS1_3gpuE9ELNS1_3repE0EEENS1_30default_config_static_selectorELNS0_4arch9wavefront6targetE1EEEvSP_, .Lfunc_end561-_ZN7rocprim17ROCPRIM_400000_NS6detail17trampoline_kernelINS0_14default_configENS1_21merge_config_selectorIxNS0_10empty_typeEEEZNS1_10merge_implIS3_N6thrust23THRUST_200600_302600_NS6detail15normal_iteratorINS9_10device_ptrIKxEEEESF_NSB_INSC_IxEEEEPS5_SI_SI_NS9_7greaterIxEEEE10hipError_tPvRmT0_T1_T2_T3_T4_T5_mmT6_P12ihipStream_tbEUlT_E0_NS1_11comp_targetILNS1_3genE5ELNS1_11target_archE942ELNS1_3gpuE9ELNS1_3repE0EEENS1_30default_config_static_selectorELNS0_4arch9wavefront6targetE1EEEvSP_
                                        ; -- End function
	.section	.AMDGPU.csdata,"",@progbits
; Kernel info:
; codeLenInByte = 0
; NumSgprs: 4
; NumVgprs: 0
; NumAgprs: 0
; TotalNumVgprs: 0
; ScratchSize: 0
; MemoryBound: 0
; FloatMode: 240
; IeeeMode: 1
; LDSByteSize: 0 bytes/workgroup (compile time only)
; SGPRBlocks: 0
; VGPRBlocks: 0
; NumSGPRsForWavesPerEU: 4
; NumVGPRsForWavesPerEU: 1
; AccumOffset: 4
; Occupancy: 8
; WaveLimiterHint : 0
; COMPUTE_PGM_RSRC2:SCRATCH_EN: 0
; COMPUTE_PGM_RSRC2:USER_SGPR: 6
; COMPUTE_PGM_RSRC2:TRAP_HANDLER: 0
; COMPUTE_PGM_RSRC2:TGID_X_EN: 1
; COMPUTE_PGM_RSRC2:TGID_Y_EN: 0
; COMPUTE_PGM_RSRC2:TGID_Z_EN: 0
; COMPUTE_PGM_RSRC2:TIDIG_COMP_CNT: 0
; COMPUTE_PGM_RSRC3_GFX90A:ACCUM_OFFSET: 0
; COMPUTE_PGM_RSRC3_GFX90A:TG_SPLIT: 0
	.section	.text._ZN7rocprim17ROCPRIM_400000_NS6detail17trampoline_kernelINS0_14default_configENS1_21merge_config_selectorIxNS0_10empty_typeEEEZNS1_10merge_implIS3_N6thrust23THRUST_200600_302600_NS6detail15normal_iteratorINS9_10device_ptrIKxEEEESF_NSB_INSC_IxEEEEPS5_SI_SI_NS9_7greaterIxEEEE10hipError_tPvRmT0_T1_T2_T3_T4_T5_mmT6_P12ihipStream_tbEUlT_E0_NS1_11comp_targetILNS1_3genE4ELNS1_11target_archE910ELNS1_3gpuE8ELNS1_3repE0EEENS1_30default_config_static_selectorELNS0_4arch9wavefront6targetE1EEEvSP_,"axG",@progbits,_ZN7rocprim17ROCPRIM_400000_NS6detail17trampoline_kernelINS0_14default_configENS1_21merge_config_selectorIxNS0_10empty_typeEEEZNS1_10merge_implIS3_N6thrust23THRUST_200600_302600_NS6detail15normal_iteratorINS9_10device_ptrIKxEEEESF_NSB_INSC_IxEEEEPS5_SI_SI_NS9_7greaterIxEEEE10hipError_tPvRmT0_T1_T2_T3_T4_T5_mmT6_P12ihipStream_tbEUlT_E0_NS1_11comp_targetILNS1_3genE4ELNS1_11target_archE910ELNS1_3gpuE8ELNS1_3repE0EEENS1_30default_config_static_selectorELNS0_4arch9wavefront6targetE1EEEvSP_,comdat
	.protected	_ZN7rocprim17ROCPRIM_400000_NS6detail17trampoline_kernelINS0_14default_configENS1_21merge_config_selectorIxNS0_10empty_typeEEEZNS1_10merge_implIS3_N6thrust23THRUST_200600_302600_NS6detail15normal_iteratorINS9_10device_ptrIKxEEEESF_NSB_INSC_IxEEEEPS5_SI_SI_NS9_7greaterIxEEEE10hipError_tPvRmT0_T1_T2_T3_T4_T5_mmT6_P12ihipStream_tbEUlT_E0_NS1_11comp_targetILNS1_3genE4ELNS1_11target_archE910ELNS1_3gpuE8ELNS1_3repE0EEENS1_30default_config_static_selectorELNS0_4arch9wavefront6targetE1EEEvSP_ ; -- Begin function _ZN7rocprim17ROCPRIM_400000_NS6detail17trampoline_kernelINS0_14default_configENS1_21merge_config_selectorIxNS0_10empty_typeEEEZNS1_10merge_implIS3_N6thrust23THRUST_200600_302600_NS6detail15normal_iteratorINS9_10device_ptrIKxEEEESF_NSB_INSC_IxEEEEPS5_SI_SI_NS9_7greaterIxEEEE10hipError_tPvRmT0_T1_T2_T3_T4_T5_mmT6_P12ihipStream_tbEUlT_E0_NS1_11comp_targetILNS1_3genE4ELNS1_11target_archE910ELNS1_3gpuE8ELNS1_3repE0EEENS1_30default_config_static_selectorELNS0_4arch9wavefront6targetE1EEEvSP_
	.globl	_ZN7rocprim17ROCPRIM_400000_NS6detail17trampoline_kernelINS0_14default_configENS1_21merge_config_selectorIxNS0_10empty_typeEEEZNS1_10merge_implIS3_N6thrust23THRUST_200600_302600_NS6detail15normal_iteratorINS9_10device_ptrIKxEEEESF_NSB_INSC_IxEEEEPS5_SI_SI_NS9_7greaterIxEEEE10hipError_tPvRmT0_T1_T2_T3_T4_T5_mmT6_P12ihipStream_tbEUlT_E0_NS1_11comp_targetILNS1_3genE4ELNS1_11target_archE910ELNS1_3gpuE8ELNS1_3repE0EEENS1_30default_config_static_selectorELNS0_4arch9wavefront6targetE1EEEvSP_
	.p2align	8
	.type	_ZN7rocprim17ROCPRIM_400000_NS6detail17trampoline_kernelINS0_14default_configENS1_21merge_config_selectorIxNS0_10empty_typeEEEZNS1_10merge_implIS3_N6thrust23THRUST_200600_302600_NS6detail15normal_iteratorINS9_10device_ptrIKxEEEESF_NSB_INSC_IxEEEEPS5_SI_SI_NS9_7greaterIxEEEE10hipError_tPvRmT0_T1_T2_T3_T4_T5_mmT6_P12ihipStream_tbEUlT_E0_NS1_11comp_targetILNS1_3genE4ELNS1_11target_archE910ELNS1_3gpuE8ELNS1_3repE0EEENS1_30default_config_static_selectorELNS0_4arch9wavefront6targetE1EEEvSP_,@function
_ZN7rocprim17ROCPRIM_400000_NS6detail17trampoline_kernelINS0_14default_configENS1_21merge_config_selectorIxNS0_10empty_typeEEEZNS1_10merge_implIS3_N6thrust23THRUST_200600_302600_NS6detail15normal_iteratorINS9_10device_ptrIKxEEEESF_NSB_INSC_IxEEEEPS5_SI_SI_NS9_7greaterIxEEEE10hipError_tPvRmT0_T1_T2_T3_T4_T5_mmT6_P12ihipStream_tbEUlT_E0_NS1_11comp_targetILNS1_3genE4ELNS1_11target_archE910ELNS1_3gpuE8ELNS1_3repE0EEENS1_30default_config_static_selectorELNS0_4arch9wavefront6targetE1EEEvSP_: ; @_ZN7rocprim17ROCPRIM_400000_NS6detail17trampoline_kernelINS0_14default_configENS1_21merge_config_selectorIxNS0_10empty_typeEEEZNS1_10merge_implIS3_N6thrust23THRUST_200600_302600_NS6detail15normal_iteratorINS9_10device_ptrIKxEEEESF_NSB_INSC_IxEEEEPS5_SI_SI_NS9_7greaterIxEEEE10hipError_tPvRmT0_T1_T2_T3_T4_T5_mmT6_P12ihipStream_tbEUlT_E0_NS1_11comp_targetILNS1_3genE4ELNS1_11target_archE910ELNS1_3gpuE8ELNS1_3repE0EEENS1_30default_config_static_selectorELNS0_4arch9wavefront6targetE1EEEvSP_
; %bb.0:
	s_load_dwordx4 s[0:3], s[4:5], 0x40
	s_load_dwordx8 s[8:15], s[4:5], 0x8
	s_lshl_b32 s16, s6, 10
	s_mov_b32 s7, 0
	s_waitcnt lgkmcnt(0)
	s_mov_b32 s3, s7
	s_add_i32 s17, s2, s0
	s_add_i32 s0, s17, 0x3ff
	s_lshr_b32 s0, s0, 10
	s_min_u32 s1, s6, s0
	s_lshl_b32 s1, s1, 2
	s_add_i32 s6, s6, 1
	s_min_u32 s0, s6, s0
	s_load_dword s6, s[8:9], s1 offset:0x0
	s_lshl_b32 s0, s0, 2
	s_load_dword s8, s[8:9], s0 offset:0x0
	s_add_i32 s0, s16, 0x400
	s_min_u32 s9, s17, s0
	s_waitcnt lgkmcnt(0)
	s_sub_i32 s2, s16, s6
	s_lshl_b64 s[0:1], s[6:7], 3
	s_add_u32 s0, s10, s0
	s_addc_u32 s1, s11, s1
	s_lshl_b64 s[4:5], s[2:3], 3
	s_add_u32 s11, s12, s4
	s_addc_u32 s12, s13, s5
	s_add_i32 s2, s2, s8
	s_sub_i32 s6, s8, s6
	s_sub_i32 s10, s9, s2
	s_add_u32 s2, s10, s6
	s_addc_u32 s3, 0, 0
	v_mov_b32_e32 v1, 0
	v_cmp_le_u32_e32 vcc, s6, v0
	s_and_saveexec_b64 s[4:5], vcc
	s_xor_b64 s[4:5], exec, s[4:5]
	s_cbranch_execz .LBB562_4
; %bb.1:
	v_cmp_gt_u64_e32 vcc, s[2:3], v[0:1]
	s_and_saveexec_b64 s[8:9], vcc
	s_cbranch_execz .LBB562_3
; %bb.2:
	v_mov_b32_e32 v1, s7
	v_subrev_co_u32_e32 v2, vcc, s6, v0
	v_subb_co_u32_e32 v3, vcc, 0, v1, vcc
	v_lshlrev_b64 v[2:3], 3, v[2:3]
	v_mov_b32_e32 v1, s12
	v_add_co_u32_e32 v2, vcc, s11, v2
	v_addc_co_u32_e32 v3, vcc, v1, v3, vcc
	global_load_dwordx2 v[2:3], v[2:3], off
	v_lshlrev_b32_e32 v1, 3, v0
	s_waitcnt vmcnt(0)
	ds_write_b64 v1, v[2:3]
.LBB562_3:
	s_or_b64 exec, exec, s[8:9]
.LBB562_4:
	s_or_saveexec_b64 s[4:5], s[4:5]
	v_lshlrev_b32_e32 v1, 3, v0
	s_xor_b64 exec, exec, s[4:5]
	s_cbranch_execz .LBB562_6
; %bb.5:
	global_load_dwordx2 v[2:3], v1, s[0:1]
	s_waitcnt vmcnt(0)
	ds_write_b64 v1, v[2:3]
.LBB562_6:
	s_or_b64 exec, exec, s[4:5]
	v_or_b32_e32 v10, 0x100, v0
	v_mov_b32_e32 v11, 0
	v_cmp_le_u32_e32 vcc, s6, v10
	s_and_saveexec_b64 s[4:5], vcc
	s_xor_b64 s[4:5], exec, s[4:5]
	s_cbranch_execz .LBB562_10
; %bb.7:
	v_cmp_gt_u64_e32 vcc, s[2:3], v[10:11]
	s_and_saveexec_b64 s[8:9], vcc
	s_cbranch_execz .LBB562_9
; %bb.8:
	v_mov_b32_e32 v3, s7
	v_subrev_co_u32_e32 v2, vcc, s6, v0
	v_subb_co_u32_e32 v3, vcc, 0, v3, vcc
	v_lshlrev_b64 v[2:3], 3, v[2:3]
	v_mov_b32_e32 v4, s12
	v_add_co_u32_e32 v2, vcc, s11, v2
	v_addc_co_u32_e32 v3, vcc, v4, v3, vcc
	global_load_dwordx2 v[2:3], v[2:3], off offset:2048
	s_waitcnt vmcnt(0)
	ds_write_b64 v1, v[2:3] offset:2048
.LBB562_9:
	s_or_b64 exec, exec, s[8:9]
.LBB562_10:
	s_andn2_saveexec_b64 s[4:5], s[4:5]
	s_cbranch_execz .LBB562_12
; %bb.11:
	global_load_dwordx2 v[2:3], v1, s[0:1] offset:2048
	s_waitcnt vmcnt(0)
	ds_write_b64 v1, v[2:3] offset:2048
.LBB562_12:
	s_or_b64 exec, exec, s[4:5]
	v_or_b32_e32 v12, 0x200, v0
	v_mov_b32_e32 v13, 0
	v_cmp_le_u32_e32 vcc, s6, v12
	s_and_saveexec_b64 s[4:5], vcc
	s_xor_b64 s[4:5], exec, s[4:5]
	s_cbranch_execz .LBB562_16
; %bb.13:
	v_cmp_gt_u64_e32 vcc, s[2:3], v[12:13]
	s_and_saveexec_b64 s[8:9], vcc
	s_cbranch_execz .LBB562_15
; %bb.14:
	v_mov_b32_e32 v3, s7
	v_subrev_co_u32_e32 v2, vcc, s6, v12
	v_subb_co_u32_e32 v3, vcc, 0, v3, vcc
	v_lshlrev_b64 v[2:3], 3, v[2:3]
	v_mov_b32_e32 v4, s12
	v_add_co_u32_e32 v2, vcc, s11, v2
	v_addc_co_u32_e32 v3, vcc, v4, v3, vcc
	global_load_dwordx2 v[2:3], v[2:3], off
	s_waitcnt vmcnt(0)
	ds_write_b64 v1, v[2:3] offset:4096
.LBB562_15:
	s_or_b64 exec, exec, s[8:9]
.LBB562_16:
	s_andn2_saveexec_b64 s[4:5], s[4:5]
	s_cbranch_execz .LBB562_18
; %bb.17:
	v_lshlrev_b32_e32 v2, 3, v12
	global_load_dwordx2 v[2:3], v2, s[0:1]
	s_waitcnt vmcnt(0)
	ds_write_b64 v1, v[2:3] offset:4096
.LBB562_18:
	s_or_b64 exec, exec, s[4:5]
	v_or_b32_e32 v14, 0x300, v0
	v_mov_b32_e32 v15, 0
	v_cmp_le_u32_e32 vcc, s6, v14
	s_and_saveexec_b64 s[4:5], vcc
	s_xor_b64 s[4:5], exec, s[4:5]
	s_cbranch_execz .LBB562_22
; %bb.19:
	v_cmp_gt_u64_e32 vcc, s[2:3], v[14:15]
	s_and_saveexec_b64 s[2:3], vcc
	s_cbranch_execz .LBB562_21
; %bb.20:
	v_mov_b32_e32 v3, s7
	v_subrev_co_u32_e32 v2, vcc, s6, v14
	v_subb_co_u32_e32 v3, vcc, 0, v3, vcc
	v_lshlrev_b64 v[2:3], 3, v[2:3]
	v_mov_b32_e32 v4, s12
	v_add_co_u32_e32 v2, vcc, s11, v2
	v_addc_co_u32_e32 v3, vcc, v4, v3, vcc
	global_load_dwordx2 v[2:3], v[2:3], off
	s_waitcnt vmcnt(0)
	ds_write_b64 v1, v[2:3] offset:6144
.LBB562_21:
	s_or_b64 exec, exec, s[2:3]
.LBB562_22:
	s_andn2_saveexec_b64 s[2:3], s[4:5]
	s_cbranch_execz .LBB562_24
; %bb.23:
	v_lshlrev_b32_e32 v2, 3, v14
	global_load_dwordx2 v[2:3], v2, s[0:1]
	s_waitcnt vmcnt(0)
	ds_write_b64 v1, v[2:3] offset:6144
.LBB562_24:
	s_or_b64 exec, exec, s[2:3]
	v_lshlrev_b32_e32 v11, 2, v0
	v_sub_u32_e64 v13, v11, s10 clamp
	v_min_u32_e32 v2, s6, v11
	v_cmp_lt_u32_e32 vcc, v13, v2
	s_waitcnt lgkmcnt(0)
	s_barrier
	s_and_saveexec_b64 s[0:1], vcc
	s_cbranch_execz .LBB562_28
; %bb.25:
	v_lshlrev_b32_e32 v3, 3, v11
	v_lshl_add_u32 v3, s6, 3, v3
	s_mov_b64 s[2:3], 0
.LBB562_26:                             ; =>This Inner Loop Header: Depth=1
	v_add_u32_e32 v4, v2, v13
	v_lshrrev_b32_e32 v8, 1, v4
	v_not_b32_e32 v4, v8
	v_lshlrev_b32_e32 v5, 3, v8
	v_lshl_add_u32 v6, v4, 3, v3
	ds_read_b64 v[4:5], v5
	ds_read_b64 v[6:7], v6
	v_add_u32_e32 v9, 1, v8
	s_waitcnt lgkmcnt(0)
	v_cmp_gt_i64_e32 vcc, v[6:7], v[4:5]
	v_cndmask_b32_e32 v2, v2, v8, vcc
	v_cndmask_b32_e32 v13, v9, v13, vcc
	v_cmp_ge_u32_e32 vcc, v13, v2
	s_or_b64 s[2:3], vcc, s[2:3]
	s_andn2_b64 exec, exec, s[2:3]
	s_cbranch_execnz .LBB562_26
; %bb.27:
	s_or_b64 exec, exec, s[2:3]
.LBB562_28:
	s_or_b64 exec, exec, s[0:1]
	v_add_u32_e32 v2, s6, v11
	s_add_i32 s7, s10, s6
	v_sub_u32_e32 v15, v2, v13
	v_cmp_ge_u32_e32 vcc, s6, v13
	v_cmp_ge_u32_e64 s[0:1], s7, v15
	s_or_b64 s[0:1], vcc, s[0:1]
                                        ; implicit-def: $vgpr18_vgpr19
                                        ; implicit-def: $vgpr16_vgpr17
	s_and_saveexec_b64 s[8:9], s[0:1]
                                        ; implicit-def: $vgpr6_vgpr7_vgpr8_vgpr9
                                        ; implicit-def: $vgpr2_vgpr3_vgpr4_vgpr5
	s_cbranch_execz .LBB562_34
; %bb.29:
	v_cmp_gt_u32_e32 vcc, s6, v13
                                        ; implicit-def: $vgpr2_vgpr3
	s_and_saveexec_b64 s[0:1], vcc
	s_cbranch_execz .LBB562_31
; %bb.30:
	v_lshlrev_b32_e32 v2, 3, v13
	ds_read_b64 v[2:3], v2
.LBB562_31:
	s_or_b64 exec, exec, s[0:1]
	v_cmp_le_u32_e64 s[0:1], s7, v15
	v_cmp_gt_u32_e64 s[2:3], s7, v15
                                        ; implicit-def: $vgpr4_vgpr5
	s_and_saveexec_b64 s[4:5], s[2:3]
	s_cbranch_execz .LBB562_33
; %bb.32:
	v_lshlrev_b32_e32 v4, 3, v15
	ds_read_b64 v[4:5], v4
.LBB562_33:
	s_or_b64 exec, exec, s[4:5]
	s_waitcnt lgkmcnt(0)
	v_cmp_le_i64_e64 s[2:3], v[4:5], v[2:3]
	s_and_b64 s[2:3], vcc, s[2:3]
	s_or_b64 vcc, s[0:1], s[2:3]
	v_mov_b32_e32 v20, s7
	v_mov_b32_e32 v21, s6
	v_cndmask_b32_e32 v6, v15, v13, vcc
	v_cndmask_b32_e32 v7, v20, v21, vcc
	v_add_u32_e32 v16, 1, v6
	v_add_u32_e32 v6, -1, v7
	v_min_u32_e32 v6, v16, v6
	v_lshlrev_b32_e32 v6, 3, v6
	ds_read_b64 v[6:7], v6
	v_cndmask_b32_e32 v13, v13, v16, vcc
	v_cndmask_b32_e32 v15, v16, v15, vcc
	v_cmp_gt_u32_e64 s[2:3], s6, v13
	v_cmp_le_u32_e64 s[0:1], s7, v15
	s_waitcnt lgkmcnt(0)
	v_cndmask_b32_e32 v9, v7, v5, vcc
	v_cndmask_b32_e32 v8, v6, v4, vcc
	;; [unrolled: 1-line block ×4, first 2 shown]
	v_cmp_le_i64_e64 s[4:5], v[8:9], v[6:7]
	s_and_b64 s[2:3], s[2:3], s[4:5]
	s_or_b64 s[0:1], s[0:1], s[2:3]
	v_cndmask_b32_e64 v16, v15, v13, s[0:1]
	v_cndmask_b32_e64 v17, v20, v21, s[0:1]
	v_add_u32_e32 v22, 1, v16
	v_add_u32_e32 v16, -1, v17
	v_min_u32_e32 v16, v22, v16
	v_lshlrev_b32_e32 v16, 3, v16
	ds_read_b64 v[16:17], v16
	v_cndmask_b32_e32 v3, v5, v3, vcc
	v_cndmask_b32_e32 v2, v4, v2, vcc
	v_cndmask_b32_e64 v13, v13, v22, s[0:1]
	v_cndmask_b32_e64 v15, v22, v15, s[0:1]
	s_waitcnt lgkmcnt(0)
	v_cndmask_b32_e64 v5, v17, v9, s[0:1]
	v_cndmask_b32_e64 v4, v16, v8, s[0:1]
	v_cndmask_b32_e64 v19, v7, v17, s[0:1]
	v_cndmask_b32_e64 v18, v6, v16, s[0:1]
	v_cmp_gt_u32_e64 s[2:3], s6, v13
	v_cmp_le_i64_e64 s[4:5], v[4:5], v[18:19]
	v_cmp_le_u32_e32 vcc, s7, v15
	s_and_b64 s[2:3], s[2:3], s[4:5]
	s_or_b64 vcc, vcc, s[2:3]
	v_cndmask_b32_e32 v16, v15, v13, vcc
	v_cndmask_b32_e32 v17, v20, v21, vcc
	v_add_u32_e32 v22, 1, v16
	v_add_u32_e32 v16, -1, v17
	v_min_u32_e32 v16, v22, v16
	v_lshlrev_b32_e32 v16, 3, v16
	ds_read_b64 v[20:21], v16
	v_cndmask_b32_e64 v17, v9, v7, s[0:1]
	v_cndmask_b32_e64 v16, v8, v6, s[0:1]
	v_cndmask_b32_e32 v7, v5, v19, vcc
	v_cndmask_b32_e32 v6, v4, v18, vcc
	s_waitcnt lgkmcnt(0)
	v_cndmask_b32_e32 v5, v21, v5, vcc
	v_cndmask_b32_e32 v4, v20, v4, vcc
	;; [unrolled: 1-line block ×6, first 2 shown]
	v_cmp_gt_u32_e64 s[0:1], s6, v13
	v_cmp_le_i64_e64 s[2:3], v[4:5], v[8:9]
	v_cmp_le_u32_e32 vcc, s7, v15
	s_and_b64 s[0:1], s[0:1], s[2:3]
	s_or_b64 vcc, vcc, s[0:1]
	v_cndmask_b32_e32 v19, v5, v9, vcc
	v_cndmask_b32_e32 v18, v4, v8, vcc
.LBB562_34:
	s_or_b64 exec, exec, s[8:9]
	s_sub_i32 s6, s17, s16
	s_mov_b32 s17, 0
	s_lshl_b64 s[0:1], s[16:17], 3
	s_add_u32 s0, s14, s0
	v_and_b32_e32 v4, 0xf8, v0
	s_addc_u32 s1, s15, s1
	v_lshl_add_u32 v4, v11, 3, v4
	s_cmpk_gt_u32 s6, 0x3ff
	s_barrier
	ds_write2_b64 v4, v[2:3], v[16:17] offset1:1
	ds_write2_b64 v4, v[6:7], v[18:19] offset0:2 offset1:3
	v_lshrrev_b32_e32 v6, 5, v10
	v_lshrrev_b32_e32 v5, 5, v12
	;; [unrolled: 1-line block ×3, first 2 shown]
	s_waitcnt lgkmcnt(0)
	s_cbranch_scc0 .LBB562_36
; %bb.35:
	v_lshrrev_b32_e32 v2, 5, v0
	v_add_lshl_u32 v2, v2, v0, 3
	v_add_lshl_u32 v3, v6, v0, 3
	s_barrier
	v_add_lshl_u32 v7, v5, v0, 3
	v_add_lshl_u32 v11, v4, v0, 3
	ds_read_b64 v[8:9], v2
	ds_read_b64 v[16:17], v3 offset:2048
	ds_read_b64 v[18:19], v7 offset:4096
	;; [unrolled: 1-line block ×3, first 2 shown]
	v_mov_b32_e32 v7, s1
	v_add_co_u32_e32 v11, vcc, s0, v1
	v_addc_co_u32_e32 v7, vcc, 0, v7, vcc
	s_waitcnt lgkmcnt(3)
	global_store_dwordx2 v1, v[8:9], s[0:1]
	s_waitcnt lgkmcnt(2)
	global_store_dwordx2 v1, v[16:17], s[0:1] offset:2048
	v_add_co_u32_e32 v8, vcc, 0x1000, v11
	v_addc_co_u32_e32 v9, vcc, 0, v7, vcc
	s_waitcnt lgkmcnt(1)
	global_store_dwordx2 v[8:9], v[18:19], off
	s_mov_b64 s[2:3], -1
	s_cbranch_execz .LBB562_37
	s_branch .LBB562_42
.LBB562_36:
	s_mov_b64 s[2:3], 0
                                        ; implicit-def: $vgpr2_vgpr3
.LBB562_37:
	s_waitcnt lgkmcnt(0)
	v_add_lshl_u32 v2, v6, v0, 3
	v_add_lshl_u32 v3, v5, v0, 3
	s_barrier
	v_add_lshl_u32 v6, v4, v0, 3
	ds_read_b64 v[8:9], v2 offset:2048
	ds_read_b64 v[4:5], v3 offset:4096
	;; [unrolled: 1-line block ×3, first 2 shown]
	v_mov_b32_e32 v7, s1
	v_add_co_u32_e32 v6, vcc, s0, v1
	v_addc_co_u32_e32 v7, vcc, 0, v7, vcc
	v_cmp_gt_u32_e32 vcc, s6, v0
	s_and_saveexec_b64 s[2:3], vcc
	s_cbranch_execnz .LBB562_45
; %bb.38:
	s_or_b64 exec, exec, s[2:3]
	v_cmp_gt_u32_e32 vcc, s6, v10
	s_and_saveexec_b64 s[2:3], vcc
	s_cbranch_execnz .LBB562_46
.LBB562_39:
	s_or_b64 exec, exec, s[2:3]
	v_cmp_gt_u32_e32 vcc, s6, v12
	s_and_saveexec_b64 s[2:3], vcc
	s_cbranch_execz .LBB562_41
.LBB562_40:
	v_add_co_u32_e32 v6, vcc, 0x1000, v6
	v_addc_co_u32_e32 v7, vcc, 0, v7, vcc
	s_waitcnt lgkmcnt(1)
	global_store_dwordx2 v[6:7], v[4:5], off
.LBB562_41:
	s_or_b64 exec, exec, s[2:3]
	v_cmp_gt_u32_e64 s[2:3], s6, v14
.LBB562_42:
	s_and_saveexec_b64 s[4:5], s[2:3]
	s_cbranch_execnz .LBB562_44
; %bb.43:
	s_endpgm
.LBB562_44:
	v_mov_b32_e32 v0, s1
	v_add_co_u32_e32 v1, vcc, s0, v1
	s_waitcnt lgkmcnt(1)
	v_addc_co_u32_e32 v4, vcc, 0, v0, vcc
	v_add_co_u32_e32 v0, vcc, 0x1000, v1
	v_addc_co_u32_e32 v1, vcc, 0, v4, vcc
	s_waitcnt lgkmcnt(0)
	global_store_dwordx2 v[0:1], v[2:3], off offset:2048
	s_endpgm
.LBB562_45:
	v_lshrrev_b32_e32 v11, 5, v0
	v_add_lshl_u32 v0, v11, v0, 3
	ds_read_b64 v[16:17], v0
	s_waitcnt lgkmcnt(0)
	global_store_dwordx2 v[6:7], v[16:17], off
	s_or_b64 exec, exec, s[2:3]
	v_cmp_gt_u32_e32 vcc, s6, v10
	s_and_saveexec_b64 s[2:3], vcc
	s_cbranch_execz .LBB562_39
.LBB562_46:
	s_waitcnt lgkmcnt(2)
	global_store_dwordx2 v[6:7], v[8:9], off offset:2048
	s_or_b64 exec, exec, s[2:3]
	v_cmp_gt_u32_e32 vcc, s6, v12
	s_and_saveexec_b64 s[2:3], vcc
	s_cbranch_execnz .LBB562_40
	s_branch .LBB562_41
	.section	.rodata,"a",@progbits
	.p2align	6, 0x0
	.amdhsa_kernel _ZN7rocprim17ROCPRIM_400000_NS6detail17trampoline_kernelINS0_14default_configENS1_21merge_config_selectorIxNS0_10empty_typeEEEZNS1_10merge_implIS3_N6thrust23THRUST_200600_302600_NS6detail15normal_iteratorINS9_10device_ptrIKxEEEESF_NSB_INSC_IxEEEEPS5_SI_SI_NS9_7greaterIxEEEE10hipError_tPvRmT0_T1_T2_T3_T4_T5_mmT6_P12ihipStream_tbEUlT_E0_NS1_11comp_targetILNS1_3genE4ELNS1_11target_archE910ELNS1_3gpuE8ELNS1_3repE0EEENS1_30default_config_static_selectorELNS0_4arch9wavefront6targetE1EEEvSP_
		.amdhsa_group_segment_fixed_size 8448
		.amdhsa_private_segment_fixed_size 0
		.amdhsa_kernarg_size 88
		.amdhsa_user_sgpr_count 6
		.amdhsa_user_sgpr_private_segment_buffer 1
		.amdhsa_user_sgpr_dispatch_ptr 0
		.amdhsa_user_sgpr_queue_ptr 0
		.amdhsa_user_sgpr_kernarg_segment_ptr 1
		.amdhsa_user_sgpr_dispatch_id 0
		.amdhsa_user_sgpr_flat_scratch_init 0
		.amdhsa_user_sgpr_kernarg_preload_length 0
		.amdhsa_user_sgpr_kernarg_preload_offset 0
		.amdhsa_user_sgpr_private_segment_size 0
		.amdhsa_uses_dynamic_stack 0
		.amdhsa_system_sgpr_private_segment_wavefront_offset 0
		.amdhsa_system_sgpr_workgroup_id_x 1
		.amdhsa_system_sgpr_workgroup_id_y 0
		.amdhsa_system_sgpr_workgroup_id_z 0
		.amdhsa_system_sgpr_workgroup_info 0
		.amdhsa_system_vgpr_workitem_id 0
		.amdhsa_next_free_vgpr 23
		.amdhsa_next_free_sgpr 18
		.amdhsa_accum_offset 24
		.amdhsa_reserve_vcc 1
		.amdhsa_reserve_flat_scratch 0
		.amdhsa_float_round_mode_32 0
		.amdhsa_float_round_mode_16_64 0
		.amdhsa_float_denorm_mode_32 3
		.amdhsa_float_denorm_mode_16_64 3
		.amdhsa_dx10_clamp 1
		.amdhsa_ieee_mode 1
		.amdhsa_fp16_overflow 0
		.amdhsa_tg_split 0
		.amdhsa_exception_fp_ieee_invalid_op 0
		.amdhsa_exception_fp_denorm_src 0
		.amdhsa_exception_fp_ieee_div_zero 0
		.amdhsa_exception_fp_ieee_overflow 0
		.amdhsa_exception_fp_ieee_underflow 0
		.amdhsa_exception_fp_ieee_inexact 0
		.amdhsa_exception_int_div_zero 0
	.end_amdhsa_kernel
	.section	.text._ZN7rocprim17ROCPRIM_400000_NS6detail17trampoline_kernelINS0_14default_configENS1_21merge_config_selectorIxNS0_10empty_typeEEEZNS1_10merge_implIS3_N6thrust23THRUST_200600_302600_NS6detail15normal_iteratorINS9_10device_ptrIKxEEEESF_NSB_INSC_IxEEEEPS5_SI_SI_NS9_7greaterIxEEEE10hipError_tPvRmT0_T1_T2_T3_T4_T5_mmT6_P12ihipStream_tbEUlT_E0_NS1_11comp_targetILNS1_3genE4ELNS1_11target_archE910ELNS1_3gpuE8ELNS1_3repE0EEENS1_30default_config_static_selectorELNS0_4arch9wavefront6targetE1EEEvSP_,"axG",@progbits,_ZN7rocprim17ROCPRIM_400000_NS6detail17trampoline_kernelINS0_14default_configENS1_21merge_config_selectorIxNS0_10empty_typeEEEZNS1_10merge_implIS3_N6thrust23THRUST_200600_302600_NS6detail15normal_iteratorINS9_10device_ptrIKxEEEESF_NSB_INSC_IxEEEEPS5_SI_SI_NS9_7greaterIxEEEE10hipError_tPvRmT0_T1_T2_T3_T4_T5_mmT6_P12ihipStream_tbEUlT_E0_NS1_11comp_targetILNS1_3genE4ELNS1_11target_archE910ELNS1_3gpuE8ELNS1_3repE0EEENS1_30default_config_static_selectorELNS0_4arch9wavefront6targetE1EEEvSP_,comdat
.Lfunc_end562:
	.size	_ZN7rocprim17ROCPRIM_400000_NS6detail17trampoline_kernelINS0_14default_configENS1_21merge_config_selectorIxNS0_10empty_typeEEEZNS1_10merge_implIS3_N6thrust23THRUST_200600_302600_NS6detail15normal_iteratorINS9_10device_ptrIKxEEEESF_NSB_INSC_IxEEEEPS5_SI_SI_NS9_7greaterIxEEEE10hipError_tPvRmT0_T1_T2_T3_T4_T5_mmT6_P12ihipStream_tbEUlT_E0_NS1_11comp_targetILNS1_3genE4ELNS1_11target_archE910ELNS1_3gpuE8ELNS1_3repE0EEENS1_30default_config_static_selectorELNS0_4arch9wavefront6targetE1EEEvSP_, .Lfunc_end562-_ZN7rocprim17ROCPRIM_400000_NS6detail17trampoline_kernelINS0_14default_configENS1_21merge_config_selectorIxNS0_10empty_typeEEEZNS1_10merge_implIS3_N6thrust23THRUST_200600_302600_NS6detail15normal_iteratorINS9_10device_ptrIKxEEEESF_NSB_INSC_IxEEEEPS5_SI_SI_NS9_7greaterIxEEEE10hipError_tPvRmT0_T1_T2_T3_T4_T5_mmT6_P12ihipStream_tbEUlT_E0_NS1_11comp_targetILNS1_3genE4ELNS1_11target_archE910ELNS1_3gpuE8ELNS1_3repE0EEENS1_30default_config_static_selectorELNS0_4arch9wavefront6targetE1EEEvSP_
                                        ; -- End function
	.section	.AMDGPU.csdata,"",@progbits
; Kernel info:
; codeLenInByte = 1796
; NumSgprs: 22
; NumVgprs: 23
; NumAgprs: 0
; TotalNumVgprs: 23
; ScratchSize: 0
; MemoryBound: 0
; FloatMode: 240
; IeeeMode: 1
; LDSByteSize: 8448 bytes/workgroup (compile time only)
; SGPRBlocks: 2
; VGPRBlocks: 2
; NumSGPRsForWavesPerEU: 22
; NumVGPRsForWavesPerEU: 23
; AccumOffset: 24
; Occupancy: 7
; WaveLimiterHint : 1
; COMPUTE_PGM_RSRC2:SCRATCH_EN: 0
; COMPUTE_PGM_RSRC2:USER_SGPR: 6
; COMPUTE_PGM_RSRC2:TRAP_HANDLER: 0
; COMPUTE_PGM_RSRC2:TGID_X_EN: 1
; COMPUTE_PGM_RSRC2:TGID_Y_EN: 0
; COMPUTE_PGM_RSRC2:TGID_Z_EN: 0
; COMPUTE_PGM_RSRC2:TIDIG_COMP_CNT: 0
; COMPUTE_PGM_RSRC3_GFX90A:ACCUM_OFFSET: 5
; COMPUTE_PGM_RSRC3_GFX90A:TG_SPLIT: 0
	.section	.text._ZN7rocprim17ROCPRIM_400000_NS6detail17trampoline_kernelINS0_14default_configENS1_21merge_config_selectorIxNS0_10empty_typeEEEZNS1_10merge_implIS3_N6thrust23THRUST_200600_302600_NS6detail15normal_iteratorINS9_10device_ptrIKxEEEESF_NSB_INSC_IxEEEEPS5_SI_SI_NS9_7greaterIxEEEE10hipError_tPvRmT0_T1_T2_T3_T4_T5_mmT6_P12ihipStream_tbEUlT_E0_NS1_11comp_targetILNS1_3genE3ELNS1_11target_archE908ELNS1_3gpuE7ELNS1_3repE0EEENS1_30default_config_static_selectorELNS0_4arch9wavefront6targetE1EEEvSP_,"axG",@progbits,_ZN7rocprim17ROCPRIM_400000_NS6detail17trampoline_kernelINS0_14default_configENS1_21merge_config_selectorIxNS0_10empty_typeEEEZNS1_10merge_implIS3_N6thrust23THRUST_200600_302600_NS6detail15normal_iteratorINS9_10device_ptrIKxEEEESF_NSB_INSC_IxEEEEPS5_SI_SI_NS9_7greaterIxEEEE10hipError_tPvRmT0_T1_T2_T3_T4_T5_mmT6_P12ihipStream_tbEUlT_E0_NS1_11comp_targetILNS1_3genE3ELNS1_11target_archE908ELNS1_3gpuE7ELNS1_3repE0EEENS1_30default_config_static_selectorELNS0_4arch9wavefront6targetE1EEEvSP_,comdat
	.protected	_ZN7rocprim17ROCPRIM_400000_NS6detail17trampoline_kernelINS0_14default_configENS1_21merge_config_selectorIxNS0_10empty_typeEEEZNS1_10merge_implIS3_N6thrust23THRUST_200600_302600_NS6detail15normal_iteratorINS9_10device_ptrIKxEEEESF_NSB_INSC_IxEEEEPS5_SI_SI_NS9_7greaterIxEEEE10hipError_tPvRmT0_T1_T2_T3_T4_T5_mmT6_P12ihipStream_tbEUlT_E0_NS1_11comp_targetILNS1_3genE3ELNS1_11target_archE908ELNS1_3gpuE7ELNS1_3repE0EEENS1_30default_config_static_selectorELNS0_4arch9wavefront6targetE1EEEvSP_ ; -- Begin function _ZN7rocprim17ROCPRIM_400000_NS6detail17trampoline_kernelINS0_14default_configENS1_21merge_config_selectorIxNS0_10empty_typeEEEZNS1_10merge_implIS3_N6thrust23THRUST_200600_302600_NS6detail15normal_iteratorINS9_10device_ptrIKxEEEESF_NSB_INSC_IxEEEEPS5_SI_SI_NS9_7greaterIxEEEE10hipError_tPvRmT0_T1_T2_T3_T4_T5_mmT6_P12ihipStream_tbEUlT_E0_NS1_11comp_targetILNS1_3genE3ELNS1_11target_archE908ELNS1_3gpuE7ELNS1_3repE0EEENS1_30default_config_static_selectorELNS0_4arch9wavefront6targetE1EEEvSP_
	.globl	_ZN7rocprim17ROCPRIM_400000_NS6detail17trampoline_kernelINS0_14default_configENS1_21merge_config_selectorIxNS0_10empty_typeEEEZNS1_10merge_implIS3_N6thrust23THRUST_200600_302600_NS6detail15normal_iteratorINS9_10device_ptrIKxEEEESF_NSB_INSC_IxEEEEPS5_SI_SI_NS9_7greaterIxEEEE10hipError_tPvRmT0_T1_T2_T3_T4_T5_mmT6_P12ihipStream_tbEUlT_E0_NS1_11comp_targetILNS1_3genE3ELNS1_11target_archE908ELNS1_3gpuE7ELNS1_3repE0EEENS1_30default_config_static_selectorELNS0_4arch9wavefront6targetE1EEEvSP_
	.p2align	8
	.type	_ZN7rocprim17ROCPRIM_400000_NS6detail17trampoline_kernelINS0_14default_configENS1_21merge_config_selectorIxNS0_10empty_typeEEEZNS1_10merge_implIS3_N6thrust23THRUST_200600_302600_NS6detail15normal_iteratorINS9_10device_ptrIKxEEEESF_NSB_INSC_IxEEEEPS5_SI_SI_NS9_7greaterIxEEEE10hipError_tPvRmT0_T1_T2_T3_T4_T5_mmT6_P12ihipStream_tbEUlT_E0_NS1_11comp_targetILNS1_3genE3ELNS1_11target_archE908ELNS1_3gpuE7ELNS1_3repE0EEENS1_30default_config_static_selectorELNS0_4arch9wavefront6targetE1EEEvSP_,@function
_ZN7rocprim17ROCPRIM_400000_NS6detail17trampoline_kernelINS0_14default_configENS1_21merge_config_selectorIxNS0_10empty_typeEEEZNS1_10merge_implIS3_N6thrust23THRUST_200600_302600_NS6detail15normal_iteratorINS9_10device_ptrIKxEEEESF_NSB_INSC_IxEEEEPS5_SI_SI_NS9_7greaterIxEEEE10hipError_tPvRmT0_T1_T2_T3_T4_T5_mmT6_P12ihipStream_tbEUlT_E0_NS1_11comp_targetILNS1_3genE3ELNS1_11target_archE908ELNS1_3gpuE7ELNS1_3repE0EEENS1_30default_config_static_selectorELNS0_4arch9wavefront6targetE1EEEvSP_: ; @_ZN7rocprim17ROCPRIM_400000_NS6detail17trampoline_kernelINS0_14default_configENS1_21merge_config_selectorIxNS0_10empty_typeEEEZNS1_10merge_implIS3_N6thrust23THRUST_200600_302600_NS6detail15normal_iteratorINS9_10device_ptrIKxEEEESF_NSB_INSC_IxEEEEPS5_SI_SI_NS9_7greaterIxEEEE10hipError_tPvRmT0_T1_T2_T3_T4_T5_mmT6_P12ihipStream_tbEUlT_E0_NS1_11comp_targetILNS1_3genE3ELNS1_11target_archE908ELNS1_3gpuE7ELNS1_3repE0EEENS1_30default_config_static_selectorELNS0_4arch9wavefront6targetE1EEEvSP_
; %bb.0:
	.section	.rodata,"a",@progbits
	.p2align	6, 0x0
	.amdhsa_kernel _ZN7rocprim17ROCPRIM_400000_NS6detail17trampoline_kernelINS0_14default_configENS1_21merge_config_selectorIxNS0_10empty_typeEEEZNS1_10merge_implIS3_N6thrust23THRUST_200600_302600_NS6detail15normal_iteratorINS9_10device_ptrIKxEEEESF_NSB_INSC_IxEEEEPS5_SI_SI_NS9_7greaterIxEEEE10hipError_tPvRmT0_T1_T2_T3_T4_T5_mmT6_P12ihipStream_tbEUlT_E0_NS1_11comp_targetILNS1_3genE3ELNS1_11target_archE908ELNS1_3gpuE7ELNS1_3repE0EEENS1_30default_config_static_selectorELNS0_4arch9wavefront6targetE1EEEvSP_
		.amdhsa_group_segment_fixed_size 0
		.amdhsa_private_segment_fixed_size 0
		.amdhsa_kernarg_size 88
		.amdhsa_user_sgpr_count 6
		.amdhsa_user_sgpr_private_segment_buffer 1
		.amdhsa_user_sgpr_dispatch_ptr 0
		.amdhsa_user_sgpr_queue_ptr 0
		.amdhsa_user_sgpr_kernarg_segment_ptr 1
		.amdhsa_user_sgpr_dispatch_id 0
		.amdhsa_user_sgpr_flat_scratch_init 0
		.amdhsa_user_sgpr_kernarg_preload_length 0
		.amdhsa_user_sgpr_kernarg_preload_offset 0
		.amdhsa_user_sgpr_private_segment_size 0
		.amdhsa_uses_dynamic_stack 0
		.amdhsa_system_sgpr_private_segment_wavefront_offset 0
		.amdhsa_system_sgpr_workgroup_id_x 1
		.amdhsa_system_sgpr_workgroup_id_y 0
		.amdhsa_system_sgpr_workgroup_id_z 0
		.amdhsa_system_sgpr_workgroup_info 0
		.amdhsa_system_vgpr_workitem_id 0
		.amdhsa_next_free_vgpr 1
		.amdhsa_next_free_sgpr 0
		.amdhsa_accum_offset 4
		.amdhsa_reserve_vcc 0
		.amdhsa_reserve_flat_scratch 0
		.amdhsa_float_round_mode_32 0
		.amdhsa_float_round_mode_16_64 0
		.amdhsa_float_denorm_mode_32 3
		.amdhsa_float_denorm_mode_16_64 3
		.amdhsa_dx10_clamp 1
		.amdhsa_ieee_mode 1
		.amdhsa_fp16_overflow 0
		.amdhsa_tg_split 0
		.amdhsa_exception_fp_ieee_invalid_op 0
		.amdhsa_exception_fp_denorm_src 0
		.amdhsa_exception_fp_ieee_div_zero 0
		.amdhsa_exception_fp_ieee_overflow 0
		.amdhsa_exception_fp_ieee_underflow 0
		.amdhsa_exception_fp_ieee_inexact 0
		.amdhsa_exception_int_div_zero 0
	.end_amdhsa_kernel
	.section	.text._ZN7rocprim17ROCPRIM_400000_NS6detail17trampoline_kernelINS0_14default_configENS1_21merge_config_selectorIxNS0_10empty_typeEEEZNS1_10merge_implIS3_N6thrust23THRUST_200600_302600_NS6detail15normal_iteratorINS9_10device_ptrIKxEEEESF_NSB_INSC_IxEEEEPS5_SI_SI_NS9_7greaterIxEEEE10hipError_tPvRmT0_T1_T2_T3_T4_T5_mmT6_P12ihipStream_tbEUlT_E0_NS1_11comp_targetILNS1_3genE3ELNS1_11target_archE908ELNS1_3gpuE7ELNS1_3repE0EEENS1_30default_config_static_selectorELNS0_4arch9wavefront6targetE1EEEvSP_,"axG",@progbits,_ZN7rocprim17ROCPRIM_400000_NS6detail17trampoline_kernelINS0_14default_configENS1_21merge_config_selectorIxNS0_10empty_typeEEEZNS1_10merge_implIS3_N6thrust23THRUST_200600_302600_NS6detail15normal_iteratorINS9_10device_ptrIKxEEEESF_NSB_INSC_IxEEEEPS5_SI_SI_NS9_7greaterIxEEEE10hipError_tPvRmT0_T1_T2_T3_T4_T5_mmT6_P12ihipStream_tbEUlT_E0_NS1_11comp_targetILNS1_3genE3ELNS1_11target_archE908ELNS1_3gpuE7ELNS1_3repE0EEENS1_30default_config_static_selectorELNS0_4arch9wavefront6targetE1EEEvSP_,comdat
.Lfunc_end563:
	.size	_ZN7rocprim17ROCPRIM_400000_NS6detail17trampoline_kernelINS0_14default_configENS1_21merge_config_selectorIxNS0_10empty_typeEEEZNS1_10merge_implIS3_N6thrust23THRUST_200600_302600_NS6detail15normal_iteratorINS9_10device_ptrIKxEEEESF_NSB_INSC_IxEEEEPS5_SI_SI_NS9_7greaterIxEEEE10hipError_tPvRmT0_T1_T2_T3_T4_T5_mmT6_P12ihipStream_tbEUlT_E0_NS1_11comp_targetILNS1_3genE3ELNS1_11target_archE908ELNS1_3gpuE7ELNS1_3repE0EEENS1_30default_config_static_selectorELNS0_4arch9wavefront6targetE1EEEvSP_, .Lfunc_end563-_ZN7rocprim17ROCPRIM_400000_NS6detail17trampoline_kernelINS0_14default_configENS1_21merge_config_selectorIxNS0_10empty_typeEEEZNS1_10merge_implIS3_N6thrust23THRUST_200600_302600_NS6detail15normal_iteratorINS9_10device_ptrIKxEEEESF_NSB_INSC_IxEEEEPS5_SI_SI_NS9_7greaterIxEEEE10hipError_tPvRmT0_T1_T2_T3_T4_T5_mmT6_P12ihipStream_tbEUlT_E0_NS1_11comp_targetILNS1_3genE3ELNS1_11target_archE908ELNS1_3gpuE7ELNS1_3repE0EEENS1_30default_config_static_selectorELNS0_4arch9wavefront6targetE1EEEvSP_
                                        ; -- End function
	.section	.AMDGPU.csdata,"",@progbits
; Kernel info:
; codeLenInByte = 0
; NumSgprs: 4
; NumVgprs: 0
; NumAgprs: 0
; TotalNumVgprs: 0
; ScratchSize: 0
; MemoryBound: 0
; FloatMode: 240
; IeeeMode: 1
; LDSByteSize: 0 bytes/workgroup (compile time only)
; SGPRBlocks: 0
; VGPRBlocks: 0
; NumSGPRsForWavesPerEU: 4
; NumVGPRsForWavesPerEU: 1
; AccumOffset: 4
; Occupancy: 8
; WaveLimiterHint : 0
; COMPUTE_PGM_RSRC2:SCRATCH_EN: 0
; COMPUTE_PGM_RSRC2:USER_SGPR: 6
; COMPUTE_PGM_RSRC2:TRAP_HANDLER: 0
; COMPUTE_PGM_RSRC2:TGID_X_EN: 1
; COMPUTE_PGM_RSRC2:TGID_Y_EN: 0
; COMPUTE_PGM_RSRC2:TGID_Z_EN: 0
; COMPUTE_PGM_RSRC2:TIDIG_COMP_CNT: 0
; COMPUTE_PGM_RSRC3_GFX90A:ACCUM_OFFSET: 0
; COMPUTE_PGM_RSRC3_GFX90A:TG_SPLIT: 0
	.section	.text._ZN7rocprim17ROCPRIM_400000_NS6detail17trampoline_kernelINS0_14default_configENS1_21merge_config_selectorIxNS0_10empty_typeEEEZNS1_10merge_implIS3_N6thrust23THRUST_200600_302600_NS6detail15normal_iteratorINS9_10device_ptrIKxEEEESF_NSB_INSC_IxEEEEPS5_SI_SI_NS9_7greaterIxEEEE10hipError_tPvRmT0_T1_T2_T3_T4_T5_mmT6_P12ihipStream_tbEUlT_E0_NS1_11comp_targetILNS1_3genE2ELNS1_11target_archE906ELNS1_3gpuE6ELNS1_3repE0EEENS1_30default_config_static_selectorELNS0_4arch9wavefront6targetE1EEEvSP_,"axG",@progbits,_ZN7rocprim17ROCPRIM_400000_NS6detail17trampoline_kernelINS0_14default_configENS1_21merge_config_selectorIxNS0_10empty_typeEEEZNS1_10merge_implIS3_N6thrust23THRUST_200600_302600_NS6detail15normal_iteratorINS9_10device_ptrIKxEEEESF_NSB_INSC_IxEEEEPS5_SI_SI_NS9_7greaterIxEEEE10hipError_tPvRmT0_T1_T2_T3_T4_T5_mmT6_P12ihipStream_tbEUlT_E0_NS1_11comp_targetILNS1_3genE2ELNS1_11target_archE906ELNS1_3gpuE6ELNS1_3repE0EEENS1_30default_config_static_selectorELNS0_4arch9wavefront6targetE1EEEvSP_,comdat
	.protected	_ZN7rocprim17ROCPRIM_400000_NS6detail17trampoline_kernelINS0_14default_configENS1_21merge_config_selectorIxNS0_10empty_typeEEEZNS1_10merge_implIS3_N6thrust23THRUST_200600_302600_NS6detail15normal_iteratorINS9_10device_ptrIKxEEEESF_NSB_INSC_IxEEEEPS5_SI_SI_NS9_7greaterIxEEEE10hipError_tPvRmT0_T1_T2_T3_T4_T5_mmT6_P12ihipStream_tbEUlT_E0_NS1_11comp_targetILNS1_3genE2ELNS1_11target_archE906ELNS1_3gpuE6ELNS1_3repE0EEENS1_30default_config_static_selectorELNS0_4arch9wavefront6targetE1EEEvSP_ ; -- Begin function _ZN7rocprim17ROCPRIM_400000_NS6detail17trampoline_kernelINS0_14default_configENS1_21merge_config_selectorIxNS0_10empty_typeEEEZNS1_10merge_implIS3_N6thrust23THRUST_200600_302600_NS6detail15normal_iteratorINS9_10device_ptrIKxEEEESF_NSB_INSC_IxEEEEPS5_SI_SI_NS9_7greaterIxEEEE10hipError_tPvRmT0_T1_T2_T3_T4_T5_mmT6_P12ihipStream_tbEUlT_E0_NS1_11comp_targetILNS1_3genE2ELNS1_11target_archE906ELNS1_3gpuE6ELNS1_3repE0EEENS1_30default_config_static_selectorELNS0_4arch9wavefront6targetE1EEEvSP_
	.globl	_ZN7rocprim17ROCPRIM_400000_NS6detail17trampoline_kernelINS0_14default_configENS1_21merge_config_selectorIxNS0_10empty_typeEEEZNS1_10merge_implIS3_N6thrust23THRUST_200600_302600_NS6detail15normal_iteratorINS9_10device_ptrIKxEEEESF_NSB_INSC_IxEEEEPS5_SI_SI_NS9_7greaterIxEEEE10hipError_tPvRmT0_T1_T2_T3_T4_T5_mmT6_P12ihipStream_tbEUlT_E0_NS1_11comp_targetILNS1_3genE2ELNS1_11target_archE906ELNS1_3gpuE6ELNS1_3repE0EEENS1_30default_config_static_selectorELNS0_4arch9wavefront6targetE1EEEvSP_
	.p2align	8
	.type	_ZN7rocprim17ROCPRIM_400000_NS6detail17trampoline_kernelINS0_14default_configENS1_21merge_config_selectorIxNS0_10empty_typeEEEZNS1_10merge_implIS3_N6thrust23THRUST_200600_302600_NS6detail15normal_iteratorINS9_10device_ptrIKxEEEESF_NSB_INSC_IxEEEEPS5_SI_SI_NS9_7greaterIxEEEE10hipError_tPvRmT0_T1_T2_T3_T4_T5_mmT6_P12ihipStream_tbEUlT_E0_NS1_11comp_targetILNS1_3genE2ELNS1_11target_archE906ELNS1_3gpuE6ELNS1_3repE0EEENS1_30default_config_static_selectorELNS0_4arch9wavefront6targetE1EEEvSP_,@function
_ZN7rocprim17ROCPRIM_400000_NS6detail17trampoline_kernelINS0_14default_configENS1_21merge_config_selectorIxNS0_10empty_typeEEEZNS1_10merge_implIS3_N6thrust23THRUST_200600_302600_NS6detail15normal_iteratorINS9_10device_ptrIKxEEEESF_NSB_INSC_IxEEEEPS5_SI_SI_NS9_7greaterIxEEEE10hipError_tPvRmT0_T1_T2_T3_T4_T5_mmT6_P12ihipStream_tbEUlT_E0_NS1_11comp_targetILNS1_3genE2ELNS1_11target_archE906ELNS1_3gpuE6ELNS1_3repE0EEENS1_30default_config_static_selectorELNS0_4arch9wavefront6targetE1EEEvSP_: ; @_ZN7rocprim17ROCPRIM_400000_NS6detail17trampoline_kernelINS0_14default_configENS1_21merge_config_selectorIxNS0_10empty_typeEEEZNS1_10merge_implIS3_N6thrust23THRUST_200600_302600_NS6detail15normal_iteratorINS9_10device_ptrIKxEEEESF_NSB_INSC_IxEEEEPS5_SI_SI_NS9_7greaterIxEEEE10hipError_tPvRmT0_T1_T2_T3_T4_T5_mmT6_P12ihipStream_tbEUlT_E0_NS1_11comp_targetILNS1_3genE2ELNS1_11target_archE906ELNS1_3gpuE6ELNS1_3repE0EEENS1_30default_config_static_selectorELNS0_4arch9wavefront6targetE1EEEvSP_
; %bb.0:
	.section	.rodata,"a",@progbits
	.p2align	6, 0x0
	.amdhsa_kernel _ZN7rocprim17ROCPRIM_400000_NS6detail17trampoline_kernelINS0_14default_configENS1_21merge_config_selectorIxNS0_10empty_typeEEEZNS1_10merge_implIS3_N6thrust23THRUST_200600_302600_NS6detail15normal_iteratorINS9_10device_ptrIKxEEEESF_NSB_INSC_IxEEEEPS5_SI_SI_NS9_7greaterIxEEEE10hipError_tPvRmT0_T1_T2_T3_T4_T5_mmT6_P12ihipStream_tbEUlT_E0_NS1_11comp_targetILNS1_3genE2ELNS1_11target_archE906ELNS1_3gpuE6ELNS1_3repE0EEENS1_30default_config_static_selectorELNS0_4arch9wavefront6targetE1EEEvSP_
		.amdhsa_group_segment_fixed_size 0
		.amdhsa_private_segment_fixed_size 0
		.amdhsa_kernarg_size 88
		.amdhsa_user_sgpr_count 6
		.amdhsa_user_sgpr_private_segment_buffer 1
		.amdhsa_user_sgpr_dispatch_ptr 0
		.amdhsa_user_sgpr_queue_ptr 0
		.amdhsa_user_sgpr_kernarg_segment_ptr 1
		.amdhsa_user_sgpr_dispatch_id 0
		.amdhsa_user_sgpr_flat_scratch_init 0
		.amdhsa_user_sgpr_kernarg_preload_length 0
		.amdhsa_user_sgpr_kernarg_preload_offset 0
		.amdhsa_user_sgpr_private_segment_size 0
		.amdhsa_uses_dynamic_stack 0
		.amdhsa_system_sgpr_private_segment_wavefront_offset 0
		.amdhsa_system_sgpr_workgroup_id_x 1
		.amdhsa_system_sgpr_workgroup_id_y 0
		.amdhsa_system_sgpr_workgroup_id_z 0
		.amdhsa_system_sgpr_workgroup_info 0
		.amdhsa_system_vgpr_workitem_id 0
		.amdhsa_next_free_vgpr 1
		.amdhsa_next_free_sgpr 0
		.amdhsa_accum_offset 4
		.amdhsa_reserve_vcc 0
		.amdhsa_reserve_flat_scratch 0
		.amdhsa_float_round_mode_32 0
		.amdhsa_float_round_mode_16_64 0
		.amdhsa_float_denorm_mode_32 3
		.amdhsa_float_denorm_mode_16_64 3
		.amdhsa_dx10_clamp 1
		.amdhsa_ieee_mode 1
		.amdhsa_fp16_overflow 0
		.amdhsa_tg_split 0
		.amdhsa_exception_fp_ieee_invalid_op 0
		.amdhsa_exception_fp_denorm_src 0
		.amdhsa_exception_fp_ieee_div_zero 0
		.amdhsa_exception_fp_ieee_overflow 0
		.amdhsa_exception_fp_ieee_underflow 0
		.amdhsa_exception_fp_ieee_inexact 0
		.amdhsa_exception_int_div_zero 0
	.end_amdhsa_kernel
	.section	.text._ZN7rocprim17ROCPRIM_400000_NS6detail17trampoline_kernelINS0_14default_configENS1_21merge_config_selectorIxNS0_10empty_typeEEEZNS1_10merge_implIS3_N6thrust23THRUST_200600_302600_NS6detail15normal_iteratorINS9_10device_ptrIKxEEEESF_NSB_INSC_IxEEEEPS5_SI_SI_NS9_7greaterIxEEEE10hipError_tPvRmT0_T1_T2_T3_T4_T5_mmT6_P12ihipStream_tbEUlT_E0_NS1_11comp_targetILNS1_3genE2ELNS1_11target_archE906ELNS1_3gpuE6ELNS1_3repE0EEENS1_30default_config_static_selectorELNS0_4arch9wavefront6targetE1EEEvSP_,"axG",@progbits,_ZN7rocprim17ROCPRIM_400000_NS6detail17trampoline_kernelINS0_14default_configENS1_21merge_config_selectorIxNS0_10empty_typeEEEZNS1_10merge_implIS3_N6thrust23THRUST_200600_302600_NS6detail15normal_iteratorINS9_10device_ptrIKxEEEESF_NSB_INSC_IxEEEEPS5_SI_SI_NS9_7greaterIxEEEE10hipError_tPvRmT0_T1_T2_T3_T4_T5_mmT6_P12ihipStream_tbEUlT_E0_NS1_11comp_targetILNS1_3genE2ELNS1_11target_archE906ELNS1_3gpuE6ELNS1_3repE0EEENS1_30default_config_static_selectorELNS0_4arch9wavefront6targetE1EEEvSP_,comdat
.Lfunc_end564:
	.size	_ZN7rocprim17ROCPRIM_400000_NS6detail17trampoline_kernelINS0_14default_configENS1_21merge_config_selectorIxNS0_10empty_typeEEEZNS1_10merge_implIS3_N6thrust23THRUST_200600_302600_NS6detail15normal_iteratorINS9_10device_ptrIKxEEEESF_NSB_INSC_IxEEEEPS5_SI_SI_NS9_7greaterIxEEEE10hipError_tPvRmT0_T1_T2_T3_T4_T5_mmT6_P12ihipStream_tbEUlT_E0_NS1_11comp_targetILNS1_3genE2ELNS1_11target_archE906ELNS1_3gpuE6ELNS1_3repE0EEENS1_30default_config_static_selectorELNS0_4arch9wavefront6targetE1EEEvSP_, .Lfunc_end564-_ZN7rocprim17ROCPRIM_400000_NS6detail17trampoline_kernelINS0_14default_configENS1_21merge_config_selectorIxNS0_10empty_typeEEEZNS1_10merge_implIS3_N6thrust23THRUST_200600_302600_NS6detail15normal_iteratorINS9_10device_ptrIKxEEEESF_NSB_INSC_IxEEEEPS5_SI_SI_NS9_7greaterIxEEEE10hipError_tPvRmT0_T1_T2_T3_T4_T5_mmT6_P12ihipStream_tbEUlT_E0_NS1_11comp_targetILNS1_3genE2ELNS1_11target_archE906ELNS1_3gpuE6ELNS1_3repE0EEENS1_30default_config_static_selectorELNS0_4arch9wavefront6targetE1EEEvSP_
                                        ; -- End function
	.section	.AMDGPU.csdata,"",@progbits
; Kernel info:
; codeLenInByte = 0
; NumSgprs: 4
; NumVgprs: 0
; NumAgprs: 0
; TotalNumVgprs: 0
; ScratchSize: 0
; MemoryBound: 0
; FloatMode: 240
; IeeeMode: 1
; LDSByteSize: 0 bytes/workgroup (compile time only)
; SGPRBlocks: 0
; VGPRBlocks: 0
; NumSGPRsForWavesPerEU: 4
; NumVGPRsForWavesPerEU: 1
; AccumOffset: 4
; Occupancy: 8
; WaveLimiterHint : 0
; COMPUTE_PGM_RSRC2:SCRATCH_EN: 0
; COMPUTE_PGM_RSRC2:USER_SGPR: 6
; COMPUTE_PGM_RSRC2:TRAP_HANDLER: 0
; COMPUTE_PGM_RSRC2:TGID_X_EN: 1
; COMPUTE_PGM_RSRC2:TGID_Y_EN: 0
; COMPUTE_PGM_RSRC2:TGID_Z_EN: 0
; COMPUTE_PGM_RSRC2:TIDIG_COMP_CNT: 0
; COMPUTE_PGM_RSRC3_GFX90A:ACCUM_OFFSET: 0
; COMPUTE_PGM_RSRC3_GFX90A:TG_SPLIT: 0
	.section	.text._ZN7rocprim17ROCPRIM_400000_NS6detail17trampoline_kernelINS0_14default_configENS1_21merge_config_selectorIxNS0_10empty_typeEEEZNS1_10merge_implIS3_N6thrust23THRUST_200600_302600_NS6detail15normal_iteratorINS9_10device_ptrIKxEEEESF_NSB_INSC_IxEEEEPS5_SI_SI_NS9_7greaterIxEEEE10hipError_tPvRmT0_T1_T2_T3_T4_T5_mmT6_P12ihipStream_tbEUlT_E0_NS1_11comp_targetILNS1_3genE10ELNS1_11target_archE1201ELNS1_3gpuE5ELNS1_3repE0EEENS1_30default_config_static_selectorELNS0_4arch9wavefront6targetE1EEEvSP_,"axG",@progbits,_ZN7rocprim17ROCPRIM_400000_NS6detail17trampoline_kernelINS0_14default_configENS1_21merge_config_selectorIxNS0_10empty_typeEEEZNS1_10merge_implIS3_N6thrust23THRUST_200600_302600_NS6detail15normal_iteratorINS9_10device_ptrIKxEEEESF_NSB_INSC_IxEEEEPS5_SI_SI_NS9_7greaterIxEEEE10hipError_tPvRmT0_T1_T2_T3_T4_T5_mmT6_P12ihipStream_tbEUlT_E0_NS1_11comp_targetILNS1_3genE10ELNS1_11target_archE1201ELNS1_3gpuE5ELNS1_3repE0EEENS1_30default_config_static_selectorELNS0_4arch9wavefront6targetE1EEEvSP_,comdat
	.protected	_ZN7rocprim17ROCPRIM_400000_NS6detail17trampoline_kernelINS0_14default_configENS1_21merge_config_selectorIxNS0_10empty_typeEEEZNS1_10merge_implIS3_N6thrust23THRUST_200600_302600_NS6detail15normal_iteratorINS9_10device_ptrIKxEEEESF_NSB_INSC_IxEEEEPS5_SI_SI_NS9_7greaterIxEEEE10hipError_tPvRmT0_T1_T2_T3_T4_T5_mmT6_P12ihipStream_tbEUlT_E0_NS1_11comp_targetILNS1_3genE10ELNS1_11target_archE1201ELNS1_3gpuE5ELNS1_3repE0EEENS1_30default_config_static_selectorELNS0_4arch9wavefront6targetE1EEEvSP_ ; -- Begin function _ZN7rocprim17ROCPRIM_400000_NS6detail17trampoline_kernelINS0_14default_configENS1_21merge_config_selectorIxNS0_10empty_typeEEEZNS1_10merge_implIS3_N6thrust23THRUST_200600_302600_NS6detail15normal_iteratorINS9_10device_ptrIKxEEEESF_NSB_INSC_IxEEEEPS5_SI_SI_NS9_7greaterIxEEEE10hipError_tPvRmT0_T1_T2_T3_T4_T5_mmT6_P12ihipStream_tbEUlT_E0_NS1_11comp_targetILNS1_3genE10ELNS1_11target_archE1201ELNS1_3gpuE5ELNS1_3repE0EEENS1_30default_config_static_selectorELNS0_4arch9wavefront6targetE1EEEvSP_
	.globl	_ZN7rocprim17ROCPRIM_400000_NS6detail17trampoline_kernelINS0_14default_configENS1_21merge_config_selectorIxNS0_10empty_typeEEEZNS1_10merge_implIS3_N6thrust23THRUST_200600_302600_NS6detail15normal_iteratorINS9_10device_ptrIKxEEEESF_NSB_INSC_IxEEEEPS5_SI_SI_NS9_7greaterIxEEEE10hipError_tPvRmT0_T1_T2_T3_T4_T5_mmT6_P12ihipStream_tbEUlT_E0_NS1_11comp_targetILNS1_3genE10ELNS1_11target_archE1201ELNS1_3gpuE5ELNS1_3repE0EEENS1_30default_config_static_selectorELNS0_4arch9wavefront6targetE1EEEvSP_
	.p2align	8
	.type	_ZN7rocprim17ROCPRIM_400000_NS6detail17trampoline_kernelINS0_14default_configENS1_21merge_config_selectorIxNS0_10empty_typeEEEZNS1_10merge_implIS3_N6thrust23THRUST_200600_302600_NS6detail15normal_iteratorINS9_10device_ptrIKxEEEESF_NSB_INSC_IxEEEEPS5_SI_SI_NS9_7greaterIxEEEE10hipError_tPvRmT0_T1_T2_T3_T4_T5_mmT6_P12ihipStream_tbEUlT_E0_NS1_11comp_targetILNS1_3genE10ELNS1_11target_archE1201ELNS1_3gpuE5ELNS1_3repE0EEENS1_30default_config_static_selectorELNS0_4arch9wavefront6targetE1EEEvSP_,@function
_ZN7rocprim17ROCPRIM_400000_NS6detail17trampoline_kernelINS0_14default_configENS1_21merge_config_selectorIxNS0_10empty_typeEEEZNS1_10merge_implIS3_N6thrust23THRUST_200600_302600_NS6detail15normal_iteratorINS9_10device_ptrIKxEEEESF_NSB_INSC_IxEEEEPS5_SI_SI_NS9_7greaterIxEEEE10hipError_tPvRmT0_T1_T2_T3_T4_T5_mmT6_P12ihipStream_tbEUlT_E0_NS1_11comp_targetILNS1_3genE10ELNS1_11target_archE1201ELNS1_3gpuE5ELNS1_3repE0EEENS1_30default_config_static_selectorELNS0_4arch9wavefront6targetE1EEEvSP_: ; @_ZN7rocprim17ROCPRIM_400000_NS6detail17trampoline_kernelINS0_14default_configENS1_21merge_config_selectorIxNS0_10empty_typeEEEZNS1_10merge_implIS3_N6thrust23THRUST_200600_302600_NS6detail15normal_iteratorINS9_10device_ptrIKxEEEESF_NSB_INSC_IxEEEEPS5_SI_SI_NS9_7greaterIxEEEE10hipError_tPvRmT0_T1_T2_T3_T4_T5_mmT6_P12ihipStream_tbEUlT_E0_NS1_11comp_targetILNS1_3genE10ELNS1_11target_archE1201ELNS1_3gpuE5ELNS1_3repE0EEENS1_30default_config_static_selectorELNS0_4arch9wavefront6targetE1EEEvSP_
; %bb.0:
	.section	.rodata,"a",@progbits
	.p2align	6, 0x0
	.amdhsa_kernel _ZN7rocprim17ROCPRIM_400000_NS6detail17trampoline_kernelINS0_14default_configENS1_21merge_config_selectorIxNS0_10empty_typeEEEZNS1_10merge_implIS3_N6thrust23THRUST_200600_302600_NS6detail15normal_iteratorINS9_10device_ptrIKxEEEESF_NSB_INSC_IxEEEEPS5_SI_SI_NS9_7greaterIxEEEE10hipError_tPvRmT0_T1_T2_T3_T4_T5_mmT6_P12ihipStream_tbEUlT_E0_NS1_11comp_targetILNS1_3genE10ELNS1_11target_archE1201ELNS1_3gpuE5ELNS1_3repE0EEENS1_30default_config_static_selectorELNS0_4arch9wavefront6targetE1EEEvSP_
		.amdhsa_group_segment_fixed_size 0
		.amdhsa_private_segment_fixed_size 0
		.amdhsa_kernarg_size 88
		.amdhsa_user_sgpr_count 6
		.amdhsa_user_sgpr_private_segment_buffer 1
		.amdhsa_user_sgpr_dispatch_ptr 0
		.amdhsa_user_sgpr_queue_ptr 0
		.amdhsa_user_sgpr_kernarg_segment_ptr 1
		.amdhsa_user_sgpr_dispatch_id 0
		.amdhsa_user_sgpr_flat_scratch_init 0
		.amdhsa_user_sgpr_kernarg_preload_length 0
		.amdhsa_user_sgpr_kernarg_preload_offset 0
		.amdhsa_user_sgpr_private_segment_size 0
		.amdhsa_uses_dynamic_stack 0
		.amdhsa_system_sgpr_private_segment_wavefront_offset 0
		.amdhsa_system_sgpr_workgroup_id_x 1
		.amdhsa_system_sgpr_workgroup_id_y 0
		.amdhsa_system_sgpr_workgroup_id_z 0
		.amdhsa_system_sgpr_workgroup_info 0
		.amdhsa_system_vgpr_workitem_id 0
		.amdhsa_next_free_vgpr 1
		.amdhsa_next_free_sgpr 0
		.amdhsa_accum_offset 4
		.amdhsa_reserve_vcc 0
		.amdhsa_reserve_flat_scratch 0
		.amdhsa_float_round_mode_32 0
		.amdhsa_float_round_mode_16_64 0
		.amdhsa_float_denorm_mode_32 3
		.amdhsa_float_denorm_mode_16_64 3
		.amdhsa_dx10_clamp 1
		.amdhsa_ieee_mode 1
		.amdhsa_fp16_overflow 0
		.amdhsa_tg_split 0
		.amdhsa_exception_fp_ieee_invalid_op 0
		.amdhsa_exception_fp_denorm_src 0
		.amdhsa_exception_fp_ieee_div_zero 0
		.amdhsa_exception_fp_ieee_overflow 0
		.amdhsa_exception_fp_ieee_underflow 0
		.amdhsa_exception_fp_ieee_inexact 0
		.amdhsa_exception_int_div_zero 0
	.end_amdhsa_kernel
	.section	.text._ZN7rocprim17ROCPRIM_400000_NS6detail17trampoline_kernelINS0_14default_configENS1_21merge_config_selectorIxNS0_10empty_typeEEEZNS1_10merge_implIS3_N6thrust23THRUST_200600_302600_NS6detail15normal_iteratorINS9_10device_ptrIKxEEEESF_NSB_INSC_IxEEEEPS5_SI_SI_NS9_7greaterIxEEEE10hipError_tPvRmT0_T1_T2_T3_T4_T5_mmT6_P12ihipStream_tbEUlT_E0_NS1_11comp_targetILNS1_3genE10ELNS1_11target_archE1201ELNS1_3gpuE5ELNS1_3repE0EEENS1_30default_config_static_selectorELNS0_4arch9wavefront6targetE1EEEvSP_,"axG",@progbits,_ZN7rocprim17ROCPRIM_400000_NS6detail17trampoline_kernelINS0_14default_configENS1_21merge_config_selectorIxNS0_10empty_typeEEEZNS1_10merge_implIS3_N6thrust23THRUST_200600_302600_NS6detail15normal_iteratorINS9_10device_ptrIKxEEEESF_NSB_INSC_IxEEEEPS5_SI_SI_NS9_7greaterIxEEEE10hipError_tPvRmT0_T1_T2_T3_T4_T5_mmT6_P12ihipStream_tbEUlT_E0_NS1_11comp_targetILNS1_3genE10ELNS1_11target_archE1201ELNS1_3gpuE5ELNS1_3repE0EEENS1_30default_config_static_selectorELNS0_4arch9wavefront6targetE1EEEvSP_,comdat
.Lfunc_end565:
	.size	_ZN7rocprim17ROCPRIM_400000_NS6detail17trampoline_kernelINS0_14default_configENS1_21merge_config_selectorIxNS0_10empty_typeEEEZNS1_10merge_implIS3_N6thrust23THRUST_200600_302600_NS6detail15normal_iteratorINS9_10device_ptrIKxEEEESF_NSB_INSC_IxEEEEPS5_SI_SI_NS9_7greaterIxEEEE10hipError_tPvRmT0_T1_T2_T3_T4_T5_mmT6_P12ihipStream_tbEUlT_E0_NS1_11comp_targetILNS1_3genE10ELNS1_11target_archE1201ELNS1_3gpuE5ELNS1_3repE0EEENS1_30default_config_static_selectorELNS0_4arch9wavefront6targetE1EEEvSP_, .Lfunc_end565-_ZN7rocprim17ROCPRIM_400000_NS6detail17trampoline_kernelINS0_14default_configENS1_21merge_config_selectorIxNS0_10empty_typeEEEZNS1_10merge_implIS3_N6thrust23THRUST_200600_302600_NS6detail15normal_iteratorINS9_10device_ptrIKxEEEESF_NSB_INSC_IxEEEEPS5_SI_SI_NS9_7greaterIxEEEE10hipError_tPvRmT0_T1_T2_T3_T4_T5_mmT6_P12ihipStream_tbEUlT_E0_NS1_11comp_targetILNS1_3genE10ELNS1_11target_archE1201ELNS1_3gpuE5ELNS1_3repE0EEENS1_30default_config_static_selectorELNS0_4arch9wavefront6targetE1EEEvSP_
                                        ; -- End function
	.section	.AMDGPU.csdata,"",@progbits
; Kernel info:
; codeLenInByte = 0
; NumSgprs: 4
; NumVgprs: 0
; NumAgprs: 0
; TotalNumVgprs: 0
; ScratchSize: 0
; MemoryBound: 0
; FloatMode: 240
; IeeeMode: 1
; LDSByteSize: 0 bytes/workgroup (compile time only)
; SGPRBlocks: 0
; VGPRBlocks: 0
; NumSGPRsForWavesPerEU: 4
; NumVGPRsForWavesPerEU: 1
; AccumOffset: 4
; Occupancy: 8
; WaveLimiterHint : 0
; COMPUTE_PGM_RSRC2:SCRATCH_EN: 0
; COMPUTE_PGM_RSRC2:USER_SGPR: 6
; COMPUTE_PGM_RSRC2:TRAP_HANDLER: 0
; COMPUTE_PGM_RSRC2:TGID_X_EN: 1
; COMPUTE_PGM_RSRC2:TGID_Y_EN: 0
; COMPUTE_PGM_RSRC2:TGID_Z_EN: 0
; COMPUTE_PGM_RSRC2:TIDIG_COMP_CNT: 0
; COMPUTE_PGM_RSRC3_GFX90A:ACCUM_OFFSET: 0
; COMPUTE_PGM_RSRC3_GFX90A:TG_SPLIT: 0
	.section	.text._ZN7rocprim17ROCPRIM_400000_NS6detail17trampoline_kernelINS0_14default_configENS1_21merge_config_selectorIxNS0_10empty_typeEEEZNS1_10merge_implIS3_N6thrust23THRUST_200600_302600_NS6detail15normal_iteratorINS9_10device_ptrIKxEEEESF_NSB_INSC_IxEEEEPS5_SI_SI_NS9_7greaterIxEEEE10hipError_tPvRmT0_T1_T2_T3_T4_T5_mmT6_P12ihipStream_tbEUlT_E0_NS1_11comp_targetILNS1_3genE10ELNS1_11target_archE1200ELNS1_3gpuE4ELNS1_3repE0EEENS1_30default_config_static_selectorELNS0_4arch9wavefront6targetE1EEEvSP_,"axG",@progbits,_ZN7rocprim17ROCPRIM_400000_NS6detail17trampoline_kernelINS0_14default_configENS1_21merge_config_selectorIxNS0_10empty_typeEEEZNS1_10merge_implIS3_N6thrust23THRUST_200600_302600_NS6detail15normal_iteratorINS9_10device_ptrIKxEEEESF_NSB_INSC_IxEEEEPS5_SI_SI_NS9_7greaterIxEEEE10hipError_tPvRmT0_T1_T2_T3_T4_T5_mmT6_P12ihipStream_tbEUlT_E0_NS1_11comp_targetILNS1_3genE10ELNS1_11target_archE1200ELNS1_3gpuE4ELNS1_3repE0EEENS1_30default_config_static_selectorELNS0_4arch9wavefront6targetE1EEEvSP_,comdat
	.protected	_ZN7rocprim17ROCPRIM_400000_NS6detail17trampoline_kernelINS0_14default_configENS1_21merge_config_selectorIxNS0_10empty_typeEEEZNS1_10merge_implIS3_N6thrust23THRUST_200600_302600_NS6detail15normal_iteratorINS9_10device_ptrIKxEEEESF_NSB_INSC_IxEEEEPS5_SI_SI_NS9_7greaterIxEEEE10hipError_tPvRmT0_T1_T2_T3_T4_T5_mmT6_P12ihipStream_tbEUlT_E0_NS1_11comp_targetILNS1_3genE10ELNS1_11target_archE1200ELNS1_3gpuE4ELNS1_3repE0EEENS1_30default_config_static_selectorELNS0_4arch9wavefront6targetE1EEEvSP_ ; -- Begin function _ZN7rocprim17ROCPRIM_400000_NS6detail17trampoline_kernelINS0_14default_configENS1_21merge_config_selectorIxNS0_10empty_typeEEEZNS1_10merge_implIS3_N6thrust23THRUST_200600_302600_NS6detail15normal_iteratorINS9_10device_ptrIKxEEEESF_NSB_INSC_IxEEEEPS5_SI_SI_NS9_7greaterIxEEEE10hipError_tPvRmT0_T1_T2_T3_T4_T5_mmT6_P12ihipStream_tbEUlT_E0_NS1_11comp_targetILNS1_3genE10ELNS1_11target_archE1200ELNS1_3gpuE4ELNS1_3repE0EEENS1_30default_config_static_selectorELNS0_4arch9wavefront6targetE1EEEvSP_
	.globl	_ZN7rocprim17ROCPRIM_400000_NS6detail17trampoline_kernelINS0_14default_configENS1_21merge_config_selectorIxNS0_10empty_typeEEEZNS1_10merge_implIS3_N6thrust23THRUST_200600_302600_NS6detail15normal_iteratorINS9_10device_ptrIKxEEEESF_NSB_INSC_IxEEEEPS5_SI_SI_NS9_7greaterIxEEEE10hipError_tPvRmT0_T1_T2_T3_T4_T5_mmT6_P12ihipStream_tbEUlT_E0_NS1_11comp_targetILNS1_3genE10ELNS1_11target_archE1200ELNS1_3gpuE4ELNS1_3repE0EEENS1_30default_config_static_selectorELNS0_4arch9wavefront6targetE1EEEvSP_
	.p2align	8
	.type	_ZN7rocprim17ROCPRIM_400000_NS6detail17trampoline_kernelINS0_14default_configENS1_21merge_config_selectorIxNS0_10empty_typeEEEZNS1_10merge_implIS3_N6thrust23THRUST_200600_302600_NS6detail15normal_iteratorINS9_10device_ptrIKxEEEESF_NSB_INSC_IxEEEEPS5_SI_SI_NS9_7greaterIxEEEE10hipError_tPvRmT0_T1_T2_T3_T4_T5_mmT6_P12ihipStream_tbEUlT_E0_NS1_11comp_targetILNS1_3genE10ELNS1_11target_archE1200ELNS1_3gpuE4ELNS1_3repE0EEENS1_30default_config_static_selectorELNS0_4arch9wavefront6targetE1EEEvSP_,@function
_ZN7rocprim17ROCPRIM_400000_NS6detail17trampoline_kernelINS0_14default_configENS1_21merge_config_selectorIxNS0_10empty_typeEEEZNS1_10merge_implIS3_N6thrust23THRUST_200600_302600_NS6detail15normal_iteratorINS9_10device_ptrIKxEEEESF_NSB_INSC_IxEEEEPS5_SI_SI_NS9_7greaterIxEEEE10hipError_tPvRmT0_T1_T2_T3_T4_T5_mmT6_P12ihipStream_tbEUlT_E0_NS1_11comp_targetILNS1_3genE10ELNS1_11target_archE1200ELNS1_3gpuE4ELNS1_3repE0EEENS1_30default_config_static_selectorELNS0_4arch9wavefront6targetE1EEEvSP_: ; @_ZN7rocprim17ROCPRIM_400000_NS6detail17trampoline_kernelINS0_14default_configENS1_21merge_config_selectorIxNS0_10empty_typeEEEZNS1_10merge_implIS3_N6thrust23THRUST_200600_302600_NS6detail15normal_iteratorINS9_10device_ptrIKxEEEESF_NSB_INSC_IxEEEEPS5_SI_SI_NS9_7greaterIxEEEE10hipError_tPvRmT0_T1_T2_T3_T4_T5_mmT6_P12ihipStream_tbEUlT_E0_NS1_11comp_targetILNS1_3genE10ELNS1_11target_archE1200ELNS1_3gpuE4ELNS1_3repE0EEENS1_30default_config_static_selectorELNS0_4arch9wavefront6targetE1EEEvSP_
; %bb.0:
	.section	.rodata,"a",@progbits
	.p2align	6, 0x0
	.amdhsa_kernel _ZN7rocprim17ROCPRIM_400000_NS6detail17trampoline_kernelINS0_14default_configENS1_21merge_config_selectorIxNS0_10empty_typeEEEZNS1_10merge_implIS3_N6thrust23THRUST_200600_302600_NS6detail15normal_iteratorINS9_10device_ptrIKxEEEESF_NSB_INSC_IxEEEEPS5_SI_SI_NS9_7greaterIxEEEE10hipError_tPvRmT0_T1_T2_T3_T4_T5_mmT6_P12ihipStream_tbEUlT_E0_NS1_11comp_targetILNS1_3genE10ELNS1_11target_archE1200ELNS1_3gpuE4ELNS1_3repE0EEENS1_30default_config_static_selectorELNS0_4arch9wavefront6targetE1EEEvSP_
		.amdhsa_group_segment_fixed_size 0
		.amdhsa_private_segment_fixed_size 0
		.amdhsa_kernarg_size 88
		.amdhsa_user_sgpr_count 6
		.amdhsa_user_sgpr_private_segment_buffer 1
		.amdhsa_user_sgpr_dispatch_ptr 0
		.amdhsa_user_sgpr_queue_ptr 0
		.amdhsa_user_sgpr_kernarg_segment_ptr 1
		.amdhsa_user_sgpr_dispatch_id 0
		.amdhsa_user_sgpr_flat_scratch_init 0
		.amdhsa_user_sgpr_kernarg_preload_length 0
		.amdhsa_user_sgpr_kernarg_preload_offset 0
		.amdhsa_user_sgpr_private_segment_size 0
		.amdhsa_uses_dynamic_stack 0
		.amdhsa_system_sgpr_private_segment_wavefront_offset 0
		.amdhsa_system_sgpr_workgroup_id_x 1
		.amdhsa_system_sgpr_workgroup_id_y 0
		.amdhsa_system_sgpr_workgroup_id_z 0
		.amdhsa_system_sgpr_workgroup_info 0
		.amdhsa_system_vgpr_workitem_id 0
		.amdhsa_next_free_vgpr 1
		.amdhsa_next_free_sgpr 0
		.amdhsa_accum_offset 4
		.amdhsa_reserve_vcc 0
		.amdhsa_reserve_flat_scratch 0
		.amdhsa_float_round_mode_32 0
		.amdhsa_float_round_mode_16_64 0
		.amdhsa_float_denorm_mode_32 3
		.amdhsa_float_denorm_mode_16_64 3
		.amdhsa_dx10_clamp 1
		.amdhsa_ieee_mode 1
		.amdhsa_fp16_overflow 0
		.amdhsa_tg_split 0
		.amdhsa_exception_fp_ieee_invalid_op 0
		.amdhsa_exception_fp_denorm_src 0
		.amdhsa_exception_fp_ieee_div_zero 0
		.amdhsa_exception_fp_ieee_overflow 0
		.amdhsa_exception_fp_ieee_underflow 0
		.amdhsa_exception_fp_ieee_inexact 0
		.amdhsa_exception_int_div_zero 0
	.end_amdhsa_kernel
	.section	.text._ZN7rocprim17ROCPRIM_400000_NS6detail17trampoline_kernelINS0_14default_configENS1_21merge_config_selectorIxNS0_10empty_typeEEEZNS1_10merge_implIS3_N6thrust23THRUST_200600_302600_NS6detail15normal_iteratorINS9_10device_ptrIKxEEEESF_NSB_INSC_IxEEEEPS5_SI_SI_NS9_7greaterIxEEEE10hipError_tPvRmT0_T1_T2_T3_T4_T5_mmT6_P12ihipStream_tbEUlT_E0_NS1_11comp_targetILNS1_3genE10ELNS1_11target_archE1200ELNS1_3gpuE4ELNS1_3repE0EEENS1_30default_config_static_selectorELNS0_4arch9wavefront6targetE1EEEvSP_,"axG",@progbits,_ZN7rocprim17ROCPRIM_400000_NS6detail17trampoline_kernelINS0_14default_configENS1_21merge_config_selectorIxNS0_10empty_typeEEEZNS1_10merge_implIS3_N6thrust23THRUST_200600_302600_NS6detail15normal_iteratorINS9_10device_ptrIKxEEEESF_NSB_INSC_IxEEEEPS5_SI_SI_NS9_7greaterIxEEEE10hipError_tPvRmT0_T1_T2_T3_T4_T5_mmT6_P12ihipStream_tbEUlT_E0_NS1_11comp_targetILNS1_3genE10ELNS1_11target_archE1200ELNS1_3gpuE4ELNS1_3repE0EEENS1_30default_config_static_selectorELNS0_4arch9wavefront6targetE1EEEvSP_,comdat
.Lfunc_end566:
	.size	_ZN7rocprim17ROCPRIM_400000_NS6detail17trampoline_kernelINS0_14default_configENS1_21merge_config_selectorIxNS0_10empty_typeEEEZNS1_10merge_implIS3_N6thrust23THRUST_200600_302600_NS6detail15normal_iteratorINS9_10device_ptrIKxEEEESF_NSB_INSC_IxEEEEPS5_SI_SI_NS9_7greaterIxEEEE10hipError_tPvRmT0_T1_T2_T3_T4_T5_mmT6_P12ihipStream_tbEUlT_E0_NS1_11comp_targetILNS1_3genE10ELNS1_11target_archE1200ELNS1_3gpuE4ELNS1_3repE0EEENS1_30default_config_static_selectorELNS0_4arch9wavefront6targetE1EEEvSP_, .Lfunc_end566-_ZN7rocprim17ROCPRIM_400000_NS6detail17trampoline_kernelINS0_14default_configENS1_21merge_config_selectorIxNS0_10empty_typeEEEZNS1_10merge_implIS3_N6thrust23THRUST_200600_302600_NS6detail15normal_iteratorINS9_10device_ptrIKxEEEESF_NSB_INSC_IxEEEEPS5_SI_SI_NS9_7greaterIxEEEE10hipError_tPvRmT0_T1_T2_T3_T4_T5_mmT6_P12ihipStream_tbEUlT_E0_NS1_11comp_targetILNS1_3genE10ELNS1_11target_archE1200ELNS1_3gpuE4ELNS1_3repE0EEENS1_30default_config_static_selectorELNS0_4arch9wavefront6targetE1EEEvSP_
                                        ; -- End function
	.section	.AMDGPU.csdata,"",@progbits
; Kernel info:
; codeLenInByte = 0
; NumSgprs: 4
; NumVgprs: 0
; NumAgprs: 0
; TotalNumVgprs: 0
; ScratchSize: 0
; MemoryBound: 0
; FloatMode: 240
; IeeeMode: 1
; LDSByteSize: 0 bytes/workgroup (compile time only)
; SGPRBlocks: 0
; VGPRBlocks: 0
; NumSGPRsForWavesPerEU: 4
; NumVGPRsForWavesPerEU: 1
; AccumOffset: 4
; Occupancy: 8
; WaveLimiterHint : 0
; COMPUTE_PGM_RSRC2:SCRATCH_EN: 0
; COMPUTE_PGM_RSRC2:USER_SGPR: 6
; COMPUTE_PGM_RSRC2:TRAP_HANDLER: 0
; COMPUTE_PGM_RSRC2:TGID_X_EN: 1
; COMPUTE_PGM_RSRC2:TGID_Y_EN: 0
; COMPUTE_PGM_RSRC2:TGID_Z_EN: 0
; COMPUTE_PGM_RSRC2:TIDIG_COMP_CNT: 0
; COMPUTE_PGM_RSRC3_GFX90A:ACCUM_OFFSET: 0
; COMPUTE_PGM_RSRC3_GFX90A:TG_SPLIT: 0
	.section	.text._ZN7rocprim17ROCPRIM_400000_NS6detail17trampoline_kernelINS0_14default_configENS1_21merge_config_selectorIxNS0_10empty_typeEEEZNS1_10merge_implIS3_N6thrust23THRUST_200600_302600_NS6detail15normal_iteratorINS9_10device_ptrIKxEEEESF_NSB_INSC_IxEEEEPS5_SI_SI_NS9_7greaterIxEEEE10hipError_tPvRmT0_T1_T2_T3_T4_T5_mmT6_P12ihipStream_tbEUlT_E0_NS1_11comp_targetILNS1_3genE9ELNS1_11target_archE1100ELNS1_3gpuE3ELNS1_3repE0EEENS1_30default_config_static_selectorELNS0_4arch9wavefront6targetE1EEEvSP_,"axG",@progbits,_ZN7rocprim17ROCPRIM_400000_NS6detail17trampoline_kernelINS0_14default_configENS1_21merge_config_selectorIxNS0_10empty_typeEEEZNS1_10merge_implIS3_N6thrust23THRUST_200600_302600_NS6detail15normal_iteratorINS9_10device_ptrIKxEEEESF_NSB_INSC_IxEEEEPS5_SI_SI_NS9_7greaterIxEEEE10hipError_tPvRmT0_T1_T2_T3_T4_T5_mmT6_P12ihipStream_tbEUlT_E0_NS1_11comp_targetILNS1_3genE9ELNS1_11target_archE1100ELNS1_3gpuE3ELNS1_3repE0EEENS1_30default_config_static_selectorELNS0_4arch9wavefront6targetE1EEEvSP_,comdat
	.protected	_ZN7rocprim17ROCPRIM_400000_NS6detail17trampoline_kernelINS0_14default_configENS1_21merge_config_selectorIxNS0_10empty_typeEEEZNS1_10merge_implIS3_N6thrust23THRUST_200600_302600_NS6detail15normal_iteratorINS9_10device_ptrIKxEEEESF_NSB_INSC_IxEEEEPS5_SI_SI_NS9_7greaterIxEEEE10hipError_tPvRmT0_T1_T2_T3_T4_T5_mmT6_P12ihipStream_tbEUlT_E0_NS1_11comp_targetILNS1_3genE9ELNS1_11target_archE1100ELNS1_3gpuE3ELNS1_3repE0EEENS1_30default_config_static_selectorELNS0_4arch9wavefront6targetE1EEEvSP_ ; -- Begin function _ZN7rocprim17ROCPRIM_400000_NS6detail17trampoline_kernelINS0_14default_configENS1_21merge_config_selectorIxNS0_10empty_typeEEEZNS1_10merge_implIS3_N6thrust23THRUST_200600_302600_NS6detail15normal_iteratorINS9_10device_ptrIKxEEEESF_NSB_INSC_IxEEEEPS5_SI_SI_NS9_7greaterIxEEEE10hipError_tPvRmT0_T1_T2_T3_T4_T5_mmT6_P12ihipStream_tbEUlT_E0_NS1_11comp_targetILNS1_3genE9ELNS1_11target_archE1100ELNS1_3gpuE3ELNS1_3repE0EEENS1_30default_config_static_selectorELNS0_4arch9wavefront6targetE1EEEvSP_
	.globl	_ZN7rocprim17ROCPRIM_400000_NS6detail17trampoline_kernelINS0_14default_configENS1_21merge_config_selectorIxNS0_10empty_typeEEEZNS1_10merge_implIS3_N6thrust23THRUST_200600_302600_NS6detail15normal_iteratorINS9_10device_ptrIKxEEEESF_NSB_INSC_IxEEEEPS5_SI_SI_NS9_7greaterIxEEEE10hipError_tPvRmT0_T1_T2_T3_T4_T5_mmT6_P12ihipStream_tbEUlT_E0_NS1_11comp_targetILNS1_3genE9ELNS1_11target_archE1100ELNS1_3gpuE3ELNS1_3repE0EEENS1_30default_config_static_selectorELNS0_4arch9wavefront6targetE1EEEvSP_
	.p2align	8
	.type	_ZN7rocprim17ROCPRIM_400000_NS6detail17trampoline_kernelINS0_14default_configENS1_21merge_config_selectorIxNS0_10empty_typeEEEZNS1_10merge_implIS3_N6thrust23THRUST_200600_302600_NS6detail15normal_iteratorINS9_10device_ptrIKxEEEESF_NSB_INSC_IxEEEEPS5_SI_SI_NS9_7greaterIxEEEE10hipError_tPvRmT0_T1_T2_T3_T4_T5_mmT6_P12ihipStream_tbEUlT_E0_NS1_11comp_targetILNS1_3genE9ELNS1_11target_archE1100ELNS1_3gpuE3ELNS1_3repE0EEENS1_30default_config_static_selectorELNS0_4arch9wavefront6targetE1EEEvSP_,@function
_ZN7rocprim17ROCPRIM_400000_NS6detail17trampoline_kernelINS0_14default_configENS1_21merge_config_selectorIxNS0_10empty_typeEEEZNS1_10merge_implIS3_N6thrust23THRUST_200600_302600_NS6detail15normal_iteratorINS9_10device_ptrIKxEEEESF_NSB_INSC_IxEEEEPS5_SI_SI_NS9_7greaterIxEEEE10hipError_tPvRmT0_T1_T2_T3_T4_T5_mmT6_P12ihipStream_tbEUlT_E0_NS1_11comp_targetILNS1_3genE9ELNS1_11target_archE1100ELNS1_3gpuE3ELNS1_3repE0EEENS1_30default_config_static_selectorELNS0_4arch9wavefront6targetE1EEEvSP_: ; @_ZN7rocprim17ROCPRIM_400000_NS6detail17trampoline_kernelINS0_14default_configENS1_21merge_config_selectorIxNS0_10empty_typeEEEZNS1_10merge_implIS3_N6thrust23THRUST_200600_302600_NS6detail15normal_iteratorINS9_10device_ptrIKxEEEESF_NSB_INSC_IxEEEEPS5_SI_SI_NS9_7greaterIxEEEE10hipError_tPvRmT0_T1_T2_T3_T4_T5_mmT6_P12ihipStream_tbEUlT_E0_NS1_11comp_targetILNS1_3genE9ELNS1_11target_archE1100ELNS1_3gpuE3ELNS1_3repE0EEENS1_30default_config_static_selectorELNS0_4arch9wavefront6targetE1EEEvSP_
; %bb.0:
	.section	.rodata,"a",@progbits
	.p2align	6, 0x0
	.amdhsa_kernel _ZN7rocprim17ROCPRIM_400000_NS6detail17trampoline_kernelINS0_14default_configENS1_21merge_config_selectorIxNS0_10empty_typeEEEZNS1_10merge_implIS3_N6thrust23THRUST_200600_302600_NS6detail15normal_iteratorINS9_10device_ptrIKxEEEESF_NSB_INSC_IxEEEEPS5_SI_SI_NS9_7greaterIxEEEE10hipError_tPvRmT0_T1_T2_T3_T4_T5_mmT6_P12ihipStream_tbEUlT_E0_NS1_11comp_targetILNS1_3genE9ELNS1_11target_archE1100ELNS1_3gpuE3ELNS1_3repE0EEENS1_30default_config_static_selectorELNS0_4arch9wavefront6targetE1EEEvSP_
		.amdhsa_group_segment_fixed_size 0
		.amdhsa_private_segment_fixed_size 0
		.amdhsa_kernarg_size 88
		.amdhsa_user_sgpr_count 6
		.amdhsa_user_sgpr_private_segment_buffer 1
		.amdhsa_user_sgpr_dispatch_ptr 0
		.amdhsa_user_sgpr_queue_ptr 0
		.amdhsa_user_sgpr_kernarg_segment_ptr 1
		.amdhsa_user_sgpr_dispatch_id 0
		.amdhsa_user_sgpr_flat_scratch_init 0
		.amdhsa_user_sgpr_kernarg_preload_length 0
		.amdhsa_user_sgpr_kernarg_preload_offset 0
		.amdhsa_user_sgpr_private_segment_size 0
		.amdhsa_uses_dynamic_stack 0
		.amdhsa_system_sgpr_private_segment_wavefront_offset 0
		.amdhsa_system_sgpr_workgroup_id_x 1
		.amdhsa_system_sgpr_workgroup_id_y 0
		.amdhsa_system_sgpr_workgroup_id_z 0
		.amdhsa_system_sgpr_workgroup_info 0
		.amdhsa_system_vgpr_workitem_id 0
		.amdhsa_next_free_vgpr 1
		.amdhsa_next_free_sgpr 0
		.amdhsa_accum_offset 4
		.amdhsa_reserve_vcc 0
		.amdhsa_reserve_flat_scratch 0
		.amdhsa_float_round_mode_32 0
		.amdhsa_float_round_mode_16_64 0
		.amdhsa_float_denorm_mode_32 3
		.amdhsa_float_denorm_mode_16_64 3
		.amdhsa_dx10_clamp 1
		.amdhsa_ieee_mode 1
		.amdhsa_fp16_overflow 0
		.amdhsa_tg_split 0
		.amdhsa_exception_fp_ieee_invalid_op 0
		.amdhsa_exception_fp_denorm_src 0
		.amdhsa_exception_fp_ieee_div_zero 0
		.amdhsa_exception_fp_ieee_overflow 0
		.amdhsa_exception_fp_ieee_underflow 0
		.amdhsa_exception_fp_ieee_inexact 0
		.amdhsa_exception_int_div_zero 0
	.end_amdhsa_kernel
	.section	.text._ZN7rocprim17ROCPRIM_400000_NS6detail17trampoline_kernelINS0_14default_configENS1_21merge_config_selectorIxNS0_10empty_typeEEEZNS1_10merge_implIS3_N6thrust23THRUST_200600_302600_NS6detail15normal_iteratorINS9_10device_ptrIKxEEEESF_NSB_INSC_IxEEEEPS5_SI_SI_NS9_7greaterIxEEEE10hipError_tPvRmT0_T1_T2_T3_T4_T5_mmT6_P12ihipStream_tbEUlT_E0_NS1_11comp_targetILNS1_3genE9ELNS1_11target_archE1100ELNS1_3gpuE3ELNS1_3repE0EEENS1_30default_config_static_selectorELNS0_4arch9wavefront6targetE1EEEvSP_,"axG",@progbits,_ZN7rocprim17ROCPRIM_400000_NS6detail17trampoline_kernelINS0_14default_configENS1_21merge_config_selectorIxNS0_10empty_typeEEEZNS1_10merge_implIS3_N6thrust23THRUST_200600_302600_NS6detail15normal_iteratorINS9_10device_ptrIKxEEEESF_NSB_INSC_IxEEEEPS5_SI_SI_NS9_7greaterIxEEEE10hipError_tPvRmT0_T1_T2_T3_T4_T5_mmT6_P12ihipStream_tbEUlT_E0_NS1_11comp_targetILNS1_3genE9ELNS1_11target_archE1100ELNS1_3gpuE3ELNS1_3repE0EEENS1_30default_config_static_selectorELNS0_4arch9wavefront6targetE1EEEvSP_,comdat
.Lfunc_end567:
	.size	_ZN7rocprim17ROCPRIM_400000_NS6detail17trampoline_kernelINS0_14default_configENS1_21merge_config_selectorIxNS0_10empty_typeEEEZNS1_10merge_implIS3_N6thrust23THRUST_200600_302600_NS6detail15normal_iteratorINS9_10device_ptrIKxEEEESF_NSB_INSC_IxEEEEPS5_SI_SI_NS9_7greaterIxEEEE10hipError_tPvRmT0_T1_T2_T3_T4_T5_mmT6_P12ihipStream_tbEUlT_E0_NS1_11comp_targetILNS1_3genE9ELNS1_11target_archE1100ELNS1_3gpuE3ELNS1_3repE0EEENS1_30default_config_static_selectorELNS0_4arch9wavefront6targetE1EEEvSP_, .Lfunc_end567-_ZN7rocprim17ROCPRIM_400000_NS6detail17trampoline_kernelINS0_14default_configENS1_21merge_config_selectorIxNS0_10empty_typeEEEZNS1_10merge_implIS3_N6thrust23THRUST_200600_302600_NS6detail15normal_iteratorINS9_10device_ptrIKxEEEESF_NSB_INSC_IxEEEEPS5_SI_SI_NS9_7greaterIxEEEE10hipError_tPvRmT0_T1_T2_T3_T4_T5_mmT6_P12ihipStream_tbEUlT_E0_NS1_11comp_targetILNS1_3genE9ELNS1_11target_archE1100ELNS1_3gpuE3ELNS1_3repE0EEENS1_30default_config_static_selectorELNS0_4arch9wavefront6targetE1EEEvSP_
                                        ; -- End function
	.section	.AMDGPU.csdata,"",@progbits
; Kernel info:
; codeLenInByte = 0
; NumSgprs: 4
; NumVgprs: 0
; NumAgprs: 0
; TotalNumVgprs: 0
; ScratchSize: 0
; MemoryBound: 0
; FloatMode: 240
; IeeeMode: 1
; LDSByteSize: 0 bytes/workgroup (compile time only)
; SGPRBlocks: 0
; VGPRBlocks: 0
; NumSGPRsForWavesPerEU: 4
; NumVGPRsForWavesPerEU: 1
; AccumOffset: 4
; Occupancy: 8
; WaveLimiterHint : 0
; COMPUTE_PGM_RSRC2:SCRATCH_EN: 0
; COMPUTE_PGM_RSRC2:USER_SGPR: 6
; COMPUTE_PGM_RSRC2:TRAP_HANDLER: 0
; COMPUTE_PGM_RSRC2:TGID_X_EN: 1
; COMPUTE_PGM_RSRC2:TGID_Y_EN: 0
; COMPUTE_PGM_RSRC2:TGID_Z_EN: 0
; COMPUTE_PGM_RSRC2:TIDIG_COMP_CNT: 0
; COMPUTE_PGM_RSRC3_GFX90A:ACCUM_OFFSET: 0
; COMPUTE_PGM_RSRC3_GFX90A:TG_SPLIT: 0
	.section	.text._ZN7rocprim17ROCPRIM_400000_NS6detail17trampoline_kernelINS0_14default_configENS1_21merge_config_selectorIxNS0_10empty_typeEEEZNS1_10merge_implIS3_N6thrust23THRUST_200600_302600_NS6detail15normal_iteratorINS9_10device_ptrIKxEEEESF_NSB_INSC_IxEEEEPS5_SI_SI_NS9_7greaterIxEEEE10hipError_tPvRmT0_T1_T2_T3_T4_T5_mmT6_P12ihipStream_tbEUlT_E0_NS1_11comp_targetILNS1_3genE8ELNS1_11target_archE1030ELNS1_3gpuE2ELNS1_3repE0EEENS1_30default_config_static_selectorELNS0_4arch9wavefront6targetE1EEEvSP_,"axG",@progbits,_ZN7rocprim17ROCPRIM_400000_NS6detail17trampoline_kernelINS0_14default_configENS1_21merge_config_selectorIxNS0_10empty_typeEEEZNS1_10merge_implIS3_N6thrust23THRUST_200600_302600_NS6detail15normal_iteratorINS9_10device_ptrIKxEEEESF_NSB_INSC_IxEEEEPS5_SI_SI_NS9_7greaterIxEEEE10hipError_tPvRmT0_T1_T2_T3_T4_T5_mmT6_P12ihipStream_tbEUlT_E0_NS1_11comp_targetILNS1_3genE8ELNS1_11target_archE1030ELNS1_3gpuE2ELNS1_3repE0EEENS1_30default_config_static_selectorELNS0_4arch9wavefront6targetE1EEEvSP_,comdat
	.protected	_ZN7rocprim17ROCPRIM_400000_NS6detail17trampoline_kernelINS0_14default_configENS1_21merge_config_selectorIxNS0_10empty_typeEEEZNS1_10merge_implIS3_N6thrust23THRUST_200600_302600_NS6detail15normal_iteratorINS9_10device_ptrIKxEEEESF_NSB_INSC_IxEEEEPS5_SI_SI_NS9_7greaterIxEEEE10hipError_tPvRmT0_T1_T2_T3_T4_T5_mmT6_P12ihipStream_tbEUlT_E0_NS1_11comp_targetILNS1_3genE8ELNS1_11target_archE1030ELNS1_3gpuE2ELNS1_3repE0EEENS1_30default_config_static_selectorELNS0_4arch9wavefront6targetE1EEEvSP_ ; -- Begin function _ZN7rocprim17ROCPRIM_400000_NS6detail17trampoline_kernelINS0_14default_configENS1_21merge_config_selectorIxNS0_10empty_typeEEEZNS1_10merge_implIS3_N6thrust23THRUST_200600_302600_NS6detail15normal_iteratorINS9_10device_ptrIKxEEEESF_NSB_INSC_IxEEEEPS5_SI_SI_NS9_7greaterIxEEEE10hipError_tPvRmT0_T1_T2_T3_T4_T5_mmT6_P12ihipStream_tbEUlT_E0_NS1_11comp_targetILNS1_3genE8ELNS1_11target_archE1030ELNS1_3gpuE2ELNS1_3repE0EEENS1_30default_config_static_selectorELNS0_4arch9wavefront6targetE1EEEvSP_
	.globl	_ZN7rocprim17ROCPRIM_400000_NS6detail17trampoline_kernelINS0_14default_configENS1_21merge_config_selectorIxNS0_10empty_typeEEEZNS1_10merge_implIS3_N6thrust23THRUST_200600_302600_NS6detail15normal_iteratorINS9_10device_ptrIKxEEEESF_NSB_INSC_IxEEEEPS5_SI_SI_NS9_7greaterIxEEEE10hipError_tPvRmT0_T1_T2_T3_T4_T5_mmT6_P12ihipStream_tbEUlT_E0_NS1_11comp_targetILNS1_3genE8ELNS1_11target_archE1030ELNS1_3gpuE2ELNS1_3repE0EEENS1_30default_config_static_selectorELNS0_4arch9wavefront6targetE1EEEvSP_
	.p2align	8
	.type	_ZN7rocprim17ROCPRIM_400000_NS6detail17trampoline_kernelINS0_14default_configENS1_21merge_config_selectorIxNS0_10empty_typeEEEZNS1_10merge_implIS3_N6thrust23THRUST_200600_302600_NS6detail15normal_iteratorINS9_10device_ptrIKxEEEESF_NSB_INSC_IxEEEEPS5_SI_SI_NS9_7greaterIxEEEE10hipError_tPvRmT0_T1_T2_T3_T4_T5_mmT6_P12ihipStream_tbEUlT_E0_NS1_11comp_targetILNS1_3genE8ELNS1_11target_archE1030ELNS1_3gpuE2ELNS1_3repE0EEENS1_30default_config_static_selectorELNS0_4arch9wavefront6targetE1EEEvSP_,@function
_ZN7rocprim17ROCPRIM_400000_NS6detail17trampoline_kernelINS0_14default_configENS1_21merge_config_selectorIxNS0_10empty_typeEEEZNS1_10merge_implIS3_N6thrust23THRUST_200600_302600_NS6detail15normal_iteratorINS9_10device_ptrIKxEEEESF_NSB_INSC_IxEEEEPS5_SI_SI_NS9_7greaterIxEEEE10hipError_tPvRmT0_T1_T2_T3_T4_T5_mmT6_P12ihipStream_tbEUlT_E0_NS1_11comp_targetILNS1_3genE8ELNS1_11target_archE1030ELNS1_3gpuE2ELNS1_3repE0EEENS1_30default_config_static_selectorELNS0_4arch9wavefront6targetE1EEEvSP_: ; @_ZN7rocprim17ROCPRIM_400000_NS6detail17trampoline_kernelINS0_14default_configENS1_21merge_config_selectorIxNS0_10empty_typeEEEZNS1_10merge_implIS3_N6thrust23THRUST_200600_302600_NS6detail15normal_iteratorINS9_10device_ptrIKxEEEESF_NSB_INSC_IxEEEEPS5_SI_SI_NS9_7greaterIxEEEE10hipError_tPvRmT0_T1_T2_T3_T4_T5_mmT6_P12ihipStream_tbEUlT_E0_NS1_11comp_targetILNS1_3genE8ELNS1_11target_archE1030ELNS1_3gpuE2ELNS1_3repE0EEENS1_30default_config_static_selectorELNS0_4arch9wavefront6targetE1EEEvSP_
; %bb.0:
	.section	.rodata,"a",@progbits
	.p2align	6, 0x0
	.amdhsa_kernel _ZN7rocprim17ROCPRIM_400000_NS6detail17trampoline_kernelINS0_14default_configENS1_21merge_config_selectorIxNS0_10empty_typeEEEZNS1_10merge_implIS3_N6thrust23THRUST_200600_302600_NS6detail15normal_iteratorINS9_10device_ptrIKxEEEESF_NSB_INSC_IxEEEEPS5_SI_SI_NS9_7greaterIxEEEE10hipError_tPvRmT0_T1_T2_T3_T4_T5_mmT6_P12ihipStream_tbEUlT_E0_NS1_11comp_targetILNS1_3genE8ELNS1_11target_archE1030ELNS1_3gpuE2ELNS1_3repE0EEENS1_30default_config_static_selectorELNS0_4arch9wavefront6targetE1EEEvSP_
		.amdhsa_group_segment_fixed_size 0
		.amdhsa_private_segment_fixed_size 0
		.amdhsa_kernarg_size 88
		.amdhsa_user_sgpr_count 6
		.amdhsa_user_sgpr_private_segment_buffer 1
		.amdhsa_user_sgpr_dispatch_ptr 0
		.amdhsa_user_sgpr_queue_ptr 0
		.amdhsa_user_sgpr_kernarg_segment_ptr 1
		.amdhsa_user_sgpr_dispatch_id 0
		.amdhsa_user_sgpr_flat_scratch_init 0
		.amdhsa_user_sgpr_kernarg_preload_length 0
		.amdhsa_user_sgpr_kernarg_preload_offset 0
		.amdhsa_user_sgpr_private_segment_size 0
		.amdhsa_uses_dynamic_stack 0
		.amdhsa_system_sgpr_private_segment_wavefront_offset 0
		.amdhsa_system_sgpr_workgroup_id_x 1
		.amdhsa_system_sgpr_workgroup_id_y 0
		.amdhsa_system_sgpr_workgroup_id_z 0
		.amdhsa_system_sgpr_workgroup_info 0
		.amdhsa_system_vgpr_workitem_id 0
		.amdhsa_next_free_vgpr 1
		.amdhsa_next_free_sgpr 0
		.amdhsa_accum_offset 4
		.amdhsa_reserve_vcc 0
		.amdhsa_reserve_flat_scratch 0
		.amdhsa_float_round_mode_32 0
		.amdhsa_float_round_mode_16_64 0
		.amdhsa_float_denorm_mode_32 3
		.amdhsa_float_denorm_mode_16_64 3
		.amdhsa_dx10_clamp 1
		.amdhsa_ieee_mode 1
		.amdhsa_fp16_overflow 0
		.amdhsa_tg_split 0
		.amdhsa_exception_fp_ieee_invalid_op 0
		.amdhsa_exception_fp_denorm_src 0
		.amdhsa_exception_fp_ieee_div_zero 0
		.amdhsa_exception_fp_ieee_overflow 0
		.amdhsa_exception_fp_ieee_underflow 0
		.amdhsa_exception_fp_ieee_inexact 0
		.amdhsa_exception_int_div_zero 0
	.end_amdhsa_kernel
	.section	.text._ZN7rocprim17ROCPRIM_400000_NS6detail17trampoline_kernelINS0_14default_configENS1_21merge_config_selectorIxNS0_10empty_typeEEEZNS1_10merge_implIS3_N6thrust23THRUST_200600_302600_NS6detail15normal_iteratorINS9_10device_ptrIKxEEEESF_NSB_INSC_IxEEEEPS5_SI_SI_NS9_7greaterIxEEEE10hipError_tPvRmT0_T1_T2_T3_T4_T5_mmT6_P12ihipStream_tbEUlT_E0_NS1_11comp_targetILNS1_3genE8ELNS1_11target_archE1030ELNS1_3gpuE2ELNS1_3repE0EEENS1_30default_config_static_selectorELNS0_4arch9wavefront6targetE1EEEvSP_,"axG",@progbits,_ZN7rocprim17ROCPRIM_400000_NS6detail17trampoline_kernelINS0_14default_configENS1_21merge_config_selectorIxNS0_10empty_typeEEEZNS1_10merge_implIS3_N6thrust23THRUST_200600_302600_NS6detail15normal_iteratorINS9_10device_ptrIKxEEEESF_NSB_INSC_IxEEEEPS5_SI_SI_NS9_7greaterIxEEEE10hipError_tPvRmT0_T1_T2_T3_T4_T5_mmT6_P12ihipStream_tbEUlT_E0_NS1_11comp_targetILNS1_3genE8ELNS1_11target_archE1030ELNS1_3gpuE2ELNS1_3repE0EEENS1_30default_config_static_selectorELNS0_4arch9wavefront6targetE1EEEvSP_,comdat
.Lfunc_end568:
	.size	_ZN7rocprim17ROCPRIM_400000_NS6detail17trampoline_kernelINS0_14default_configENS1_21merge_config_selectorIxNS0_10empty_typeEEEZNS1_10merge_implIS3_N6thrust23THRUST_200600_302600_NS6detail15normal_iteratorINS9_10device_ptrIKxEEEESF_NSB_INSC_IxEEEEPS5_SI_SI_NS9_7greaterIxEEEE10hipError_tPvRmT0_T1_T2_T3_T4_T5_mmT6_P12ihipStream_tbEUlT_E0_NS1_11comp_targetILNS1_3genE8ELNS1_11target_archE1030ELNS1_3gpuE2ELNS1_3repE0EEENS1_30default_config_static_selectorELNS0_4arch9wavefront6targetE1EEEvSP_, .Lfunc_end568-_ZN7rocprim17ROCPRIM_400000_NS6detail17trampoline_kernelINS0_14default_configENS1_21merge_config_selectorIxNS0_10empty_typeEEEZNS1_10merge_implIS3_N6thrust23THRUST_200600_302600_NS6detail15normal_iteratorINS9_10device_ptrIKxEEEESF_NSB_INSC_IxEEEEPS5_SI_SI_NS9_7greaterIxEEEE10hipError_tPvRmT0_T1_T2_T3_T4_T5_mmT6_P12ihipStream_tbEUlT_E0_NS1_11comp_targetILNS1_3genE8ELNS1_11target_archE1030ELNS1_3gpuE2ELNS1_3repE0EEENS1_30default_config_static_selectorELNS0_4arch9wavefront6targetE1EEEvSP_
                                        ; -- End function
	.section	.AMDGPU.csdata,"",@progbits
; Kernel info:
; codeLenInByte = 0
; NumSgprs: 4
; NumVgprs: 0
; NumAgprs: 0
; TotalNumVgprs: 0
; ScratchSize: 0
; MemoryBound: 0
; FloatMode: 240
; IeeeMode: 1
; LDSByteSize: 0 bytes/workgroup (compile time only)
; SGPRBlocks: 0
; VGPRBlocks: 0
; NumSGPRsForWavesPerEU: 4
; NumVGPRsForWavesPerEU: 1
; AccumOffset: 4
; Occupancy: 8
; WaveLimiterHint : 0
; COMPUTE_PGM_RSRC2:SCRATCH_EN: 0
; COMPUTE_PGM_RSRC2:USER_SGPR: 6
; COMPUTE_PGM_RSRC2:TRAP_HANDLER: 0
; COMPUTE_PGM_RSRC2:TGID_X_EN: 1
; COMPUTE_PGM_RSRC2:TGID_Y_EN: 0
; COMPUTE_PGM_RSRC2:TGID_Z_EN: 0
; COMPUTE_PGM_RSRC2:TIDIG_COMP_CNT: 0
; COMPUTE_PGM_RSRC3_GFX90A:ACCUM_OFFSET: 0
; COMPUTE_PGM_RSRC3_GFX90A:TG_SPLIT: 0
	.section	.text._ZN7rocprim17ROCPRIM_400000_NS6detail17trampoline_kernelINS0_14default_configENS1_21merge_config_selectorIiNS0_10empty_typeEEEZNS1_10merge_implIS3_N6thrust23THRUST_200600_302600_NS6detail15normal_iteratorINS9_10device_ptrIKiEEEESF_NSB_INSC_IiEEEEPS5_SI_SI_NS9_7greaterIiEEEE10hipError_tPvRmT0_T1_T2_T3_T4_T5_mmT6_P12ihipStream_tbEUlT_E_NS1_11comp_targetILNS1_3genE0ELNS1_11target_archE4294967295ELNS1_3gpuE0ELNS1_3repE0EEENS1_30default_config_static_selectorELNS0_4arch9wavefront6targetE1EEEvSP_,"axG",@progbits,_ZN7rocprim17ROCPRIM_400000_NS6detail17trampoline_kernelINS0_14default_configENS1_21merge_config_selectorIiNS0_10empty_typeEEEZNS1_10merge_implIS3_N6thrust23THRUST_200600_302600_NS6detail15normal_iteratorINS9_10device_ptrIKiEEEESF_NSB_INSC_IiEEEEPS5_SI_SI_NS9_7greaterIiEEEE10hipError_tPvRmT0_T1_T2_T3_T4_T5_mmT6_P12ihipStream_tbEUlT_E_NS1_11comp_targetILNS1_3genE0ELNS1_11target_archE4294967295ELNS1_3gpuE0ELNS1_3repE0EEENS1_30default_config_static_selectorELNS0_4arch9wavefront6targetE1EEEvSP_,comdat
	.protected	_ZN7rocprim17ROCPRIM_400000_NS6detail17trampoline_kernelINS0_14default_configENS1_21merge_config_selectorIiNS0_10empty_typeEEEZNS1_10merge_implIS3_N6thrust23THRUST_200600_302600_NS6detail15normal_iteratorINS9_10device_ptrIKiEEEESF_NSB_INSC_IiEEEEPS5_SI_SI_NS9_7greaterIiEEEE10hipError_tPvRmT0_T1_T2_T3_T4_T5_mmT6_P12ihipStream_tbEUlT_E_NS1_11comp_targetILNS1_3genE0ELNS1_11target_archE4294967295ELNS1_3gpuE0ELNS1_3repE0EEENS1_30default_config_static_selectorELNS0_4arch9wavefront6targetE1EEEvSP_ ; -- Begin function _ZN7rocprim17ROCPRIM_400000_NS6detail17trampoline_kernelINS0_14default_configENS1_21merge_config_selectorIiNS0_10empty_typeEEEZNS1_10merge_implIS3_N6thrust23THRUST_200600_302600_NS6detail15normal_iteratorINS9_10device_ptrIKiEEEESF_NSB_INSC_IiEEEEPS5_SI_SI_NS9_7greaterIiEEEE10hipError_tPvRmT0_T1_T2_T3_T4_T5_mmT6_P12ihipStream_tbEUlT_E_NS1_11comp_targetILNS1_3genE0ELNS1_11target_archE4294967295ELNS1_3gpuE0ELNS1_3repE0EEENS1_30default_config_static_selectorELNS0_4arch9wavefront6targetE1EEEvSP_
	.globl	_ZN7rocprim17ROCPRIM_400000_NS6detail17trampoline_kernelINS0_14default_configENS1_21merge_config_selectorIiNS0_10empty_typeEEEZNS1_10merge_implIS3_N6thrust23THRUST_200600_302600_NS6detail15normal_iteratorINS9_10device_ptrIKiEEEESF_NSB_INSC_IiEEEEPS5_SI_SI_NS9_7greaterIiEEEE10hipError_tPvRmT0_T1_T2_T3_T4_T5_mmT6_P12ihipStream_tbEUlT_E_NS1_11comp_targetILNS1_3genE0ELNS1_11target_archE4294967295ELNS1_3gpuE0ELNS1_3repE0EEENS1_30default_config_static_selectorELNS0_4arch9wavefront6targetE1EEEvSP_
	.p2align	8
	.type	_ZN7rocprim17ROCPRIM_400000_NS6detail17trampoline_kernelINS0_14default_configENS1_21merge_config_selectorIiNS0_10empty_typeEEEZNS1_10merge_implIS3_N6thrust23THRUST_200600_302600_NS6detail15normal_iteratorINS9_10device_ptrIKiEEEESF_NSB_INSC_IiEEEEPS5_SI_SI_NS9_7greaterIiEEEE10hipError_tPvRmT0_T1_T2_T3_T4_T5_mmT6_P12ihipStream_tbEUlT_E_NS1_11comp_targetILNS1_3genE0ELNS1_11target_archE4294967295ELNS1_3gpuE0ELNS1_3repE0EEENS1_30default_config_static_selectorELNS0_4arch9wavefront6targetE1EEEvSP_,@function
_ZN7rocprim17ROCPRIM_400000_NS6detail17trampoline_kernelINS0_14default_configENS1_21merge_config_selectorIiNS0_10empty_typeEEEZNS1_10merge_implIS3_N6thrust23THRUST_200600_302600_NS6detail15normal_iteratorINS9_10device_ptrIKiEEEESF_NSB_INSC_IiEEEEPS5_SI_SI_NS9_7greaterIiEEEE10hipError_tPvRmT0_T1_T2_T3_T4_T5_mmT6_P12ihipStream_tbEUlT_E_NS1_11comp_targetILNS1_3genE0ELNS1_11target_archE4294967295ELNS1_3gpuE0ELNS1_3repE0EEENS1_30default_config_static_selectorELNS0_4arch9wavefront6targetE1EEEvSP_: ; @_ZN7rocprim17ROCPRIM_400000_NS6detail17trampoline_kernelINS0_14default_configENS1_21merge_config_selectorIiNS0_10empty_typeEEEZNS1_10merge_implIS3_N6thrust23THRUST_200600_302600_NS6detail15normal_iteratorINS9_10device_ptrIKiEEEESF_NSB_INSC_IiEEEEPS5_SI_SI_NS9_7greaterIiEEEE10hipError_tPvRmT0_T1_T2_T3_T4_T5_mmT6_P12ihipStream_tbEUlT_E_NS1_11comp_targetILNS1_3genE0ELNS1_11target_archE4294967295ELNS1_3gpuE0ELNS1_3repE0EEENS1_30default_config_static_selectorELNS0_4arch9wavefront6targetE1EEEvSP_
; %bb.0:
	.section	.rodata,"a",@progbits
	.p2align	6, 0x0
	.amdhsa_kernel _ZN7rocprim17ROCPRIM_400000_NS6detail17trampoline_kernelINS0_14default_configENS1_21merge_config_selectorIiNS0_10empty_typeEEEZNS1_10merge_implIS3_N6thrust23THRUST_200600_302600_NS6detail15normal_iteratorINS9_10device_ptrIKiEEEESF_NSB_INSC_IiEEEEPS5_SI_SI_NS9_7greaterIiEEEE10hipError_tPvRmT0_T1_T2_T3_T4_T5_mmT6_P12ihipStream_tbEUlT_E_NS1_11comp_targetILNS1_3genE0ELNS1_11target_archE4294967295ELNS1_3gpuE0ELNS1_3repE0EEENS1_30default_config_static_selectorELNS0_4arch9wavefront6targetE1EEEvSP_
		.amdhsa_group_segment_fixed_size 0
		.amdhsa_private_segment_fixed_size 0
		.amdhsa_kernarg_size 48
		.amdhsa_user_sgpr_count 6
		.amdhsa_user_sgpr_private_segment_buffer 1
		.amdhsa_user_sgpr_dispatch_ptr 0
		.amdhsa_user_sgpr_queue_ptr 0
		.amdhsa_user_sgpr_kernarg_segment_ptr 1
		.amdhsa_user_sgpr_dispatch_id 0
		.amdhsa_user_sgpr_flat_scratch_init 0
		.amdhsa_user_sgpr_kernarg_preload_length 0
		.amdhsa_user_sgpr_kernarg_preload_offset 0
		.amdhsa_user_sgpr_private_segment_size 0
		.amdhsa_uses_dynamic_stack 0
		.amdhsa_system_sgpr_private_segment_wavefront_offset 0
		.amdhsa_system_sgpr_workgroup_id_x 1
		.amdhsa_system_sgpr_workgroup_id_y 0
		.amdhsa_system_sgpr_workgroup_id_z 0
		.amdhsa_system_sgpr_workgroup_info 0
		.amdhsa_system_vgpr_workitem_id 0
		.amdhsa_next_free_vgpr 1
		.amdhsa_next_free_sgpr 0
		.amdhsa_accum_offset 4
		.amdhsa_reserve_vcc 0
		.amdhsa_reserve_flat_scratch 0
		.amdhsa_float_round_mode_32 0
		.amdhsa_float_round_mode_16_64 0
		.amdhsa_float_denorm_mode_32 3
		.amdhsa_float_denorm_mode_16_64 3
		.amdhsa_dx10_clamp 1
		.amdhsa_ieee_mode 1
		.amdhsa_fp16_overflow 0
		.amdhsa_tg_split 0
		.amdhsa_exception_fp_ieee_invalid_op 0
		.amdhsa_exception_fp_denorm_src 0
		.amdhsa_exception_fp_ieee_div_zero 0
		.amdhsa_exception_fp_ieee_overflow 0
		.amdhsa_exception_fp_ieee_underflow 0
		.amdhsa_exception_fp_ieee_inexact 0
		.amdhsa_exception_int_div_zero 0
	.end_amdhsa_kernel
	.section	.text._ZN7rocprim17ROCPRIM_400000_NS6detail17trampoline_kernelINS0_14default_configENS1_21merge_config_selectorIiNS0_10empty_typeEEEZNS1_10merge_implIS3_N6thrust23THRUST_200600_302600_NS6detail15normal_iteratorINS9_10device_ptrIKiEEEESF_NSB_INSC_IiEEEEPS5_SI_SI_NS9_7greaterIiEEEE10hipError_tPvRmT0_T1_T2_T3_T4_T5_mmT6_P12ihipStream_tbEUlT_E_NS1_11comp_targetILNS1_3genE0ELNS1_11target_archE4294967295ELNS1_3gpuE0ELNS1_3repE0EEENS1_30default_config_static_selectorELNS0_4arch9wavefront6targetE1EEEvSP_,"axG",@progbits,_ZN7rocprim17ROCPRIM_400000_NS6detail17trampoline_kernelINS0_14default_configENS1_21merge_config_selectorIiNS0_10empty_typeEEEZNS1_10merge_implIS3_N6thrust23THRUST_200600_302600_NS6detail15normal_iteratorINS9_10device_ptrIKiEEEESF_NSB_INSC_IiEEEEPS5_SI_SI_NS9_7greaterIiEEEE10hipError_tPvRmT0_T1_T2_T3_T4_T5_mmT6_P12ihipStream_tbEUlT_E_NS1_11comp_targetILNS1_3genE0ELNS1_11target_archE4294967295ELNS1_3gpuE0ELNS1_3repE0EEENS1_30default_config_static_selectorELNS0_4arch9wavefront6targetE1EEEvSP_,comdat
.Lfunc_end569:
	.size	_ZN7rocprim17ROCPRIM_400000_NS6detail17trampoline_kernelINS0_14default_configENS1_21merge_config_selectorIiNS0_10empty_typeEEEZNS1_10merge_implIS3_N6thrust23THRUST_200600_302600_NS6detail15normal_iteratorINS9_10device_ptrIKiEEEESF_NSB_INSC_IiEEEEPS5_SI_SI_NS9_7greaterIiEEEE10hipError_tPvRmT0_T1_T2_T3_T4_T5_mmT6_P12ihipStream_tbEUlT_E_NS1_11comp_targetILNS1_3genE0ELNS1_11target_archE4294967295ELNS1_3gpuE0ELNS1_3repE0EEENS1_30default_config_static_selectorELNS0_4arch9wavefront6targetE1EEEvSP_, .Lfunc_end569-_ZN7rocprim17ROCPRIM_400000_NS6detail17trampoline_kernelINS0_14default_configENS1_21merge_config_selectorIiNS0_10empty_typeEEEZNS1_10merge_implIS3_N6thrust23THRUST_200600_302600_NS6detail15normal_iteratorINS9_10device_ptrIKiEEEESF_NSB_INSC_IiEEEEPS5_SI_SI_NS9_7greaterIiEEEE10hipError_tPvRmT0_T1_T2_T3_T4_T5_mmT6_P12ihipStream_tbEUlT_E_NS1_11comp_targetILNS1_3genE0ELNS1_11target_archE4294967295ELNS1_3gpuE0ELNS1_3repE0EEENS1_30default_config_static_selectorELNS0_4arch9wavefront6targetE1EEEvSP_
                                        ; -- End function
	.section	.AMDGPU.csdata,"",@progbits
; Kernel info:
; codeLenInByte = 0
; NumSgprs: 4
; NumVgprs: 0
; NumAgprs: 0
; TotalNumVgprs: 0
; ScratchSize: 0
; MemoryBound: 0
; FloatMode: 240
; IeeeMode: 1
; LDSByteSize: 0 bytes/workgroup (compile time only)
; SGPRBlocks: 0
; VGPRBlocks: 0
; NumSGPRsForWavesPerEU: 4
; NumVGPRsForWavesPerEU: 1
; AccumOffset: 4
; Occupancy: 8
; WaveLimiterHint : 0
; COMPUTE_PGM_RSRC2:SCRATCH_EN: 0
; COMPUTE_PGM_RSRC2:USER_SGPR: 6
; COMPUTE_PGM_RSRC2:TRAP_HANDLER: 0
; COMPUTE_PGM_RSRC2:TGID_X_EN: 1
; COMPUTE_PGM_RSRC2:TGID_Y_EN: 0
; COMPUTE_PGM_RSRC2:TGID_Z_EN: 0
; COMPUTE_PGM_RSRC2:TIDIG_COMP_CNT: 0
; COMPUTE_PGM_RSRC3_GFX90A:ACCUM_OFFSET: 0
; COMPUTE_PGM_RSRC3_GFX90A:TG_SPLIT: 0
	.section	.text._ZN7rocprim17ROCPRIM_400000_NS6detail17trampoline_kernelINS0_14default_configENS1_21merge_config_selectorIiNS0_10empty_typeEEEZNS1_10merge_implIS3_N6thrust23THRUST_200600_302600_NS6detail15normal_iteratorINS9_10device_ptrIKiEEEESF_NSB_INSC_IiEEEEPS5_SI_SI_NS9_7greaterIiEEEE10hipError_tPvRmT0_T1_T2_T3_T4_T5_mmT6_P12ihipStream_tbEUlT_E_NS1_11comp_targetILNS1_3genE5ELNS1_11target_archE942ELNS1_3gpuE9ELNS1_3repE0EEENS1_30default_config_static_selectorELNS0_4arch9wavefront6targetE1EEEvSP_,"axG",@progbits,_ZN7rocprim17ROCPRIM_400000_NS6detail17trampoline_kernelINS0_14default_configENS1_21merge_config_selectorIiNS0_10empty_typeEEEZNS1_10merge_implIS3_N6thrust23THRUST_200600_302600_NS6detail15normal_iteratorINS9_10device_ptrIKiEEEESF_NSB_INSC_IiEEEEPS5_SI_SI_NS9_7greaterIiEEEE10hipError_tPvRmT0_T1_T2_T3_T4_T5_mmT6_P12ihipStream_tbEUlT_E_NS1_11comp_targetILNS1_3genE5ELNS1_11target_archE942ELNS1_3gpuE9ELNS1_3repE0EEENS1_30default_config_static_selectorELNS0_4arch9wavefront6targetE1EEEvSP_,comdat
	.protected	_ZN7rocprim17ROCPRIM_400000_NS6detail17trampoline_kernelINS0_14default_configENS1_21merge_config_selectorIiNS0_10empty_typeEEEZNS1_10merge_implIS3_N6thrust23THRUST_200600_302600_NS6detail15normal_iteratorINS9_10device_ptrIKiEEEESF_NSB_INSC_IiEEEEPS5_SI_SI_NS9_7greaterIiEEEE10hipError_tPvRmT0_T1_T2_T3_T4_T5_mmT6_P12ihipStream_tbEUlT_E_NS1_11comp_targetILNS1_3genE5ELNS1_11target_archE942ELNS1_3gpuE9ELNS1_3repE0EEENS1_30default_config_static_selectorELNS0_4arch9wavefront6targetE1EEEvSP_ ; -- Begin function _ZN7rocprim17ROCPRIM_400000_NS6detail17trampoline_kernelINS0_14default_configENS1_21merge_config_selectorIiNS0_10empty_typeEEEZNS1_10merge_implIS3_N6thrust23THRUST_200600_302600_NS6detail15normal_iteratorINS9_10device_ptrIKiEEEESF_NSB_INSC_IiEEEEPS5_SI_SI_NS9_7greaterIiEEEE10hipError_tPvRmT0_T1_T2_T3_T4_T5_mmT6_P12ihipStream_tbEUlT_E_NS1_11comp_targetILNS1_3genE5ELNS1_11target_archE942ELNS1_3gpuE9ELNS1_3repE0EEENS1_30default_config_static_selectorELNS0_4arch9wavefront6targetE1EEEvSP_
	.globl	_ZN7rocprim17ROCPRIM_400000_NS6detail17trampoline_kernelINS0_14default_configENS1_21merge_config_selectorIiNS0_10empty_typeEEEZNS1_10merge_implIS3_N6thrust23THRUST_200600_302600_NS6detail15normal_iteratorINS9_10device_ptrIKiEEEESF_NSB_INSC_IiEEEEPS5_SI_SI_NS9_7greaterIiEEEE10hipError_tPvRmT0_T1_T2_T3_T4_T5_mmT6_P12ihipStream_tbEUlT_E_NS1_11comp_targetILNS1_3genE5ELNS1_11target_archE942ELNS1_3gpuE9ELNS1_3repE0EEENS1_30default_config_static_selectorELNS0_4arch9wavefront6targetE1EEEvSP_
	.p2align	8
	.type	_ZN7rocprim17ROCPRIM_400000_NS6detail17trampoline_kernelINS0_14default_configENS1_21merge_config_selectorIiNS0_10empty_typeEEEZNS1_10merge_implIS3_N6thrust23THRUST_200600_302600_NS6detail15normal_iteratorINS9_10device_ptrIKiEEEESF_NSB_INSC_IiEEEEPS5_SI_SI_NS9_7greaterIiEEEE10hipError_tPvRmT0_T1_T2_T3_T4_T5_mmT6_P12ihipStream_tbEUlT_E_NS1_11comp_targetILNS1_3genE5ELNS1_11target_archE942ELNS1_3gpuE9ELNS1_3repE0EEENS1_30default_config_static_selectorELNS0_4arch9wavefront6targetE1EEEvSP_,@function
_ZN7rocprim17ROCPRIM_400000_NS6detail17trampoline_kernelINS0_14default_configENS1_21merge_config_selectorIiNS0_10empty_typeEEEZNS1_10merge_implIS3_N6thrust23THRUST_200600_302600_NS6detail15normal_iteratorINS9_10device_ptrIKiEEEESF_NSB_INSC_IiEEEEPS5_SI_SI_NS9_7greaterIiEEEE10hipError_tPvRmT0_T1_T2_T3_T4_T5_mmT6_P12ihipStream_tbEUlT_E_NS1_11comp_targetILNS1_3genE5ELNS1_11target_archE942ELNS1_3gpuE9ELNS1_3repE0EEENS1_30default_config_static_selectorELNS0_4arch9wavefront6targetE1EEEvSP_: ; @_ZN7rocprim17ROCPRIM_400000_NS6detail17trampoline_kernelINS0_14default_configENS1_21merge_config_selectorIiNS0_10empty_typeEEEZNS1_10merge_implIS3_N6thrust23THRUST_200600_302600_NS6detail15normal_iteratorINS9_10device_ptrIKiEEEESF_NSB_INSC_IiEEEEPS5_SI_SI_NS9_7greaterIiEEEE10hipError_tPvRmT0_T1_T2_T3_T4_T5_mmT6_P12ihipStream_tbEUlT_E_NS1_11comp_targetILNS1_3genE5ELNS1_11target_archE942ELNS1_3gpuE9ELNS1_3repE0EEENS1_30default_config_static_selectorELNS0_4arch9wavefront6targetE1EEEvSP_
; %bb.0:
	.section	.rodata,"a",@progbits
	.p2align	6, 0x0
	.amdhsa_kernel _ZN7rocprim17ROCPRIM_400000_NS6detail17trampoline_kernelINS0_14default_configENS1_21merge_config_selectorIiNS0_10empty_typeEEEZNS1_10merge_implIS3_N6thrust23THRUST_200600_302600_NS6detail15normal_iteratorINS9_10device_ptrIKiEEEESF_NSB_INSC_IiEEEEPS5_SI_SI_NS9_7greaterIiEEEE10hipError_tPvRmT0_T1_T2_T3_T4_T5_mmT6_P12ihipStream_tbEUlT_E_NS1_11comp_targetILNS1_3genE5ELNS1_11target_archE942ELNS1_3gpuE9ELNS1_3repE0EEENS1_30default_config_static_selectorELNS0_4arch9wavefront6targetE1EEEvSP_
		.amdhsa_group_segment_fixed_size 0
		.amdhsa_private_segment_fixed_size 0
		.amdhsa_kernarg_size 48
		.amdhsa_user_sgpr_count 6
		.amdhsa_user_sgpr_private_segment_buffer 1
		.amdhsa_user_sgpr_dispatch_ptr 0
		.amdhsa_user_sgpr_queue_ptr 0
		.amdhsa_user_sgpr_kernarg_segment_ptr 1
		.amdhsa_user_sgpr_dispatch_id 0
		.amdhsa_user_sgpr_flat_scratch_init 0
		.amdhsa_user_sgpr_kernarg_preload_length 0
		.amdhsa_user_sgpr_kernarg_preload_offset 0
		.amdhsa_user_sgpr_private_segment_size 0
		.amdhsa_uses_dynamic_stack 0
		.amdhsa_system_sgpr_private_segment_wavefront_offset 0
		.amdhsa_system_sgpr_workgroup_id_x 1
		.amdhsa_system_sgpr_workgroup_id_y 0
		.amdhsa_system_sgpr_workgroup_id_z 0
		.amdhsa_system_sgpr_workgroup_info 0
		.amdhsa_system_vgpr_workitem_id 0
		.amdhsa_next_free_vgpr 1
		.amdhsa_next_free_sgpr 0
		.amdhsa_accum_offset 4
		.amdhsa_reserve_vcc 0
		.amdhsa_reserve_flat_scratch 0
		.amdhsa_float_round_mode_32 0
		.amdhsa_float_round_mode_16_64 0
		.amdhsa_float_denorm_mode_32 3
		.amdhsa_float_denorm_mode_16_64 3
		.amdhsa_dx10_clamp 1
		.amdhsa_ieee_mode 1
		.amdhsa_fp16_overflow 0
		.amdhsa_tg_split 0
		.amdhsa_exception_fp_ieee_invalid_op 0
		.amdhsa_exception_fp_denorm_src 0
		.amdhsa_exception_fp_ieee_div_zero 0
		.amdhsa_exception_fp_ieee_overflow 0
		.amdhsa_exception_fp_ieee_underflow 0
		.amdhsa_exception_fp_ieee_inexact 0
		.amdhsa_exception_int_div_zero 0
	.end_amdhsa_kernel
	.section	.text._ZN7rocprim17ROCPRIM_400000_NS6detail17trampoline_kernelINS0_14default_configENS1_21merge_config_selectorIiNS0_10empty_typeEEEZNS1_10merge_implIS3_N6thrust23THRUST_200600_302600_NS6detail15normal_iteratorINS9_10device_ptrIKiEEEESF_NSB_INSC_IiEEEEPS5_SI_SI_NS9_7greaterIiEEEE10hipError_tPvRmT0_T1_T2_T3_T4_T5_mmT6_P12ihipStream_tbEUlT_E_NS1_11comp_targetILNS1_3genE5ELNS1_11target_archE942ELNS1_3gpuE9ELNS1_3repE0EEENS1_30default_config_static_selectorELNS0_4arch9wavefront6targetE1EEEvSP_,"axG",@progbits,_ZN7rocprim17ROCPRIM_400000_NS6detail17trampoline_kernelINS0_14default_configENS1_21merge_config_selectorIiNS0_10empty_typeEEEZNS1_10merge_implIS3_N6thrust23THRUST_200600_302600_NS6detail15normal_iteratorINS9_10device_ptrIKiEEEESF_NSB_INSC_IiEEEEPS5_SI_SI_NS9_7greaterIiEEEE10hipError_tPvRmT0_T1_T2_T3_T4_T5_mmT6_P12ihipStream_tbEUlT_E_NS1_11comp_targetILNS1_3genE5ELNS1_11target_archE942ELNS1_3gpuE9ELNS1_3repE0EEENS1_30default_config_static_selectorELNS0_4arch9wavefront6targetE1EEEvSP_,comdat
.Lfunc_end570:
	.size	_ZN7rocprim17ROCPRIM_400000_NS6detail17trampoline_kernelINS0_14default_configENS1_21merge_config_selectorIiNS0_10empty_typeEEEZNS1_10merge_implIS3_N6thrust23THRUST_200600_302600_NS6detail15normal_iteratorINS9_10device_ptrIKiEEEESF_NSB_INSC_IiEEEEPS5_SI_SI_NS9_7greaterIiEEEE10hipError_tPvRmT0_T1_T2_T3_T4_T5_mmT6_P12ihipStream_tbEUlT_E_NS1_11comp_targetILNS1_3genE5ELNS1_11target_archE942ELNS1_3gpuE9ELNS1_3repE0EEENS1_30default_config_static_selectorELNS0_4arch9wavefront6targetE1EEEvSP_, .Lfunc_end570-_ZN7rocprim17ROCPRIM_400000_NS6detail17trampoline_kernelINS0_14default_configENS1_21merge_config_selectorIiNS0_10empty_typeEEEZNS1_10merge_implIS3_N6thrust23THRUST_200600_302600_NS6detail15normal_iteratorINS9_10device_ptrIKiEEEESF_NSB_INSC_IiEEEEPS5_SI_SI_NS9_7greaterIiEEEE10hipError_tPvRmT0_T1_T2_T3_T4_T5_mmT6_P12ihipStream_tbEUlT_E_NS1_11comp_targetILNS1_3genE5ELNS1_11target_archE942ELNS1_3gpuE9ELNS1_3repE0EEENS1_30default_config_static_selectorELNS0_4arch9wavefront6targetE1EEEvSP_
                                        ; -- End function
	.section	.AMDGPU.csdata,"",@progbits
; Kernel info:
; codeLenInByte = 0
; NumSgprs: 4
; NumVgprs: 0
; NumAgprs: 0
; TotalNumVgprs: 0
; ScratchSize: 0
; MemoryBound: 0
; FloatMode: 240
; IeeeMode: 1
; LDSByteSize: 0 bytes/workgroup (compile time only)
; SGPRBlocks: 0
; VGPRBlocks: 0
; NumSGPRsForWavesPerEU: 4
; NumVGPRsForWavesPerEU: 1
; AccumOffset: 4
; Occupancy: 8
; WaveLimiterHint : 0
; COMPUTE_PGM_RSRC2:SCRATCH_EN: 0
; COMPUTE_PGM_RSRC2:USER_SGPR: 6
; COMPUTE_PGM_RSRC2:TRAP_HANDLER: 0
; COMPUTE_PGM_RSRC2:TGID_X_EN: 1
; COMPUTE_PGM_RSRC2:TGID_Y_EN: 0
; COMPUTE_PGM_RSRC2:TGID_Z_EN: 0
; COMPUTE_PGM_RSRC2:TIDIG_COMP_CNT: 0
; COMPUTE_PGM_RSRC3_GFX90A:ACCUM_OFFSET: 0
; COMPUTE_PGM_RSRC3_GFX90A:TG_SPLIT: 0
	.section	.text._ZN7rocprim17ROCPRIM_400000_NS6detail17trampoline_kernelINS0_14default_configENS1_21merge_config_selectorIiNS0_10empty_typeEEEZNS1_10merge_implIS3_N6thrust23THRUST_200600_302600_NS6detail15normal_iteratorINS9_10device_ptrIKiEEEESF_NSB_INSC_IiEEEEPS5_SI_SI_NS9_7greaterIiEEEE10hipError_tPvRmT0_T1_T2_T3_T4_T5_mmT6_P12ihipStream_tbEUlT_E_NS1_11comp_targetILNS1_3genE4ELNS1_11target_archE910ELNS1_3gpuE8ELNS1_3repE0EEENS1_30default_config_static_selectorELNS0_4arch9wavefront6targetE1EEEvSP_,"axG",@progbits,_ZN7rocprim17ROCPRIM_400000_NS6detail17trampoline_kernelINS0_14default_configENS1_21merge_config_selectorIiNS0_10empty_typeEEEZNS1_10merge_implIS3_N6thrust23THRUST_200600_302600_NS6detail15normal_iteratorINS9_10device_ptrIKiEEEESF_NSB_INSC_IiEEEEPS5_SI_SI_NS9_7greaterIiEEEE10hipError_tPvRmT0_T1_T2_T3_T4_T5_mmT6_P12ihipStream_tbEUlT_E_NS1_11comp_targetILNS1_3genE4ELNS1_11target_archE910ELNS1_3gpuE8ELNS1_3repE0EEENS1_30default_config_static_selectorELNS0_4arch9wavefront6targetE1EEEvSP_,comdat
	.protected	_ZN7rocprim17ROCPRIM_400000_NS6detail17trampoline_kernelINS0_14default_configENS1_21merge_config_selectorIiNS0_10empty_typeEEEZNS1_10merge_implIS3_N6thrust23THRUST_200600_302600_NS6detail15normal_iteratorINS9_10device_ptrIKiEEEESF_NSB_INSC_IiEEEEPS5_SI_SI_NS9_7greaterIiEEEE10hipError_tPvRmT0_T1_T2_T3_T4_T5_mmT6_P12ihipStream_tbEUlT_E_NS1_11comp_targetILNS1_3genE4ELNS1_11target_archE910ELNS1_3gpuE8ELNS1_3repE0EEENS1_30default_config_static_selectorELNS0_4arch9wavefront6targetE1EEEvSP_ ; -- Begin function _ZN7rocprim17ROCPRIM_400000_NS6detail17trampoline_kernelINS0_14default_configENS1_21merge_config_selectorIiNS0_10empty_typeEEEZNS1_10merge_implIS3_N6thrust23THRUST_200600_302600_NS6detail15normal_iteratorINS9_10device_ptrIKiEEEESF_NSB_INSC_IiEEEEPS5_SI_SI_NS9_7greaterIiEEEE10hipError_tPvRmT0_T1_T2_T3_T4_T5_mmT6_P12ihipStream_tbEUlT_E_NS1_11comp_targetILNS1_3genE4ELNS1_11target_archE910ELNS1_3gpuE8ELNS1_3repE0EEENS1_30default_config_static_selectorELNS0_4arch9wavefront6targetE1EEEvSP_
	.globl	_ZN7rocprim17ROCPRIM_400000_NS6detail17trampoline_kernelINS0_14default_configENS1_21merge_config_selectorIiNS0_10empty_typeEEEZNS1_10merge_implIS3_N6thrust23THRUST_200600_302600_NS6detail15normal_iteratorINS9_10device_ptrIKiEEEESF_NSB_INSC_IiEEEEPS5_SI_SI_NS9_7greaterIiEEEE10hipError_tPvRmT0_T1_T2_T3_T4_T5_mmT6_P12ihipStream_tbEUlT_E_NS1_11comp_targetILNS1_3genE4ELNS1_11target_archE910ELNS1_3gpuE8ELNS1_3repE0EEENS1_30default_config_static_selectorELNS0_4arch9wavefront6targetE1EEEvSP_
	.p2align	8
	.type	_ZN7rocprim17ROCPRIM_400000_NS6detail17trampoline_kernelINS0_14default_configENS1_21merge_config_selectorIiNS0_10empty_typeEEEZNS1_10merge_implIS3_N6thrust23THRUST_200600_302600_NS6detail15normal_iteratorINS9_10device_ptrIKiEEEESF_NSB_INSC_IiEEEEPS5_SI_SI_NS9_7greaterIiEEEE10hipError_tPvRmT0_T1_T2_T3_T4_T5_mmT6_P12ihipStream_tbEUlT_E_NS1_11comp_targetILNS1_3genE4ELNS1_11target_archE910ELNS1_3gpuE8ELNS1_3repE0EEENS1_30default_config_static_selectorELNS0_4arch9wavefront6targetE1EEEvSP_,@function
_ZN7rocprim17ROCPRIM_400000_NS6detail17trampoline_kernelINS0_14default_configENS1_21merge_config_selectorIiNS0_10empty_typeEEEZNS1_10merge_implIS3_N6thrust23THRUST_200600_302600_NS6detail15normal_iteratorINS9_10device_ptrIKiEEEESF_NSB_INSC_IiEEEEPS5_SI_SI_NS9_7greaterIiEEEE10hipError_tPvRmT0_T1_T2_T3_T4_T5_mmT6_P12ihipStream_tbEUlT_E_NS1_11comp_targetILNS1_3genE4ELNS1_11target_archE910ELNS1_3gpuE8ELNS1_3repE0EEENS1_30default_config_static_selectorELNS0_4arch9wavefront6targetE1EEEvSP_: ; @_ZN7rocprim17ROCPRIM_400000_NS6detail17trampoline_kernelINS0_14default_configENS1_21merge_config_selectorIiNS0_10empty_typeEEEZNS1_10merge_implIS3_N6thrust23THRUST_200600_302600_NS6detail15normal_iteratorINS9_10device_ptrIKiEEEESF_NSB_INSC_IiEEEEPS5_SI_SI_NS9_7greaterIiEEEE10hipError_tPvRmT0_T1_T2_T3_T4_T5_mmT6_P12ihipStream_tbEUlT_E_NS1_11comp_targetILNS1_3genE4ELNS1_11target_archE910ELNS1_3gpuE8ELNS1_3repE0EEENS1_30default_config_static_selectorELNS0_4arch9wavefront6targetE1EEEvSP_
; %bb.0:
	s_load_dword s7, s[4:5], 0x28
	s_load_dword s0, s[4:5], 0x3c
	s_load_dwordx4 s[8:11], s[4:5], 0x18
	s_waitcnt lgkmcnt(0)
	v_cvt_f32_u32_e32 v1, s7
	s_and_b32 s0, s0, 0xffff
	s_add_u32 s12, s10, s8
	s_addc_u32 s13, s11, s9
	v_rcp_iflag_f32_e32 v1, v1
	s_sub_i32 s1, 0, s7
	s_mul_i32 s6, s6, s0
	s_add_i32 s0, s7, s12
	v_mul_f32_e32 v1, 0x4f7ffffe, v1
	v_cvt_u32_f32_e32 v1, v1
	s_add_i32 s0, s0, -1
	v_add_u32_e32 v0, s6, v0
	v_readfirstlane_b32 s2, v1
	s_mul_i32 s1, s1, s2
	s_mul_hi_u32 s1, s2, s1
	s_add_i32 s2, s2, s1
	s_mul_hi_u32 s1, s0, s2
	s_mul_i32 s2, s1, s7
	s_sub_i32 s0, s0, s2
	s_add_i32 s3, s1, 1
	s_sub_i32 s2, s0, s7
	s_cmp_ge_u32 s0, s7
	s_cselect_b32 s1, s3, s1
	s_cselect_b32 s0, s2, s0
	s_add_i32 s2, s1, 1
	s_cmp_ge_u32 s0, s7
	s_cselect_b32 s0, s2, s1
	v_cmp_ge_u32_e32 vcc, s0, v0
	s_and_saveexec_b64 s[0:1], vcc
	s_cbranch_execz .LBB571_6
; %bb.1:
	v_mul_lo_u32 v2, v0, s7
	v_mov_b32_e32 v3, 0
	v_mov_b32_e32 v1, s13
	v_cmp_gt_u64_e32 vcc, s[12:13], v[2:3]
	v_cndmask_b32_e64 v7, v1, 0, vcc
	v_mov_b32_e32 v1, s12
	v_cndmask_b32_e32 v6, v1, v2, vcc
	v_mov_b32_e32 v1, s11
	v_subrev_co_u32_e32 v2, vcc, s10, v6
	v_subb_co_u32_e32 v3, vcc, v7, v1, vcc
	s_load_dwordx4 s[0:3], s[4:5], 0x0
	v_cmp_gt_u64_e32 vcc, v[2:3], v[6:7]
	v_cndmask_b32_e64 v3, v3, 0, vcc
	v_cndmask_b32_e64 v2, v2, 0, vcc
	v_mov_b32_e32 v1, s9
	v_cmp_gt_u64_e32 vcc, s[8:9], v[6:7]
	v_cndmask_b32_e32 v5, v1, v7, vcc
	v_mov_b32_e32 v1, s8
	v_cndmask_b32_e32 v4, v1, v6, vcc
	v_cmp_lt_u64_e32 vcc, v[2:3], v[4:5]
	s_and_saveexec_b64 s[6:7], vcc
	s_cbranch_execz .LBB571_5
; %bb.2:
	s_load_dwordx2 s[4:5], s[4:5], 0x10
	v_lshlrev_b64 v[6:7], 2, v[6:7]
	s_waitcnt lgkmcnt(0)
	v_mov_b32_e32 v8, s5
	v_add_co_u32_e32 v1, vcc, s4, v6
	v_addc_co_u32_e32 v6, vcc, v8, v7, vcc
	s_mov_b64 s[4:5], 0
	v_mov_b32_e32 v7, s3
.LBB571_3:                              ; =>This Inner Loop Header: Depth=1
	v_add_co_u32_e32 v8, vcc, v4, v2
	v_addc_co_u32_e32 v9, vcc, v5, v3, vcc
	v_lshrrev_b64 v[8:9], 1, v[8:9]
	v_lshlrev_b64 v[12:13], 2, v[8:9]
	v_not_b32_e32 v11, v9
	v_not_b32_e32 v10, v8
	v_add_co_u32_e32 v12, vcc, s2, v12
	v_addc_co_u32_e32 v13, vcc, v7, v13, vcc
	v_lshlrev_b64 v[10:11], 2, v[10:11]
	v_add_co_u32_e32 v10, vcc, v1, v10
	v_addc_co_u32_e32 v11, vcc, v6, v11, vcc
	global_load_dword v12, v[12:13], off
	s_nop 0
	global_load_dword v10, v[10:11], off
	v_add_co_u32_e32 v11, vcc, 1, v8
	v_addc_co_u32_e32 v13, vcc, 0, v9, vcc
	s_waitcnt vmcnt(0)
	v_cmp_gt_i32_e32 vcc, v10, v12
	v_cndmask_b32_e32 v5, v5, v9, vcc
	v_cndmask_b32_e32 v4, v4, v8, vcc
	;; [unrolled: 1-line block ×4, first 2 shown]
	v_cmp_ge_u64_e32 vcc, v[2:3], v[4:5]
	s_or_b64 s[4:5], vcc, s[4:5]
	s_andn2_b64 exec, exec, s[4:5]
	s_cbranch_execnz .LBB571_3
; %bb.4:
	s_or_b64 exec, exec, s[4:5]
.LBB571_5:
	s_or_b64 exec, exec, s[6:7]
	v_mov_b32_e32 v1, 0
	v_lshlrev_b64 v[0:1], 2, v[0:1]
	s_waitcnt lgkmcnt(0)
	v_mov_b32_e32 v3, s1
	v_add_co_u32_e32 v0, vcc, s0, v0
	v_addc_co_u32_e32 v1, vcc, v3, v1, vcc
	global_store_dword v[0:1], v2, off
.LBB571_6:
	s_endpgm
	.section	.rodata,"a",@progbits
	.p2align	6, 0x0
	.amdhsa_kernel _ZN7rocprim17ROCPRIM_400000_NS6detail17trampoline_kernelINS0_14default_configENS1_21merge_config_selectorIiNS0_10empty_typeEEEZNS1_10merge_implIS3_N6thrust23THRUST_200600_302600_NS6detail15normal_iteratorINS9_10device_ptrIKiEEEESF_NSB_INSC_IiEEEEPS5_SI_SI_NS9_7greaterIiEEEE10hipError_tPvRmT0_T1_T2_T3_T4_T5_mmT6_P12ihipStream_tbEUlT_E_NS1_11comp_targetILNS1_3genE4ELNS1_11target_archE910ELNS1_3gpuE8ELNS1_3repE0EEENS1_30default_config_static_selectorELNS0_4arch9wavefront6targetE1EEEvSP_
		.amdhsa_group_segment_fixed_size 0
		.amdhsa_private_segment_fixed_size 0
		.amdhsa_kernarg_size 304
		.amdhsa_user_sgpr_count 6
		.amdhsa_user_sgpr_private_segment_buffer 1
		.amdhsa_user_sgpr_dispatch_ptr 0
		.amdhsa_user_sgpr_queue_ptr 0
		.amdhsa_user_sgpr_kernarg_segment_ptr 1
		.amdhsa_user_sgpr_dispatch_id 0
		.amdhsa_user_sgpr_flat_scratch_init 0
		.amdhsa_user_sgpr_kernarg_preload_length 0
		.amdhsa_user_sgpr_kernarg_preload_offset 0
		.amdhsa_user_sgpr_private_segment_size 0
		.amdhsa_uses_dynamic_stack 0
		.amdhsa_system_sgpr_private_segment_wavefront_offset 0
		.amdhsa_system_sgpr_workgroup_id_x 1
		.amdhsa_system_sgpr_workgroup_id_y 0
		.amdhsa_system_sgpr_workgroup_id_z 0
		.amdhsa_system_sgpr_workgroup_info 0
		.amdhsa_system_vgpr_workitem_id 0
		.amdhsa_next_free_vgpr 14
		.amdhsa_next_free_sgpr 14
		.amdhsa_accum_offset 16
		.amdhsa_reserve_vcc 1
		.amdhsa_reserve_flat_scratch 0
		.amdhsa_float_round_mode_32 0
		.amdhsa_float_round_mode_16_64 0
		.amdhsa_float_denorm_mode_32 3
		.amdhsa_float_denorm_mode_16_64 3
		.amdhsa_dx10_clamp 1
		.amdhsa_ieee_mode 1
		.amdhsa_fp16_overflow 0
		.amdhsa_tg_split 0
		.amdhsa_exception_fp_ieee_invalid_op 0
		.amdhsa_exception_fp_denorm_src 0
		.amdhsa_exception_fp_ieee_div_zero 0
		.amdhsa_exception_fp_ieee_overflow 0
		.amdhsa_exception_fp_ieee_underflow 0
		.amdhsa_exception_fp_ieee_inexact 0
		.amdhsa_exception_int_div_zero 0
	.end_amdhsa_kernel
	.section	.text._ZN7rocprim17ROCPRIM_400000_NS6detail17trampoline_kernelINS0_14default_configENS1_21merge_config_selectorIiNS0_10empty_typeEEEZNS1_10merge_implIS3_N6thrust23THRUST_200600_302600_NS6detail15normal_iteratorINS9_10device_ptrIKiEEEESF_NSB_INSC_IiEEEEPS5_SI_SI_NS9_7greaterIiEEEE10hipError_tPvRmT0_T1_T2_T3_T4_T5_mmT6_P12ihipStream_tbEUlT_E_NS1_11comp_targetILNS1_3genE4ELNS1_11target_archE910ELNS1_3gpuE8ELNS1_3repE0EEENS1_30default_config_static_selectorELNS0_4arch9wavefront6targetE1EEEvSP_,"axG",@progbits,_ZN7rocprim17ROCPRIM_400000_NS6detail17trampoline_kernelINS0_14default_configENS1_21merge_config_selectorIiNS0_10empty_typeEEEZNS1_10merge_implIS3_N6thrust23THRUST_200600_302600_NS6detail15normal_iteratorINS9_10device_ptrIKiEEEESF_NSB_INSC_IiEEEEPS5_SI_SI_NS9_7greaterIiEEEE10hipError_tPvRmT0_T1_T2_T3_T4_T5_mmT6_P12ihipStream_tbEUlT_E_NS1_11comp_targetILNS1_3genE4ELNS1_11target_archE910ELNS1_3gpuE8ELNS1_3repE0EEENS1_30default_config_static_selectorELNS0_4arch9wavefront6targetE1EEEvSP_,comdat
.Lfunc_end571:
	.size	_ZN7rocprim17ROCPRIM_400000_NS6detail17trampoline_kernelINS0_14default_configENS1_21merge_config_selectorIiNS0_10empty_typeEEEZNS1_10merge_implIS3_N6thrust23THRUST_200600_302600_NS6detail15normal_iteratorINS9_10device_ptrIKiEEEESF_NSB_INSC_IiEEEEPS5_SI_SI_NS9_7greaterIiEEEE10hipError_tPvRmT0_T1_T2_T3_T4_T5_mmT6_P12ihipStream_tbEUlT_E_NS1_11comp_targetILNS1_3genE4ELNS1_11target_archE910ELNS1_3gpuE8ELNS1_3repE0EEENS1_30default_config_static_selectorELNS0_4arch9wavefront6targetE1EEEvSP_, .Lfunc_end571-_ZN7rocprim17ROCPRIM_400000_NS6detail17trampoline_kernelINS0_14default_configENS1_21merge_config_selectorIiNS0_10empty_typeEEEZNS1_10merge_implIS3_N6thrust23THRUST_200600_302600_NS6detail15normal_iteratorINS9_10device_ptrIKiEEEESF_NSB_INSC_IiEEEEPS5_SI_SI_NS9_7greaterIiEEEE10hipError_tPvRmT0_T1_T2_T3_T4_T5_mmT6_P12ihipStream_tbEUlT_E_NS1_11comp_targetILNS1_3genE4ELNS1_11target_archE910ELNS1_3gpuE8ELNS1_3repE0EEENS1_30default_config_static_selectorELNS0_4arch9wavefront6targetE1EEEvSP_
                                        ; -- End function
	.section	.AMDGPU.csdata,"",@progbits
; Kernel info:
; codeLenInByte = 476
; NumSgprs: 18
; NumVgprs: 14
; NumAgprs: 0
; TotalNumVgprs: 14
; ScratchSize: 0
; MemoryBound: 0
; FloatMode: 240
; IeeeMode: 1
; LDSByteSize: 0 bytes/workgroup (compile time only)
; SGPRBlocks: 2
; VGPRBlocks: 1
; NumSGPRsForWavesPerEU: 18
; NumVGPRsForWavesPerEU: 14
; AccumOffset: 16
; Occupancy: 8
; WaveLimiterHint : 0
; COMPUTE_PGM_RSRC2:SCRATCH_EN: 0
; COMPUTE_PGM_RSRC2:USER_SGPR: 6
; COMPUTE_PGM_RSRC2:TRAP_HANDLER: 0
; COMPUTE_PGM_RSRC2:TGID_X_EN: 1
; COMPUTE_PGM_RSRC2:TGID_Y_EN: 0
; COMPUTE_PGM_RSRC2:TGID_Z_EN: 0
; COMPUTE_PGM_RSRC2:TIDIG_COMP_CNT: 0
; COMPUTE_PGM_RSRC3_GFX90A:ACCUM_OFFSET: 3
; COMPUTE_PGM_RSRC3_GFX90A:TG_SPLIT: 0
	.section	.text._ZN7rocprim17ROCPRIM_400000_NS6detail17trampoline_kernelINS0_14default_configENS1_21merge_config_selectorIiNS0_10empty_typeEEEZNS1_10merge_implIS3_N6thrust23THRUST_200600_302600_NS6detail15normal_iteratorINS9_10device_ptrIKiEEEESF_NSB_INSC_IiEEEEPS5_SI_SI_NS9_7greaterIiEEEE10hipError_tPvRmT0_T1_T2_T3_T4_T5_mmT6_P12ihipStream_tbEUlT_E_NS1_11comp_targetILNS1_3genE3ELNS1_11target_archE908ELNS1_3gpuE7ELNS1_3repE0EEENS1_30default_config_static_selectorELNS0_4arch9wavefront6targetE1EEEvSP_,"axG",@progbits,_ZN7rocprim17ROCPRIM_400000_NS6detail17trampoline_kernelINS0_14default_configENS1_21merge_config_selectorIiNS0_10empty_typeEEEZNS1_10merge_implIS3_N6thrust23THRUST_200600_302600_NS6detail15normal_iteratorINS9_10device_ptrIKiEEEESF_NSB_INSC_IiEEEEPS5_SI_SI_NS9_7greaterIiEEEE10hipError_tPvRmT0_T1_T2_T3_T4_T5_mmT6_P12ihipStream_tbEUlT_E_NS1_11comp_targetILNS1_3genE3ELNS1_11target_archE908ELNS1_3gpuE7ELNS1_3repE0EEENS1_30default_config_static_selectorELNS0_4arch9wavefront6targetE1EEEvSP_,comdat
	.protected	_ZN7rocprim17ROCPRIM_400000_NS6detail17trampoline_kernelINS0_14default_configENS1_21merge_config_selectorIiNS0_10empty_typeEEEZNS1_10merge_implIS3_N6thrust23THRUST_200600_302600_NS6detail15normal_iteratorINS9_10device_ptrIKiEEEESF_NSB_INSC_IiEEEEPS5_SI_SI_NS9_7greaterIiEEEE10hipError_tPvRmT0_T1_T2_T3_T4_T5_mmT6_P12ihipStream_tbEUlT_E_NS1_11comp_targetILNS1_3genE3ELNS1_11target_archE908ELNS1_3gpuE7ELNS1_3repE0EEENS1_30default_config_static_selectorELNS0_4arch9wavefront6targetE1EEEvSP_ ; -- Begin function _ZN7rocprim17ROCPRIM_400000_NS6detail17trampoline_kernelINS0_14default_configENS1_21merge_config_selectorIiNS0_10empty_typeEEEZNS1_10merge_implIS3_N6thrust23THRUST_200600_302600_NS6detail15normal_iteratorINS9_10device_ptrIKiEEEESF_NSB_INSC_IiEEEEPS5_SI_SI_NS9_7greaterIiEEEE10hipError_tPvRmT0_T1_T2_T3_T4_T5_mmT6_P12ihipStream_tbEUlT_E_NS1_11comp_targetILNS1_3genE3ELNS1_11target_archE908ELNS1_3gpuE7ELNS1_3repE0EEENS1_30default_config_static_selectorELNS0_4arch9wavefront6targetE1EEEvSP_
	.globl	_ZN7rocprim17ROCPRIM_400000_NS6detail17trampoline_kernelINS0_14default_configENS1_21merge_config_selectorIiNS0_10empty_typeEEEZNS1_10merge_implIS3_N6thrust23THRUST_200600_302600_NS6detail15normal_iteratorINS9_10device_ptrIKiEEEESF_NSB_INSC_IiEEEEPS5_SI_SI_NS9_7greaterIiEEEE10hipError_tPvRmT0_T1_T2_T3_T4_T5_mmT6_P12ihipStream_tbEUlT_E_NS1_11comp_targetILNS1_3genE3ELNS1_11target_archE908ELNS1_3gpuE7ELNS1_3repE0EEENS1_30default_config_static_selectorELNS0_4arch9wavefront6targetE1EEEvSP_
	.p2align	8
	.type	_ZN7rocprim17ROCPRIM_400000_NS6detail17trampoline_kernelINS0_14default_configENS1_21merge_config_selectorIiNS0_10empty_typeEEEZNS1_10merge_implIS3_N6thrust23THRUST_200600_302600_NS6detail15normal_iteratorINS9_10device_ptrIKiEEEESF_NSB_INSC_IiEEEEPS5_SI_SI_NS9_7greaterIiEEEE10hipError_tPvRmT0_T1_T2_T3_T4_T5_mmT6_P12ihipStream_tbEUlT_E_NS1_11comp_targetILNS1_3genE3ELNS1_11target_archE908ELNS1_3gpuE7ELNS1_3repE0EEENS1_30default_config_static_selectorELNS0_4arch9wavefront6targetE1EEEvSP_,@function
_ZN7rocprim17ROCPRIM_400000_NS6detail17trampoline_kernelINS0_14default_configENS1_21merge_config_selectorIiNS0_10empty_typeEEEZNS1_10merge_implIS3_N6thrust23THRUST_200600_302600_NS6detail15normal_iteratorINS9_10device_ptrIKiEEEESF_NSB_INSC_IiEEEEPS5_SI_SI_NS9_7greaterIiEEEE10hipError_tPvRmT0_T1_T2_T3_T4_T5_mmT6_P12ihipStream_tbEUlT_E_NS1_11comp_targetILNS1_3genE3ELNS1_11target_archE908ELNS1_3gpuE7ELNS1_3repE0EEENS1_30default_config_static_selectorELNS0_4arch9wavefront6targetE1EEEvSP_: ; @_ZN7rocprim17ROCPRIM_400000_NS6detail17trampoline_kernelINS0_14default_configENS1_21merge_config_selectorIiNS0_10empty_typeEEEZNS1_10merge_implIS3_N6thrust23THRUST_200600_302600_NS6detail15normal_iteratorINS9_10device_ptrIKiEEEESF_NSB_INSC_IiEEEEPS5_SI_SI_NS9_7greaterIiEEEE10hipError_tPvRmT0_T1_T2_T3_T4_T5_mmT6_P12ihipStream_tbEUlT_E_NS1_11comp_targetILNS1_3genE3ELNS1_11target_archE908ELNS1_3gpuE7ELNS1_3repE0EEENS1_30default_config_static_selectorELNS0_4arch9wavefront6targetE1EEEvSP_
; %bb.0:
	.section	.rodata,"a",@progbits
	.p2align	6, 0x0
	.amdhsa_kernel _ZN7rocprim17ROCPRIM_400000_NS6detail17trampoline_kernelINS0_14default_configENS1_21merge_config_selectorIiNS0_10empty_typeEEEZNS1_10merge_implIS3_N6thrust23THRUST_200600_302600_NS6detail15normal_iteratorINS9_10device_ptrIKiEEEESF_NSB_INSC_IiEEEEPS5_SI_SI_NS9_7greaterIiEEEE10hipError_tPvRmT0_T1_T2_T3_T4_T5_mmT6_P12ihipStream_tbEUlT_E_NS1_11comp_targetILNS1_3genE3ELNS1_11target_archE908ELNS1_3gpuE7ELNS1_3repE0EEENS1_30default_config_static_selectorELNS0_4arch9wavefront6targetE1EEEvSP_
		.amdhsa_group_segment_fixed_size 0
		.amdhsa_private_segment_fixed_size 0
		.amdhsa_kernarg_size 48
		.amdhsa_user_sgpr_count 6
		.amdhsa_user_sgpr_private_segment_buffer 1
		.amdhsa_user_sgpr_dispatch_ptr 0
		.amdhsa_user_sgpr_queue_ptr 0
		.amdhsa_user_sgpr_kernarg_segment_ptr 1
		.amdhsa_user_sgpr_dispatch_id 0
		.amdhsa_user_sgpr_flat_scratch_init 0
		.amdhsa_user_sgpr_kernarg_preload_length 0
		.amdhsa_user_sgpr_kernarg_preload_offset 0
		.amdhsa_user_sgpr_private_segment_size 0
		.amdhsa_uses_dynamic_stack 0
		.amdhsa_system_sgpr_private_segment_wavefront_offset 0
		.amdhsa_system_sgpr_workgroup_id_x 1
		.amdhsa_system_sgpr_workgroup_id_y 0
		.amdhsa_system_sgpr_workgroup_id_z 0
		.amdhsa_system_sgpr_workgroup_info 0
		.amdhsa_system_vgpr_workitem_id 0
		.amdhsa_next_free_vgpr 1
		.amdhsa_next_free_sgpr 0
		.amdhsa_accum_offset 4
		.amdhsa_reserve_vcc 0
		.amdhsa_reserve_flat_scratch 0
		.amdhsa_float_round_mode_32 0
		.amdhsa_float_round_mode_16_64 0
		.amdhsa_float_denorm_mode_32 3
		.amdhsa_float_denorm_mode_16_64 3
		.amdhsa_dx10_clamp 1
		.amdhsa_ieee_mode 1
		.amdhsa_fp16_overflow 0
		.amdhsa_tg_split 0
		.amdhsa_exception_fp_ieee_invalid_op 0
		.amdhsa_exception_fp_denorm_src 0
		.amdhsa_exception_fp_ieee_div_zero 0
		.amdhsa_exception_fp_ieee_overflow 0
		.amdhsa_exception_fp_ieee_underflow 0
		.amdhsa_exception_fp_ieee_inexact 0
		.amdhsa_exception_int_div_zero 0
	.end_amdhsa_kernel
	.section	.text._ZN7rocprim17ROCPRIM_400000_NS6detail17trampoline_kernelINS0_14default_configENS1_21merge_config_selectorIiNS0_10empty_typeEEEZNS1_10merge_implIS3_N6thrust23THRUST_200600_302600_NS6detail15normal_iteratorINS9_10device_ptrIKiEEEESF_NSB_INSC_IiEEEEPS5_SI_SI_NS9_7greaterIiEEEE10hipError_tPvRmT0_T1_T2_T3_T4_T5_mmT6_P12ihipStream_tbEUlT_E_NS1_11comp_targetILNS1_3genE3ELNS1_11target_archE908ELNS1_3gpuE7ELNS1_3repE0EEENS1_30default_config_static_selectorELNS0_4arch9wavefront6targetE1EEEvSP_,"axG",@progbits,_ZN7rocprim17ROCPRIM_400000_NS6detail17trampoline_kernelINS0_14default_configENS1_21merge_config_selectorIiNS0_10empty_typeEEEZNS1_10merge_implIS3_N6thrust23THRUST_200600_302600_NS6detail15normal_iteratorINS9_10device_ptrIKiEEEESF_NSB_INSC_IiEEEEPS5_SI_SI_NS9_7greaterIiEEEE10hipError_tPvRmT0_T1_T2_T3_T4_T5_mmT6_P12ihipStream_tbEUlT_E_NS1_11comp_targetILNS1_3genE3ELNS1_11target_archE908ELNS1_3gpuE7ELNS1_3repE0EEENS1_30default_config_static_selectorELNS0_4arch9wavefront6targetE1EEEvSP_,comdat
.Lfunc_end572:
	.size	_ZN7rocprim17ROCPRIM_400000_NS6detail17trampoline_kernelINS0_14default_configENS1_21merge_config_selectorIiNS0_10empty_typeEEEZNS1_10merge_implIS3_N6thrust23THRUST_200600_302600_NS6detail15normal_iteratorINS9_10device_ptrIKiEEEESF_NSB_INSC_IiEEEEPS5_SI_SI_NS9_7greaterIiEEEE10hipError_tPvRmT0_T1_T2_T3_T4_T5_mmT6_P12ihipStream_tbEUlT_E_NS1_11comp_targetILNS1_3genE3ELNS1_11target_archE908ELNS1_3gpuE7ELNS1_3repE0EEENS1_30default_config_static_selectorELNS0_4arch9wavefront6targetE1EEEvSP_, .Lfunc_end572-_ZN7rocprim17ROCPRIM_400000_NS6detail17trampoline_kernelINS0_14default_configENS1_21merge_config_selectorIiNS0_10empty_typeEEEZNS1_10merge_implIS3_N6thrust23THRUST_200600_302600_NS6detail15normal_iteratorINS9_10device_ptrIKiEEEESF_NSB_INSC_IiEEEEPS5_SI_SI_NS9_7greaterIiEEEE10hipError_tPvRmT0_T1_T2_T3_T4_T5_mmT6_P12ihipStream_tbEUlT_E_NS1_11comp_targetILNS1_3genE3ELNS1_11target_archE908ELNS1_3gpuE7ELNS1_3repE0EEENS1_30default_config_static_selectorELNS0_4arch9wavefront6targetE1EEEvSP_
                                        ; -- End function
	.section	.AMDGPU.csdata,"",@progbits
; Kernel info:
; codeLenInByte = 0
; NumSgprs: 4
; NumVgprs: 0
; NumAgprs: 0
; TotalNumVgprs: 0
; ScratchSize: 0
; MemoryBound: 0
; FloatMode: 240
; IeeeMode: 1
; LDSByteSize: 0 bytes/workgroup (compile time only)
; SGPRBlocks: 0
; VGPRBlocks: 0
; NumSGPRsForWavesPerEU: 4
; NumVGPRsForWavesPerEU: 1
; AccumOffset: 4
; Occupancy: 8
; WaveLimiterHint : 0
; COMPUTE_PGM_RSRC2:SCRATCH_EN: 0
; COMPUTE_PGM_RSRC2:USER_SGPR: 6
; COMPUTE_PGM_RSRC2:TRAP_HANDLER: 0
; COMPUTE_PGM_RSRC2:TGID_X_EN: 1
; COMPUTE_PGM_RSRC2:TGID_Y_EN: 0
; COMPUTE_PGM_RSRC2:TGID_Z_EN: 0
; COMPUTE_PGM_RSRC2:TIDIG_COMP_CNT: 0
; COMPUTE_PGM_RSRC3_GFX90A:ACCUM_OFFSET: 0
; COMPUTE_PGM_RSRC3_GFX90A:TG_SPLIT: 0
	.section	.text._ZN7rocprim17ROCPRIM_400000_NS6detail17trampoline_kernelINS0_14default_configENS1_21merge_config_selectorIiNS0_10empty_typeEEEZNS1_10merge_implIS3_N6thrust23THRUST_200600_302600_NS6detail15normal_iteratorINS9_10device_ptrIKiEEEESF_NSB_INSC_IiEEEEPS5_SI_SI_NS9_7greaterIiEEEE10hipError_tPvRmT0_T1_T2_T3_T4_T5_mmT6_P12ihipStream_tbEUlT_E_NS1_11comp_targetILNS1_3genE2ELNS1_11target_archE906ELNS1_3gpuE6ELNS1_3repE0EEENS1_30default_config_static_selectorELNS0_4arch9wavefront6targetE1EEEvSP_,"axG",@progbits,_ZN7rocprim17ROCPRIM_400000_NS6detail17trampoline_kernelINS0_14default_configENS1_21merge_config_selectorIiNS0_10empty_typeEEEZNS1_10merge_implIS3_N6thrust23THRUST_200600_302600_NS6detail15normal_iteratorINS9_10device_ptrIKiEEEESF_NSB_INSC_IiEEEEPS5_SI_SI_NS9_7greaterIiEEEE10hipError_tPvRmT0_T1_T2_T3_T4_T5_mmT6_P12ihipStream_tbEUlT_E_NS1_11comp_targetILNS1_3genE2ELNS1_11target_archE906ELNS1_3gpuE6ELNS1_3repE0EEENS1_30default_config_static_selectorELNS0_4arch9wavefront6targetE1EEEvSP_,comdat
	.protected	_ZN7rocprim17ROCPRIM_400000_NS6detail17trampoline_kernelINS0_14default_configENS1_21merge_config_selectorIiNS0_10empty_typeEEEZNS1_10merge_implIS3_N6thrust23THRUST_200600_302600_NS6detail15normal_iteratorINS9_10device_ptrIKiEEEESF_NSB_INSC_IiEEEEPS5_SI_SI_NS9_7greaterIiEEEE10hipError_tPvRmT0_T1_T2_T3_T4_T5_mmT6_P12ihipStream_tbEUlT_E_NS1_11comp_targetILNS1_3genE2ELNS1_11target_archE906ELNS1_3gpuE6ELNS1_3repE0EEENS1_30default_config_static_selectorELNS0_4arch9wavefront6targetE1EEEvSP_ ; -- Begin function _ZN7rocprim17ROCPRIM_400000_NS6detail17trampoline_kernelINS0_14default_configENS1_21merge_config_selectorIiNS0_10empty_typeEEEZNS1_10merge_implIS3_N6thrust23THRUST_200600_302600_NS6detail15normal_iteratorINS9_10device_ptrIKiEEEESF_NSB_INSC_IiEEEEPS5_SI_SI_NS9_7greaterIiEEEE10hipError_tPvRmT0_T1_T2_T3_T4_T5_mmT6_P12ihipStream_tbEUlT_E_NS1_11comp_targetILNS1_3genE2ELNS1_11target_archE906ELNS1_3gpuE6ELNS1_3repE0EEENS1_30default_config_static_selectorELNS0_4arch9wavefront6targetE1EEEvSP_
	.globl	_ZN7rocprim17ROCPRIM_400000_NS6detail17trampoline_kernelINS0_14default_configENS1_21merge_config_selectorIiNS0_10empty_typeEEEZNS1_10merge_implIS3_N6thrust23THRUST_200600_302600_NS6detail15normal_iteratorINS9_10device_ptrIKiEEEESF_NSB_INSC_IiEEEEPS5_SI_SI_NS9_7greaterIiEEEE10hipError_tPvRmT0_T1_T2_T3_T4_T5_mmT6_P12ihipStream_tbEUlT_E_NS1_11comp_targetILNS1_3genE2ELNS1_11target_archE906ELNS1_3gpuE6ELNS1_3repE0EEENS1_30default_config_static_selectorELNS0_4arch9wavefront6targetE1EEEvSP_
	.p2align	8
	.type	_ZN7rocprim17ROCPRIM_400000_NS6detail17trampoline_kernelINS0_14default_configENS1_21merge_config_selectorIiNS0_10empty_typeEEEZNS1_10merge_implIS3_N6thrust23THRUST_200600_302600_NS6detail15normal_iteratorINS9_10device_ptrIKiEEEESF_NSB_INSC_IiEEEEPS5_SI_SI_NS9_7greaterIiEEEE10hipError_tPvRmT0_T1_T2_T3_T4_T5_mmT6_P12ihipStream_tbEUlT_E_NS1_11comp_targetILNS1_3genE2ELNS1_11target_archE906ELNS1_3gpuE6ELNS1_3repE0EEENS1_30default_config_static_selectorELNS0_4arch9wavefront6targetE1EEEvSP_,@function
_ZN7rocprim17ROCPRIM_400000_NS6detail17trampoline_kernelINS0_14default_configENS1_21merge_config_selectorIiNS0_10empty_typeEEEZNS1_10merge_implIS3_N6thrust23THRUST_200600_302600_NS6detail15normal_iteratorINS9_10device_ptrIKiEEEESF_NSB_INSC_IiEEEEPS5_SI_SI_NS9_7greaterIiEEEE10hipError_tPvRmT0_T1_T2_T3_T4_T5_mmT6_P12ihipStream_tbEUlT_E_NS1_11comp_targetILNS1_3genE2ELNS1_11target_archE906ELNS1_3gpuE6ELNS1_3repE0EEENS1_30default_config_static_selectorELNS0_4arch9wavefront6targetE1EEEvSP_: ; @_ZN7rocprim17ROCPRIM_400000_NS6detail17trampoline_kernelINS0_14default_configENS1_21merge_config_selectorIiNS0_10empty_typeEEEZNS1_10merge_implIS3_N6thrust23THRUST_200600_302600_NS6detail15normal_iteratorINS9_10device_ptrIKiEEEESF_NSB_INSC_IiEEEEPS5_SI_SI_NS9_7greaterIiEEEE10hipError_tPvRmT0_T1_T2_T3_T4_T5_mmT6_P12ihipStream_tbEUlT_E_NS1_11comp_targetILNS1_3genE2ELNS1_11target_archE906ELNS1_3gpuE6ELNS1_3repE0EEENS1_30default_config_static_selectorELNS0_4arch9wavefront6targetE1EEEvSP_
; %bb.0:
	.section	.rodata,"a",@progbits
	.p2align	6, 0x0
	.amdhsa_kernel _ZN7rocprim17ROCPRIM_400000_NS6detail17trampoline_kernelINS0_14default_configENS1_21merge_config_selectorIiNS0_10empty_typeEEEZNS1_10merge_implIS3_N6thrust23THRUST_200600_302600_NS6detail15normal_iteratorINS9_10device_ptrIKiEEEESF_NSB_INSC_IiEEEEPS5_SI_SI_NS9_7greaterIiEEEE10hipError_tPvRmT0_T1_T2_T3_T4_T5_mmT6_P12ihipStream_tbEUlT_E_NS1_11comp_targetILNS1_3genE2ELNS1_11target_archE906ELNS1_3gpuE6ELNS1_3repE0EEENS1_30default_config_static_selectorELNS0_4arch9wavefront6targetE1EEEvSP_
		.amdhsa_group_segment_fixed_size 0
		.amdhsa_private_segment_fixed_size 0
		.amdhsa_kernarg_size 48
		.amdhsa_user_sgpr_count 6
		.amdhsa_user_sgpr_private_segment_buffer 1
		.amdhsa_user_sgpr_dispatch_ptr 0
		.amdhsa_user_sgpr_queue_ptr 0
		.amdhsa_user_sgpr_kernarg_segment_ptr 1
		.amdhsa_user_sgpr_dispatch_id 0
		.amdhsa_user_sgpr_flat_scratch_init 0
		.amdhsa_user_sgpr_kernarg_preload_length 0
		.amdhsa_user_sgpr_kernarg_preload_offset 0
		.amdhsa_user_sgpr_private_segment_size 0
		.amdhsa_uses_dynamic_stack 0
		.amdhsa_system_sgpr_private_segment_wavefront_offset 0
		.amdhsa_system_sgpr_workgroup_id_x 1
		.amdhsa_system_sgpr_workgroup_id_y 0
		.amdhsa_system_sgpr_workgroup_id_z 0
		.amdhsa_system_sgpr_workgroup_info 0
		.amdhsa_system_vgpr_workitem_id 0
		.amdhsa_next_free_vgpr 1
		.amdhsa_next_free_sgpr 0
		.amdhsa_accum_offset 4
		.amdhsa_reserve_vcc 0
		.amdhsa_reserve_flat_scratch 0
		.amdhsa_float_round_mode_32 0
		.amdhsa_float_round_mode_16_64 0
		.amdhsa_float_denorm_mode_32 3
		.amdhsa_float_denorm_mode_16_64 3
		.amdhsa_dx10_clamp 1
		.amdhsa_ieee_mode 1
		.amdhsa_fp16_overflow 0
		.amdhsa_tg_split 0
		.amdhsa_exception_fp_ieee_invalid_op 0
		.amdhsa_exception_fp_denorm_src 0
		.amdhsa_exception_fp_ieee_div_zero 0
		.amdhsa_exception_fp_ieee_overflow 0
		.amdhsa_exception_fp_ieee_underflow 0
		.amdhsa_exception_fp_ieee_inexact 0
		.amdhsa_exception_int_div_zero 0
	.end_amdhsa_kernel
	.section	.text._ZN7rocprim17ROCPRIM_400000_NS6detail17trampoline_kernelINS0_14default_configENS1_21merge_config_selectorIiNS0_10empty_typeEEEZNS1_10merge_implIS3_N6thrust23THRUST_200600_302600_NS6detail15normal_iteratorINS9_10device_ptrIKiEEEESF_NSB_INSC_IiEEEEPS5_SI_SI_NS9_7greaterIiEEEE10hipError_tPvRmT0_T1_T2_T3_T4_T5_mmT6_P12ihipStream_tbEUlT_E_NS1_11comp_targetILNS1_3genE2ELNS1_11target_archE906ELNS1_3gpuE6ELNS1_3repE0EEENS1_30default_config_static_selectorELNS0_4arch9wavefront6targetE1EEEvSP_,"axG",@progbits,_ZN7rocprim17ROCPRIM_400000_NS6detail17trampoline_kernelINS0_14default_configENS1_21merge_config_selectorIiNS0_10empty_typeEEEZNS1_10merge_implIS3_N6thrust23THRUST_200600_302600_NS6detail15normal_iteratorINS9_10device_ptrIKiEEEESF_NSB_INSC_IiEEEEPS5_SI_SI_NS9_7greaterIiEEEE10hipError_tPvRmT0_T1_T2_T3_T4_T5_mmT6_P12ihipStream_tbEUlT_E_NS1_11comp_targetILNS1_3genE2ELNS1_11target_archE906ELNS1_3gpuE6ELNS1_3repE0EEENS1_30default_config_static_selectorELNS0_4arch9wavefront6targetE1EEEvSP_,comdat
.Lfunc_end573:
	.size	_ZN7rocprim17ROCPRIM_400000_NS6detail17trampoline_kernelINS0_14default_configENS1_21merge_config_selectorIiNS0_10empty_typeEEEZNS1_10merge_implIS3_N6thrust23THRUST_200600_302600_NS6detail15normal_iteratorINS9_10device_ptrIKiEEEESF_NSB_INSC_IiEEEEPS5_SI_SI_NS9_7greaterIiEEEE10hipError_tPvRmT0_T1_T2_T3_T4_T5_mmT6_P12ihipStream_tbEUlT_E_NS1_11comp_targetILNS1_3genE2ELNS1_11target_archE906ELNS1_3gpuE6ELNS1_3repE0EEENS1_30default_config_static_selectorELNS0_4arch9wavefront6targetE1EEEvSP_, .Lfunc_end573-_ZN7rocprim17ROCPRIM_400000_NS6detail17trampoline_kernelINS0_14default_configENS1_21merge_config_selectorIiNS0_10empty_typeEEEZNS1_10merge_implIS3_N6thrust23THRUST_200600_302600_NS6detail15normal_iteratorINS9_10device_ptrIKiEEEESF_NSB_INSC_IiEEEEPS5_SI_SI_NS9_7greaterIiEEEE10hipError_tPvRmT0_T1_T2_T3_T4_T5_mmT6_P12ihipStream_tbEUlT_E_NS1_11comp_targetILNS1_3genE2ELNS1_11target_archE906ELNS1_3gpuE6ELNS1_3repE0EEENS1_30default_config_static_selectorELNS0_4arch9wavefront6targetE1EEEvSP_
                                        ; -- End function
	.section	.AMDGPU.csdata,"",@progbits
; Kernel info:
; codeLenInByte = 0
; NumSgprs: 4
; NumVgprs: 0
; NumAgprs: 0
; TotalNumVgprs: 0
; ScratchSize: 0
; MemoryBound: 0
; FloatMode: 240
; IeeeMode: 1
; LDSByteSize: 0 bytes/workgroup (compile time only)
; SGPRBlocks: 0
; VGPRBlocks: 0
; NumSGPRsForWavesPerEU: 4
; NumVGPRsForWavesPerEU: 1
; AccumOffset: 4
; Occupancy: 8
; WaveLimiterHint : 0
; COMPUTE_PGM_RSRC2:SCRATCH_EN: 0
; COMPUTE_PGM_RSRC2:USER_SGPR: 6
; COMPUTE_PGM_RSRC2:TRAP_HANDLER: 0
; COMPUTE_PGM_RSRC2:TGID_X_EN: 1
; COMPUTE_PGM_RSRC2:TGID_Y_EN: 0
; COMPUTE_PGM_RSRC2:TGID_Z_EN: 0
; COMPUTE_PGM_RSRC2:TIDIG_COMP_CNT: 0
; COMPUTE_PGM_RSRC3_GFX90A:ACCUM_OFFSET: 0
; COMPUTE_PGM_RSRC3_GFX90A:TG_SPLIT: 0
	.section	.text._ZN7rocprim17ROCPRIM_400000_NS6detail17trampoline_kernelINS0_14default_configENS1_21merge_config_selectorIiNS0_10empty_typeEEEZNS1_10merge_implIS3_N6thrust23THRUST_200600_302600_NS6detail15normal_iteratorINS9_10device_ptrIKiEEEESF_NSB_INSC_IiEEEEPS5_SI_SI_NS9_7greaterIiEEEE10hipError_tPvRmT0_T1_T2_T3_T4_T5_mmT6_P12ihipStream_tbEUlT_E_NS1_11comp_targetILNS1_3genE10ELNS1_11target_archE1201ELNS1_3gpuE5ELNS1_3repE0EEENS1_30default_config_static_selectorELNS0_4arch9wavefront6targetE1EEEvSP_,"axG",@progbits,_ZN7rocprim17ROCPRIM_400000_NS6detail17trampoline_kernelINS0_14default_configENS1_21merge_config_selectorIiNS0_10empty_typeEEEZNS1_10merge_implIS3_N6thrust23THRUST_200600_302600_NS6detail15normal_iteratorINS9_10device_ptrIKiEEEESF_NSB_INSC_IiEEEEPS5_SI_SI_NS9_7greaterIiEEEE10hipError_tPvRmT0_T1_T2_T3_T4_T5_mmT6_P12ihipStream_tbEUlT_E_NS1_11comp_targetILNS1_3genE10ELNS1_11target_archE1201ELNS1_3gpuE5ELNS1_3repE0EEENS1_30default_config_static_selectorELNS0_4arch9wavefront6targetE1EEEvSP_,comdat
	.protected	_ZN7rocprim17ROCPRIM_400000_NS6detail17trampoline_kernelINS0_14default_configENS1_21merge_config_selectorIiNS0_10empty_typeEEEZNS1_10merge_implIS3_N6thrust23THRUST_200600_302600_NS6detail15normal_iteratorINS9_10device_ptrIKiEEEESF_NSB_INSC_IiEEEEPS5_SI_SI_NS9_7greaterIiEEEE10hipError_tPvRmT0_T1_T2_T3_T4_T5_mmT6_P12ihipStream_tbEUlT_E_NS1_11comp_targetILNS1_3genE10ELNS1_11target_archE1201ELNS1_3gpuE5ELNS1_3repE0EEENS1_30default_config_static_selectorELNS0_4arch9wavefront6targetE1EEEvSP_ ; -- Begin function _ZN7rocprim17ROCPRIM_400000_NS6detail17trampoline_kernelINS0_14default_configENS1_21merge_config_selectorIiNS0_10empty_typeEEEZNS1_10merge_implIS3_N6thrust23THRUST_200600_302600_NS6detail15normal_iteratorINS9_10device_ptrIKiEEEESF_NSB_INSC_IiEEEEPS5_SI_SI_NS9_7greaterIiEEEE10hipError_tPvRmT0_T1_T2_T3_T4_T5_mmT6_P12ihipStream_tbEUlT_E_NS1_11comp_targetILNS1_3genE10ELNS1_11target_archE1201ELNS1_3gpuE5ELNS1_3repE0EEENS1_30default_config_static_selectorELNS0_4arch9wavefront6targetE1EEEvSP_
	.globl	_ZN7rocprim17ROCPRIM_400000_NS6detail17trampoline_kernelINS0_14default_configENS1_21merge_config_selectorIiNS0_10empty_typeEEEZNS1_10merge_implIS3_N6thrust23THRUST_200600_302600_NS6detail15normal_iteratorINS9_10device_ptrIKiEEEESF_NSB_INSC_IiEEEEPS5_SI_SI_NS9_7greaterIiEEEE10hipError_tPvRmT0_T1_T2_T3_T4_T5_mmT6_P12ihipStream_tbEUlT_E_NS1_11comp_targetILNS1_3genE10ELNS1_11target_archE1201ELNS1_3gpuE5ELNS1_3repE0EEENS1_30default_config_static_selectorELNS0_4arch9wavefront6targetE1EEEvSP_
	.p2align	8
	.type	_ZN7rocprim17ROCPRIM_400000_NS6detail17trampoline_kernelINS0_14default_configENS1_21merge_config_selectorIiNS0_10empty_typeEEEZNS1_10merge_implIS3_N6thrust23THRUST_200600_302600_NS6detail15normal_iteratorINS9_10device_ptrIKiEEEESF_NSB_INSC_IiEEEEPS5_SI_SI_NS9_7greaterIiEEEE10hipError_tPvRmT0_T1_T2_T3_T4_T5_mmT6_P12ihipStream_tbEUlT_E_NS1_11comp_targetILNS1_3genE10ELNS1_11target_archE1201ELNS1_3gpuE5ELNS1_3repE0EEENS1_30default_config_static_selectorELNS0_4arch9wavefront6targetE1EEEvSP_,@function
_ZN7rocprim17ROCPRIM_400000_NS6detail17trampoline_kernelINS0_14default_configENS1_21merge_config_selectorIiNS0_10empty_typeEEEZNS1_10merge_implIS3_N6thrust23THRUST_200600_302600_NS6detail15normal_iteratorINS9_10device_ptrIKiEEEESF_NSB_INSC_IiEEEEPS5_SI_SI_NS9_7greaterIiEEEE10hipError_tPvRmT0_T1_T2_T3_T4_T5_mmT6_P12ihipStream_tbEUlT_E_NS1_11comp_targetILNS1_3genE10ELNS1_11target_archE1201ELNS1_3gpuE5ELNS1_3repE0EEENS1_30default_config_static_selectorELNS0_4arch9wavefront6targetE1EEEvSP_: ; @_ZN7rocprim17ROCPRIM_400000_NS6detail17trampoline_kernelINS0_14default_configENS1_21merge_config_selectorIiNS0_10empty_typeEEEZNS1_10merge_implIS3_N6thrust23THRUST_200600_302600_NS6detail15normal_iteratorINS9_10device_ptrIKiEEEESF_NSB_INSC_IiEEEEPS5_SI_SI_NS9_7greaterIiEEEE10hipError_tPvRmT0_T1_T2_T3_T4_T5_mmT6_P12ihipStream_tbEUlT_E_NS1_11comp_targetILNS1_3genE10ELNS1_11target_archE1201ELNS1_3gpuE5ELNS1_3repE0EEENS1_30default_config_static_selectorELNS0_4arch9wavefront6targetE1EEEvSP_
; %bb.0:
	.section	.rodata,"a",@progbits
	.p2align	6, 0x0
	.amdhsa_kernel _ZN7rocprim17ROCPRIM_400000_NS6detail17trampoline_kernelINS0_14default_configENS1_21merge_config_selectorIiNS0_10empty_typeEEEZNS1_10merge_implIS3_N6thrust23THRUST_200600_302600_NS6detail15normal_iteratorINS9_10device_ptrIKiEEEESF_NSB_INSC_IiEEEEPS5_SI_SI_NS9_7greaterIiEEEE10hipError_tPvRmT0_T1_T2_T3_T4_T5_mmT6_P12ihipStream_tbEUlT_E_NS1_11comp_targetILNS1_3genE10ELNS1_11target_archE1201ELNS1_3gpuE5ELNS1_3repE0EEENS1_30default_config_static_selectorELNS0_4arch9wavefront6targetE1EEEvSP_
		.amdhsa_group_segment_fixed_size 0
		.amdhsa_private_segment_fixed_size 0
		.amdhsa_kernarg_size 48
		.amdhsa_user_sgpr_count 6
		.amdhsa_user_sgpr_private_segment_buffer 1
		.amdhsa_user_sgpr_dispatch_ptr 0
		.amdhsa_user_sgpr_queue_ptr 0
		.amdhsa_user_sgpr_kernarg_segment_ptr 1
		.amdhsa_user_sgpr_dispatch_id 0
		.amdhsa_user_sgpr_flat_scratch_init 0
		.amdhsa_user_sgpr_kernarg_preload_length 0
		.amdhsa_user_sgpr_kernarg_preload_offset 0
		.amdhsa_user_sgpr_private_segment_size 0
		.amdhsa_uses_dynamic_stack 0
		.amdhsa_system_sgpr_private_segment_wavefront_offset 0
		.amdhsa_system_sgpr_workgroup_id_x 1
		.amdhsa_system_sgpr_workgroup_id_y 0
		.amdhsa_system_sgpr_workgroup_id_z 0
		.amdhsa_system_sgpr_workgroup_info 0
		.amdhsa_system_vgpr_workitem_id 0
		.amdhsa_next_free_vgpr 1
		.amdhsa_next_free_sgpr 0
		.amdhsa_accum_offset 4
		.amdhsa_reserve_vcc 0
		.amdhsa_reserve_flat_scratch 0
		.amdhsa_float_round_mode_32 0
		.amdhsa_float_round_mode_16_64 0
		.amdhsa_float_denorm_mode_32 3
		.amdhsa_float_denorm_mode_16_64 3
		.amdhsa_dx10_clamp 1
		.amdhsa_ieee_mode 1
		.amdhsa_fp16_overflow 0
		.amdhsa_tg_split 0
		.amdhsa_exception_fp_ieee_invalid_op 0
		.amdhsa_exception_fp_denorm_src 0
		.amdhsa_exception_fp_ieee_div_zero 0
		.amdhsa_exception_fp_ieee_overflow 0
		.amdhsa_exception_fp_ieee_underflow 0
		.amdhsa_exception_fp_ieee_inexact 0
		.amdhsa_exception_int_div_zero 0
	.end_amdhsa_kernel
	.section	.text._ZN7rocprim17ROCPRIM_400000_NS6detail17trampoline_kernelINS0_14default_configENS1_21merge_config_selectorIiNS0_10empty_typeEEEZNS1_10merge_implIS3_N6thrust23THRUST_200600_302600_NS6detail15normal_iteratorINS9_10device_ptrIKiEEEESF_NSB_INSC_IiEEEEPS5_SI_SI_NS9_7greaterIiEEEE10hipError_tPvRmT0_T1_T2_T3_T4_T5_mmT6_P12ihipStream_tbEUlT_E_NS1_11comp_targetILNS1_3genE10ELNS1_11target_archE1201ELNS1_3gpuE5ELNS1_3repE0EEENS1_30default_config_static_selectorELNS0_4arch9wavefront6targetE1EEEvSP_,"axG",@progbits,_ZN7rocprim17ROCPRIM_400000_NS6detail17trampoline_kernelINS0_14default_configENS1_21merge_config_selectorIiNS0_10empty_typeEEEZNS1_10merge_implIS3_N6thrust23THRUST_200600_302600_NS6detail15normal_iteratorINS9_10device_ptrIKiEEEESF_NSB_INSC_IiEEEEPS5_SI_SI_NS9_7greaterIiEEEE10hipError_tPvRmT0_T1_T2_T3_T4_T5_mmT6_P12ihipStream_tbEUlT_E_NS1_11comp_targetILNS1_3genE10ELNS1_11target_archE1201ELNS1_3gpuE5ELNS1_3repE0EEENS1_30default_config_static_selectorELNS0_4arch9wavefront6targetE1EEEvSP_,comdat
.Lfunc_end574:
	.size	_ZN7rocprim17ROCPRIM_400000_NS6detail17trampoline_kernelINS0_14default_configENS1_21merge_config_selectorIiNS0_10empty_typeEEEZNS1_10merge_implIS3_N6thrust23THRUST_200600_302600_NS6detail15normal_iteratorINS9_10device_ptrIKiEEEESF_NSB_INSC_IiEEEEPS5_SI_SI_NS9_7greaterIiEEEE10hipError_tPvRmT0_T1_T2_T3_T4_T5_mmT6_P12ihipStream_tbEUlT_E_NS1_11comp_targetILNS1_3genE10ELNS1_11target_archE1201ELNS1_3gpuE5ELNS1_3repE0EEENS1_30default_config_static_selectorELNS0_4arch9wavefront6targetE1EEEvSP_, .Lfunc_end574-_ZN7rocprim17ROCPRIM_400000_NS6detail17trampoline_kernelINS0_14default_configENS1_21merge_config_selectorIiNS0_10empty_typeEEEZNS1_10merge_implIS3_N6thrust23THRUST_200600_302600_NS6detail15normal_iteratorINS9_10device_ptrIKiEEEESF_NSB_INSC_IiEEEEPS5_SI_SI_NS9_7greaterIiEEEE10hipError_tPvRmT0_T1_T2_T3_T4_T5_mmT6_P12ihipStream_tbEUlT_E_NS1_11comp_targetILNS1_3genE10ELNS1_11target_archE1201ELNS1_3gpuE5ELNS1_3repE0EEENS1_30default_config_static_selectorELNS0_4arch9wavefront6targetE1EEEvSP_
                                        ; -- End function
	.section	.AMDGPU.csdata,"",@progbits
; Kernel info:
; codeLenInByte = 0
; NumSgprs: 4
; NumVgprs: 0
; NumAgprs: 0
; TotalNumVgprs: 0
; ScratchSize: 0
; MemoryBound: 0
; FloatMode: 240
; IeeeMode: 1
; LDSByteSize: 0 bytes/workgroup (compile time only)
; SGPRBlocks: 0
; VGPRBlocks: 0
; NumSGPRsForWavesPerEU: 4
; NumVGPRsForWavesPerEU: 1
; AccumOffset: 4
; Occupancy: 8
; WaveLimiterHint : 0
; COMPUTE_PGM_RSRC2:SCRATCH_EN: 0
; COMPUTE_PGM_RSRC2:USER_SGPR: 6
; COMPUTE_PGM_RSRC2:TRAP_HANDLER: 0
; COMPUTE_PGM_RSRC2:TGID_X_EN: 1
; COMPUTE_PGM_RSRC2:TGID_Y_EN: 0
; COMPUTE_PGM_RSRC2:TGID_Z_EN: 0
; COMPUTE_PGM_RSRC2:TIDIG_COMP_CNT: 0
; COMPUTE_PGM_RSRC3_GFX90A:ACCUM_OFFSET: 0
; COMPUTE_PGM_RSRC3_GFX90A:TG_SPLIT: 0
	.section	.text._ZN7rocprim17ROCPRIM_400000_NS6detail17trampoline_kernelINS0_14default_configENS1_21merge_config_selectorIiNS0_10empty_typeEEEZNS1_10merge_implIS3_N6thrust23THRUST_200600_302600_NS6detail15normal_iteratorINS9_10device_ptrIKiEEEESF_NSB_INSC_IiEEEEPS5_SI_SI_NS9_7greaterIiEEEE10hipError_tPvRmT0_T1_T2_T3_T4_T5_mmT6_P12ihipStream_tbEUlT_E_NS1_11comp_targetILNS1_3genE10ELNS1_11target_archE1200ELNS1_3gpuE4ELNS1_3repE0EEENS1_30default_config_static_selectorELNS0_4arch9wavefront6targetE1EEEvSP_,"axG",@progbits,_ZN7rocprim17ROCPRIM_400000_NS6detail17trampoline_kernelINS0_14default_configENS1_21merge_config_selectorIiNS0_10empty_typeEEEZNS1_10merge_implIS3_N6thrust23THRUST_200600_302600_NS6detail15normal_iteratorINS9_10device_ptrIKiEEEESF_NSB_INSC_IiEEEEPS5_SI_SI_NS9_7greaterIiEEEE10hipError_tPvRmT0_T1_T2_T3_T4_T5_mmT6_P12ihipStream_tbEUlT_E_NS1_11comp_targetILNS1_3genE10ELNS1_11target_archE1200ELNS1_3gpuE4ELNS1_3repE0EEENS1_30default_config_static_selectorELNS0_4arch9wavefront6targetE1EEEvSP_,comdat
	.protected	_ZN7rocprim17ROCPRIM_400000_NS6detail17trampoline_kernelINS0_14default_configENS1_21merge_config_selectorIiNS0_10empty_typeEEEZNS1_10merge_implIS3_N6thrust23THRUST_200600_302600_NS6detail15normal_iteratorINS9_10device_ptrIKiEEEESF_NSB_INSC_IiEEEEPS5_SI_SI_NS9_7greaterIiEEEE10hipError_tPvRmT0_T1_T2_T3_T4_T5_mmT6_P12ihipStream_tbEUlT_E_NS1_11comp_targetILNS1_3genE10ELNS1_11target_archE1200ELNS1_3gpuE4ELNS1_3repE0EEENS1_30default_config_static_selectorELNS0_4arch9wavefront6targetE1EEEvSP_ ; -- Begin function _ZN7rocprim17ROCPRIM_400000_NS6detail17trampoline_kernelINS0_14default_configENS1_21merge_config_selectorIiNS0_10empty_typeEEEZNS1_10merge_implIS3_N6thrust23THRUST_200600_302600_NS6detail15normal_iteratorINS9_10device_ptrIKiEEEESF_NSB_INSC_IiEEEEPS5_SI_SI_NS9_7greaterIiEEEE10hipError_tPvRmT0_T1_T2_T3_T4_T5_mmT6_P12ihipStream_tbEUlT_E_NS1_11comp_targetILNS1_3genE10ELNS1_11target_archE1200ELNS1_3gpuE4ELNS1_3repE0EEENS1_30default_config_static_selectorELNS0_4arch9wavefront6targetE1EEEvSP_
	.globl	_ZN7rocprim17ROCPRIM_400000_NS6detail17trampoline_kernelINS0_14default_configENS1_21merge_config_selectorIiNS0_10empty_typeEEEZNS1_10merge_implIS3_N6thrust23THRUST_200600_302600_NS6detail15normal_iteratorINS9_10device_ptrIKiEEEESF_NSB_INSC_IiEEEEPS5_SI_SI_NS9_7greaterIiEEEE10hipError_tPvRmT0_T1_T2_T3_T4_T5_mmT6_P12ihipStream_tbEUlT_E_NS1_11comp_targetILNS1_3genE10ELNS1_11target_archE1200ELNS1_3gpuE4ELNS1_3repE0EEENS1_30default_config_static_selectorELNS0_4arch9wavefront6targetE1EEEvSP_
	.p2align	8
	.type	_ZN7rocprim17ROCPRIM_400000_NS6detail17trampoline_kernelINS0_14default_configENS1_21merge_config_selectorIiNS0_10empty_typeEEEZNS1_10merge_implIS3_N6thrust23THRUST_200600_302600_NS6detail15normal_iteratorINS9_10device_ptrIKiEEEESF_NSB_INSC_IiEEEEPS5_SI_SI_NS9_7greaterIiEEEE10hipError_tPvRmT0_T1_T2_T3_T4_T5_mmT6_P12ihipStream_tbEUlT_E_NS1_11comp_targetILNS1_3genE10ELNS1_11target_archE1200ELNS1_3gpuE4ELNS1_3repE0EEENS1_30default_config_static_selectorELNS0_4arch9wavefront6targetE1EEEvSP_,@function
_ZN7rocprim17ROCPRIM_400000_NS6detail17trampoline_kernelINS0_14default_configENS1_21merge_config_selectorIiNS0_10empty_typeEEEZNS1_10merge_implIS3_N6thrust23THRUST_200600_302600_NS6detail15normal_iteratorINS9_10device_ptrIKiEEEESF_NSB_INSC_IiEEEEPS5_SI_SI_NS9_7greaterIiEEEE10hipError_tPvRmT0_T1_T2_T3_T4_T5_mmT6_P12ihipStream_tbEUlT_E_NS1_11comp_targetILNS1_3genE10ELNS1_11target_archE1200ELNS1_3gpuE4ELNS1_3repE0EEENS1_30default_config_static_selectorELNS0_4arch9wavefront6targetE1EEEvSP_: ; @_ZN7rocprim17ROCPRIM_400000_NS6detail17trampoline_kernelINS0_14default_configENS1_21merge_config_selectorIiNS0_10empty_typeEEEZNS1_10merge_implIS3_N6thrust23THRUST_200600_302600_NS6detail15normal_iteratorINS9_10device_ptrIKiEEEESF_NSB_INSC_IiEEEEPS5_SI_SI_NS9_7greaterIiEEEE10hipError_tPvRmT0_T1_T2_T3_T4_T5_mmT6_P12ihipStream_tbEUlT_E_NS1_11comp_targetILNS1_3genE10ELNS1_11target_archE1200ELNS1_3gpuE4ELNS1_3repE0EEENS1_30default_config_static_selectorELNS0_4arch9wavefront6targetE1EEEvSP_
; %bb.0:
	.section	.rodata,"a",@progbits
	.p2align	6, 0x0
	.amdhsa_kernel _ZN7rocprim17ROCPRIM_400000_NS6detail17trampoline_kernelINS0_14default_configENS1_21merge_config_selectorIiNS0_10empty_typeEEEZNS1_10merge_implIS3_N6thrust23THRUST_200600_302600_NS6detail15normal_iteratorINS9_10device_ptrIKiEEEESF_NSB_INSC_IiEEEEPS5_SI_SI_NS9_7greaterIiEEEE10hipError_tPvRmT0_T1_T2_T3_T4_T5_mmT6_P12ihipStream_tbEUlT_E_NS1_11comp_targetILNS1_3genE10ELNS1_11target_archE1200ELNS1_3gpuE4ELNS1_3repE0EEENS1_30default_config_static_selectorELNS0_4arch9wavefront6targetE1EEEvSP_
		.amdhsa_group_segment_fixed_size 0
		.amdhsa_private_segment_fixed_size 0
		.amdhsa_kernarg_size 48
		.amdhsa_user_sgpr_count 6
		.amdhsa_user_sgpr_private_segment_buffer 1
		.amdhsa_user_sgpr_dispatch_ptr 0
		.amdhsa_user_sgpr_queue_ptr 0
		.amdhsa_user_sgpr_kernarg_segment_ptr 1
		.amdhsa_user_sgpr_dispatch_id 0
		.amdhsa_user_sgpr_flat_scratch_init 0
		.amdhsa_user_sgpr_kernarg_preload_length 0
		.amdhsa_user_sgpr_kernarg_preload_offset 0
		.amdhsa_user_sgpr_private_segment_size 0
		.amdhsa_uses_dynamic_stack 0
		.amdhsa_system_sgpr_private_segment_wavefront_offset 0
		.amdhsa_system_sgpr_workgroup_id_x 1
		.amdhsa_system_sgpr_workgroup_id_y 0
		.amdhsa_system_sgpr_workgroup_id_z 0
		.amdhsa_system_sgpr_workgroup_info 0
		.amdhsa_system_vgpr_workitem_id 0
		.amdhsa_next_free_vgpr 1
		.amdhsa_next_free_sgpr 0
		.amdhsa_accum_offset 4
		.amdhsa_reserve_vcc 0
		.amdhsa_reserve_flat_scratch 0
		.amdhsa_float_round_mode_32 0
		.amdhsa_float_round_mode_16_64 0
		.amdhsa_float_denorm_mode_32 3
		.amdhsa_float_denorm_mode_16_64 3
		.amdhsa_dx10_clamp 1
		.amdhsa_ieee_mode 1
		.amdhsa_fp16_overflow 0
		.amdhsa_tg_split 0
		.amdhsa_exception_fp_ieee_invalid_op 0
		.amdhsa_exception_fp_denorm_src 0
		.amdhsa_exception_fp_ieee_div_zero 0
		.amdhsa_exception_fp_ieee_overflow 0
		.amdhsa_exception_fp_ieee_underflow 0
		.amdhsa_exception_fp_ieee_inexact 0
		.amdhsa_exception_int_div_zero 0
	.end_amdhsa_kernel
	.section	.text._ZN7rocprim17ROCPRIM_400000_NS6detail17trampoline_kernelINS0_14default_configENS1_21merge_config_selectorIiNS0_10empty_typeEEEZNS1_10merge_implIS3_N6thrust23THRUST_200600_302600_NS6detail15normal_iteratorINS9_10device_ptrIKiEEEESF_NSB_INSC_IiEEEEPS5_SI_SI_NS9_7greaterIiEEEE10hipError_tPvRmT0_T1_T2_T3_T4_T5_mmT6_P12ihipStream_tbEUlT_E_NS1_11comp_targetILNS1_3genE10ELNS1_11target_archE1200ELNS1_3gpuE4ELNS1_3repE0EEENS1_30default_config_static_selectorELNS0_4arch9wavefront6targetE1EEEvSP_,"axG",@progbits,_ZN7rocprim17ROCPRIM_400000_NS6detail17trampoline_kernelINS0_14default_configENS1_21merge_config_selectorIiNS0_10empty_typeEEEZNS1_10merge_implIS3_N6thrust23THRUST_200600_302600_NS6detail15normal_iteratorINS9_10device_ptrIKiEEEESF_NSB_INSC_IiEEEEPS5_SI_SI_NS9_7greaterIiEEEE10hipError_tPvRmT0_T1_T2_T3_T4_T5_mmT6_P12ihipStream_tbEUlT_E_NS1_11comp_targetILNS1_3genE10ELNS1_11target_archE1200ELNS1_3gpuE4ELNS1_3repE0EEENS1_30default_config_static_selectorELNS0_4arch9wavefront6targetE1EEEvSP_,comdat
.Lfunc_end575:
	.size	_ZN7rocprim17ROCPRIM_400000_NS6detail17trampoline_kernelINS0_14default_configENS1_21merge_config_selectorIiNS0_10empty_typeEEEZNS1_10merge_implIS3_N6thrust23THRUST_200600_302600_NS6detail15normal_iteratorINS9_10device_ptrIKiEEEESF_NSB_INSC_IiEEEEPS5_SI_SI_NS9_7greaterIiEEEE10hipError_tPvRmT0_T1_T2_T3_T4_T5_mmT6_P12ihipStream_tbEUlT_E_NS1_11comp_targetILNS1_3genE10ELNS1_11target_archE1200ELNS1_3gpuE4ELNS1_3repE0EEENS1_30default_config_static_selectorELNS0_4arch9wavefront6targetE1EEEvSP_, .Lfunc_end575-_ZN7rocprim17ROCPRIM_400000_NS6detail17trampoline_kernelINS0_14default_configENS1_21merge_config_selectorIiNS0_10empty_typeEEEZNS1_10merge_implIS3_N6thrust23THRUST_200600_302600_NS6detail15normal_iteratorINS9_10device_ptrIKiEEEESF_NSB_INSC_IiEEEEPS5_SI_SI_NS9_7greaterIiEEEE10hipError_tPvRmT0_T1_T2_T3_T4_T5_mmT6_P12ihipStream_tbEUlT_E_NS1_11comp_targetILNS1_3genE10ELNS1_11target_archE1200ELNS1_3gpuE4ELNS1_3repE0EEENS1_30default_config_static_selectorELNS0_4arch9wavefront6targetE1EEEvSP_
                                        ; -- End function
	.section	.AMDGPU.csdata,"",@progbits
; Kernel info:
; codeLenInByte = 0
; NumSgprs: 4
; NumVgprs: 0
; NumAgprs: 0
; TotalNumVgprs: 0
; ScratchSize: 0
; MemoryBound: 0
; FloatMode: 240
; IeeeMode: 1
; LDSByteSize: 0 bytes/workgroup (compile time only)
; SGPRBlocks: 0
; VGPRBlocks: 0
; NumSGPRsForWavesPerEU: 4
; NumVGPRsForWavesPerEU: 1
; AccumOffset: 4
; Occupancy: 8
; WaveLimiterHint : 0
; COMPUTE_PGM_RSRC2:SCRATCH_EN: 0
; COMPUTE_PGM_RSRC2:USER_SGPR: 6
; COMPUTE_PGM_RSRC2:TRAP_HANDLER: 0
; COMPUTE_PGM_RSRC2:TGID_X_EN: 1
; COMPUTE_PGM_RSRC2:TGID_Y_EN: 0
; COMPUTE_PGM_RSRC2:TGID_Z_EN: 0
; COMPUTE_PGM_RSRC2:TIDIG_COMP_CNT: 0
; COMPUTE_PGM_RSRC3_GFX90A:ACCUM_OFFSET: 0
; COMPUTE_PGM_RSRC3_GFX90A:TG_SPLIT: 0
	.section	.text._ZN7rocprim17ROCPRIM_400000_NS6detail17trampoline_kernelINS0_14default_configENS1_21merge_config_selectorIiNS0_10empty_typeEEEZNS1_10merge_implIS3_N6thrust23THRUST_200600_302600_NS6detail15normal_iteratorINS9_10device_ptrIKiEEEESF_NSB_INSC_IiEEEEPS5_SI_SI_NS9_7greaterIiEEEE10hipError_tPvRmT0_T1_T2_T3_T4_T5_mmT6_P12ihipStream_tbEUlT_E_NS1_11comp_targetILNS1_3genE9ELNS1_11target_archE1100ELNS1_3gpuE3ELNS1_3repE0EEENS1_30default_config_static_selectorELNS0_4arch9wavefront6targetE1EEEvSP_,"axG",@progbits,_ZN7rocprim17ROCPRIM_400000_NS6detail17trampoline_kernelINS0_14default_configENS1_21merge_config_selectorIiNS0_10empty_typeEEEZNS1_10merge_implIS3_N6thrust23THRUST_200600_302600_NS6detail15normal_iteratorINS9_10device_ptrIKiEEEESF_NSB_INSC_IiEEEEPS5_SI_SI_NS9_7greaterIiEEEE10hipError_tPvRmT0_T1_T2_T3_T4_T5_mmT6_P12ihipStream_tbEUlT_E_NS1_11comp_targetILNS1_3genE9ELNS1_11target_archE1100ELNS1_3gpuE3ELNS1_3repE0EEENS1_30default_config_static_selectorELNS0_4arch9wavefront6targetE1EEEvSP_,comdat
	.protected	_ZN7rocprim17ROCPRIM_400000_NS6detail17trampoline_kernelINS0_14default_configENS1_21merge_config_selectorIiNS0_10empty_typeEEEZNS1_10merge_implIS3_N6thrust23THRUST_200600_302600_NS6detail15normal_iteratorINS9_10device_ptrIKiEEEESF_NSB_INSC_IiEEEEPS5_SI_SI_NS9_7greaterIiEEEE10hipError_tPvRmT0_T1_T2_T3_T4_T5_mmT6_P12ihipStream_tbEUlT_E_NS1_11comp_targetILNS1_3genE9ELNS1_11target_archE1100ELNS1_3gpuE3ELNS1_3repE0EEENS1_30default_config_static_selectorELNS0_4arch9wavefront6targetE1EEEvSP_ ; -- Begin function _ZN7rocprim17ROCPRIM_400000_NS6detail17trampoline_kernelINS0_14default_configENS1_21merge_config_selectorIiNS0_10empty_typeEEEZNS1_10merge_implIS3_N6thrust23THRUST_200600_302600_NS6detail15normal_iteratorINS9_10device_ptrIKiEEEESF_NSB_INSC_IiEEEEPS5_SI_SI_NS9_7greaterIiEEEE10hipError_tPvRmT0_T1_T2_T3_T4_T5_mmT6_P12ihipStream_tbEUlT_E_NS1_11comp_targetILNS1_3genE9ELNS1_11target_archE1100ELNS1_3gpuE3ELNS1_3repE0EEENS1_30default_config_static_selectorELNS0_4arch9wavefront6targetE1EEEvSP_
	.globl	_ZN7rocprim17ROCPRIM_400000_NS6detail17trampoline_kernelINS0_14default_configENS1_21merge_config_selectorIiNS0_10empty_typeEEEZNS1_10merge_implIS3_N6thrust23THRUST_200600_302600_NS6detail15normal_iteratorINS9_10device_ptrIKiEEEESF_NSB_INSC_IiEEEEPS5_SI_SI_NS9_7greaterIiEEEE10hipError_tPvRmT0_T1_T2_T3_T4_T5_mmT6_P12ihipStream_tbEUlT_E_NS1_11comp_targetILNS1_3genE9ELNS1_11target_archE1100ELNS1_3gpuE3ELNS1_3repE0EEENS1_30default_config_static_selectorELNS0_4arch9wavefront6targetE1EEEvSP_
	.p2align	8
	.type	_ZN7rocprim17ROCPRIM_400000_NS6detail17trampoline_kernelINS0_14default_configENS1_21merge_config_selectorIiNS0_10empty_typeEEEZNS1_10merge_implIS3_N6thrust23THRUST_200600_302600_NS6detail15normal_iteratorINS9_10device_ptrIKiEEEESF_NSB_INSC_IiEEEEPS5_SI_SI_NS9_7greaterIiEEEE10hipError_tPvRmT0_T1_T2_T3_T4_T5_mmT6_P12ihipStream_tbEUlT_E_NS1_11comp_targetILNS1_3genE9ELNS1_11target_archE1100ELNS1_3gpuE3ELNS1_3repE0EEENS1_30default_config_static_selectorELNS0_4arch9wavefront6targetE1EEEvSP_,@function
_ZN7rocprim17ROCPRIM_400000_NS6detail17trampoline_kernelINS0_14default_configENS1_21merge_config_selectorIiNS0_10empty_typeEEEZNS1_10merge_implIS3_N6thrust23THRUST_200600_302600_NS6detail15normal_iteratorINS9_10device_ptrIKiEEEESF_NSB_INSC_IiEEEEPS5_SI_SI_NS9_7greaterIiEEEE10hipError_tPvRmT0_T1_T2_T3_T4_T5_mmT6_P12ihipStream_tbEUlT_E_NS1_11comp_targetILNS1_3genE9ELNS1_11target_archE1100ELNS1_3gpuE3ELNS1_3repE0EEENS1_30default_config_static_selectorELNS0_4arch9wavefront6targetE1EEEvSP_: ; @_ZN7rocprim17ROCPRIM_400000_NS6detail17trampoline_kernelINS0_14default_configENS1_21merge_config_selectorIiNS0_10empty_typeEEEZNS1_10merge_implIS3_N6thrust23THRUST_200600_302600_NS6detail15normal_iteratorINS9_10device_ptrIKiEEEESF_NSB_INSC_IiEEEEPS5_SI_SI_NS9_7greaterIiEEEE10hipError_tPvRmT0_T1_T2_T3_T4_T5_mmT6_P12ihipStream_tbEUlT_E_NS1_11comp_targetILNS1_3genE9ELNS1_11target_archE1100ELNS1_3gpuE3ELNS1_3repE0EEENS1_30default_config_static_selectorELNS0_4arch9wavefront6targetE1EEEvSP_
; %bb.0:
	.section	.rodata,"a",@progbits
	.p2align	6, 0x0
	.amdhsa_kernel _ZN7rocprim17ROCPRIM_400000_NS6detail17trampoline_kernelINS0_14default_configENS1_21merge_config_selectorIiNS0_10empty_typeEEEZNS1_10merge_implIS3_N6thrust23THRUST_200600_302600_NS6detail15normal_iteratorINS9_10device_ptrIKiEEEESF_NSB_INSC_IiEEEEPS5_SI_SI_NS9_7greaterIiEEEE10hipError_tPvRmT0_T1_T2_T3_T4_T5_mmT6_P12ihipStream_tbEUlT_E_NS1_11comp_targetILNS1_3genE9ELNS1_11target_archE1100ELNS1_3gpuE3ELNS1_3repE0EEENS1_30default_config_static_selectorELNS0_4arch9wavefront6targetE1EEEvSP_
		.amdhsa_group_segment_fixed_size 0
		.amdhsa_private_segment_fixed_size 0
		.amdhsa_kernarg_size 48
		.amdhsa_user_sgpr_count 6
		.amdhsa_user_sgpr_private_segment_buffer 1
		.amdhsa_user_sgpr_dispatch_ptr 0
		.amdhsa_user_sgpr_queue_ptr 0
		.amdhsa_user_sgpr_kernarg_segment_ptr 1
		.amdhsa_user_sgpr_dispatch_id 0
		.amdhsa_user_sgpr_flat_scratch_init 0
		.amdhsa_user_sgpr_kernarg_preload_length 0
		.amdhsa_user_sgpr_kernarg_preload_offset 0
		.amdhsa_user_sgpr_private_segment_size 0
		.amdhsa_uses_dynamic_stack 0
		.amdhsa_system_sgpr_private_segment_wavefront_offset 0
		.amdhsa_system_sgpr_workgroup_id_x 1
		.amdhsa_system_sgpr_workgroup_id_y 0
		.amdhsa_system_sgpr_workgroup_id_z 0
		.amdhsa_system_sgpr_workgroup_info 0
		.amdhsa_system_vgpr_workitem_id 0
		.amdhsa_next_free_vgpr 1
		.amdhsa_next_free_sgpr 0
		.amdhsa_accum_offset 4
		.amdhsa_reserve_vcc 0
		.amdhsa_reserve_flat_scratch 0
		.amdhsa_float_round_mode_32 0
		.amdhsa_float_round_mode_16_64 0
		.amdhsa_float_denorm_mode_32 3
		.amdhsa_float_denorm_mode_16_64 3
		.amdhsa_dx10_clamp 1
		.amdhsa_ieee_mode 1
		.amdhsa_fp16_overflow 0
		.amdhsa_tg_split 0
		.amdhsa_exception_fp_ieee_invalid_op 0
		.amdhsa_exception_fp_denorm_src 0
		.amdhsa_exception_fp_ieee_div_zero 0
		.amdhsa_exception_fp_ieee_overflow 0
		.amdhsa_exception_fp_ieee_underflow 0
		.amdhsa_exception_fp_ieee_inexact 0
		.amdhsa_exception_int_div_zero 0
	.end_amdhsa_kernel
	.section	.text._ZN7rocprim17ROCPRIM_400000_NS6detail17trampoline_kernelINS0_14default_configENS1_21merge_config_selectorIiNS0_10empty_typeEEEZNS1_10merge_implIS3_N6thrust23THRUST_200600_302600_NS6detail15normal_iteratorINS9_10device_ptrIKiEEEESF_NSB_INSC_IiEEEEPS5_SI_SI_NS9_7greaterIiEEEE10hipError_tPvRmT0_T1_T2_T3_T4_T5_mmT6_P12ihipStream_tbEUlT_E_NS1_11comp_targetILNS1_3genE9ELNS1_11target_archE1100ELNS1_3gpuE3ELNS1_3repE0EEENS1_30default_config_static_selectorELNS0_4arch9wavefront6targetE1EEEvSP_,"axG",@progbits,_ZN7rocprim17ROCPRIM_400000_NS6detail17trampoline_kernelINS0_14default_configENS1_21merge_config_selectorIiNS0_10empty_typeEEEZNS1_10merge_implIS3_N6thrust23THRUST_200600_302600_NS6detail15normal_iteratorINS9_10device_ptrIKiEEEESF_NSB_INSC_IiEEEEPS5_SI_SI_NS9_7greaterIiEEEE10hipError_tPvRmT0_T1_T2_T3_T4_T5_mmT6_P12ihipStream_tbEUlT_E_NS1_11comp_targetILNS1_3genE9ELNS1_11target_archE1100ELNS1_3gpuE3ELNS1_3repE0EEENS1_30default_config_static_selectorELNS0_4arch9wavefront6targetE1EEEvSP_,comdat
.Lfunc_end576:
	.size	_ZN7rocprim17ROCPRIM_400000_NS6detail17trampoline_kernelINS0_14default_configENS1_21merge_config_selectorIiNS0_10empty_typeEEEZNS1_10merge_implIS3_N6thrust23THRUST_200600_302600_NS6detail15normal_iteratorINS9_10device_ptrIKiEEEESF_NSB_INSC_IiEEEEPS5_SI_SI_NS9_7greaterIiEEEE10hipError_tPvRmT0_T1_T2_T3_T4_T5_mmT6_P12ihipStream_tbEUlT_E_NS1_11comp_targetILNS1_3genE9ELNS1_11target_archE1100ELNS1_3gpuE3ELNS1_3repE0EEENS1_30default_config_static_selectorELNS0_4arch9wavefront6targetE1EEEvSP_, .Lfunc_end576-_ZN7rocprim17ROCPRIM_400000_NS6detail17trampoline_kernelINS0_14default_configENS1_21merge_config_selectorIiNS0_10empty_typeEEEZNS1_10merge_implIS3_N6thrust23THRUST_200600_302600_NS6detail15normal_iteratorINS9_10device_ptrIKiEEEESF_NSB_INSC_IiEEEEPS5_SI_SI_NS9_7greaterIiEEEE10hipError_tPvRmT0_T1_T2_T3_T4_T5_mmT6_P12ihipStream_tbEUlT_E_NS1_11comp_targetILNS1_3genE9ELNS1_11target_archE1100ELNS1_3gpuE3ELNS1_3repE0EEENS1_30default_config_static_selectorELNS0_4arch9wavefront6targetE1EEEvSP_
                                        ; -- End function
	.section	.AMDGPU.csdata,"",@progbits
; Kernel info:
; codeLenInByte = 0
; NumSgprs: 4
; NumVgprs: 0
; NumAgprs: 0
; TotalNumVgprs: 0
; ScratchSize: 0
; MemoryBound: 0
; FloatMode: 240
; IeeeMode: 1
; LDSByteSize: 0 bytes/workgroup (compile time only)
; SGPRBlocks: 0
; VGPRBlocks: 0
; NumSGPRsForWavesPerEU: 4
; NumVGPRsForWavesPerEU: 1
; AccumOffset: 4
; Occupancy: 8
; WaveLimiterHint : 0
; COMPUTE_PGM_RSRC2:SCRATCH_EN: 0
; COMPUTE_PGM_RSRC2:USER_SGPR: 6
; COMPUTE_PGM_RSRC2:TRAP_HANDLER: 0
; COMPUTE_PGM_RSRC2:TGID_X_EN: 1
; COMPUTE_PGM_RSRC2:TGID_Y_EN: 0
; COMPUTE_PGM_RSRC2:TGID_Z_EN: 0
; COMPUTE_PGM_RSRC2:TIDIG_COMP_CNT: 0
; COMPUTE_PGM_RSRC3_GFX90A:ACCUM_OFFSET: 0
; COMPUTE_PGM_RSRC3_GFX90A:TG_SPLIT: 0
	.section	.text._ZN7rocprim17ROCPRIM_400000_NS6detail17trampoline_kernelINS0_14default_configENS1_21merge_config_selectorIiNS0_10empty_typeEEEZNS1_10merge_implIS3_N6thrust23THRUST_200600_302600_NS6detail15normal_iteratorINS9_10device_ptrIKiEEEESF_NSB_INSC_IiEEEEPS5_SI_SI_NS9_7greaterIiEEEE10hipError_tPvRmT0_T1_T2_T3_T4_T5_mmT6_P12ihipStream_tbEUlT_E_NS1_11comp_targetILNS1_3genE8ELNS1_11target_archE1030ELNS1_3gpuE2ELNS1_3repE0EEENS1_30default_config_static_selectorELNS0_4arch9wavefront6targetE1EEEvSP_,"axG",@progbits,_ZN7rocprim17ROCPRIM_400000_NS6detail17trampoline_kernelINS0_14default_configENS1_21merge_config_selectorIiNS0_10empty_typeEEEZNS1_10merge_implIS3_N6thrust23THRUST_200600_302600_NS6detail15normal_iteratorINS9_10device_ptrIKiEEEESF_NSB_INSC_IiEEEEPS5_SI_SI_NS9_7greaterIiEEEE10hipError_tPvRmT0_T1_T2_T3_T4_T5_mmT6_P12ihipStream_tbEUlT_E_NS1_11comp_targetILNS1_3genE8ELNS1_11target_archE1030ELNS1_3gpuE2ELNS1_3repE0EEENS1_30default_config_static_selectorELNS0_4arch9wavefront6targetE1EEEvSP_,comdat
	.protected	_ZN7rocprim17ROCPRIM_400000_NS6detail17trampoline_kernelINS0_14default_configENS1_21merge_config_selectorIiNS0_10empty_typeEEEZNS1_10merge_implIS3_N6thrust23THRUST_200600_302600_NS6detail15normal_iteratorINS9_10device_ptrIKiEEEESF_NSB_INSC_IiEEEEPS5_SI_SI_NS9_7greaterIiEEEE10hipError_tPvRmT0_T1_T2_T3_T4_T5_mmT6_P12ihipStream_tbEUlT_E_NS1_11comp_targetILNS1_3genE8ELNS1_11target_archE1030ELNS1_3gpuE2ELNS1_3repE0EEENS1_30default_config_static_selectorELNS0_4arch9wavefront6targetE1EEEvSP_ ; -- Begin function _ZN7rocprim17ROCPRIM_400000_NS6detail17trampoline_kernelINS0_14default_configENS1_21merge_config_selectorIiNS0_10empty_typeEEEZNS1_10merge_implIS3_N6thrust23THRUST_200600_302600_NS6detail15normal_iteratorINS9_10device_ptrIKiEEEESF_NSB_INSC_IiEEEEPS5_SI_SI_NS9_7greaterIiEEEE10hipError_tPvRmT0_T1_T2_T3_T4_T5_mmT6_P12ihipStream_tbEUlT_E_NS1_11comp_targetILNS1_3genE8ELNS1_11target_archE1030ELNS1_3gpuE2ELNS1_3repE0EEENS1_30default_config_static_selectorELNS0_4arch9wavefront6targetE1EEEvSP_
	.globl	_ZN7rocprim17ROCPRIM_400000_NS6detail17trampoline_kernelINS0_14default_configENS1_21merge_config_selectorIiNS0_10empty_typeEEEZNS1_10merge_implIS3_N6thrust23THRUST_200600_302600_NS6detail15normal_iteratorINS9_10device_ptrIKiEEEESF_NSB_INSC_IiEEEEPS5_SI_SI_NS9_7greaterIiEEEE10hipError_tPvRmT0_T1_T2_T3_T4_T5_mmT6_P12ihipStream_tbEUlT_E_NS1_11comp_targetILNS1_3genE8ELNS1_11target_archE1030ELNS1_3gpuE2ELNS1_3repE0EEENS1_30default_config_static_selectorELNS0_4arch9wavefront6targetE1EEEvSP_
	.p2align	8
	.type	_ZN7rocprim17ROCPRIM_400000_NS6detail17trampoline_kernelINS0_14default_configENS1_21merge_config_selectorIiNS0_10empty_typeEEEZNS1_10merge_implIS3_N6thrust23THRUST_200600_302600_NS6detail15normal_iteratorINS9_10device_ptrIKiEEEESF_NSB_INSC_IiEEEEPS5_SI_SI_NS9_7greaterIiEEEE10hipError_tPvRmT0_T1_T2_T3_T4_T5_mmT6_P12ihipStream_tbEUlT_E_NS1_11comp_targetILNS1_3genE8ELNS1_11target_archE1030ELNS1_3gpuE2ELNS1_3repE0EEENS1_30default_config_static_selectorELNS0_4arch9wavefront6targetE1EEEvSP_,@function
_ZN7rocprim17ROCPRIM_400000_NS6detail17trampoline_kernelINS0_14default_configENS1_21merge_config_selectorIiNS0_10empty_typeEEEZNS1_10merge_implIS3_N6thrust23THRUST_200600_302600_NS6detail15normal_iteratorINS9_10device_ptrIKiEEEESF_NSB_INSC_IiEEEEPS5_SI_SI_NS9_7greaterIiEEEE10hipError_tPvRmT0_T1_T2_T3_T4_T5_mmT6_P12ihipStream_tbEUlT_E_NS1_11comp_targetILNS1_3genE8ELNS1_11target_archE1030ELNS1_3gpuE2ELNS1_3repE0EEENS1_30default_config_static_selectorELNS0_4arch9wavefront6targetE1EEEvSP_: ; @_ZN7rocprim17ROCPRIM_400000_NS6detail17trampoline_kernelINS0_14default_configENS1_21merge_config_selectorIiNS0_10empty_typeEEEZNS1_10merge_implIS3_N6thrust23THRUST_200600_302600_NS6detail15normal_iteratorINS9_10device_ptrIKiEEEESF_NSB_INSC_IiEEEEPS5_SI_SI_NS9_7greaterIiEEEE10hipError_tPvRmT0_T1_T2_T3_T4_T5_mmT6_P12ihipStream_tbEUlT_E_NS1_11comp_targetILNS1_3genE8ELNS1_11target_archE1030ELNS1_3gpuE2ELNS1_3repE0EEENS1_30default_config_static_selectorELNS0_4arch9wavefront6targetE1EEEvSP_
; %bb.0:
	.section	.rodata,"a",@progbits
	.p2align	6, 0x0
	.amdhsa_kernel _ZN7rocprim17ROCPRIM_400000_NS6detail17trampoline_kernelINS0_14default_configENS1_21merge_config_selectorIiNS0_10empty_typeEEEZNS1_10merge_implIS3_N6thrust23THRUST_200600_302600_NS6detail15normal_iteratorINS9_10device_ptrIKiEEEESF_NSB_INSC_IiEEEEPS5_SI_SI_NS9_7greaterIiEEEE10hipError_tPvRmT0_T1_T2_T3_T4_T5_mmT6_P12ihipStream_tbEUlT_E_NS1_11comp_targetILNS1_3genE8ELNS1_11target_archE1030ELNS1_3gpuE2ELNS1_3repE0EEENS1_30default_config_static_selectorELNS0_4arch9wavefront6targetE1EEEvSP_
		.amdhsa_group_segment_fixed_size 0
		.amdhsa_private_segment_fixed_size 0
		.amdhsa_kernarg_size 48
		.amdhsa_user_sgpr_count 6
		.amdhsa_user_sgpr_private_segment_buffer 1
		.amdhsa_user_sgpr_dispatch_ptr 0
		.amdhsa_user_sgpr_queue_ptr 0
		.amdhsa_user_sgpr_kernarg_segment_ptr 1
		.amdhsa_user_sgpr_dispatch_id 0
		.amdhsa_user_sgpr_flat_scratch_init 0
		.amdhsa_user_sgpr_kernarg_preload_length 0
		.amdhsa_user_sgpr_kernarg_preload_offset 0
		.amdhsa_user_sgpr_private_segment_size 0
		.amdhsa_uses_dynamic_stack 0
		.amdhsa_system_sgpr_private_segment_wavefront_offset 0
		.amdhsa_system_sgpr_workgroup_id_x 1
		.amdhsa_system_sgpr_workgroup_id_y 0
		.amdhsa_system_sgpr_workgroup_id_z 0
		.amdhsa_system_sgpr_workgroup_info 0
		.amdhsa_system_vgpr_workitem_id 0
		.amdhsa_next_free_vgpr 1
		.amdhsa_next_free_sgpr 0
		.amdhsa_accum_offset 4
		.amdhsa_reserve_vcc 0
		.amdhsa_reserve_flat_scratch 0
		.amdhsa_float_round_mode_32 0
		.amdhsa_float_round_mode_16_64 0
		.amdhsa_float_denorm_mode_32 3
		.amdhsa_float_denorm_mode_16_64 3
		.amdhsa_dx10_clamp 1
		.amdhsa_ieee_mode 1
		.amdhsa_fp16_overflow 0
		.amdhsa_tg_split 0
		.amdhsa_exception_fp_ieee_invalid_op 0
		.amdhsa_exception_fp_denorm_src 0
		.amdhsa_exception_fp_ieee_div_zero 0
		.amdhsa_exception_fp_ieee_overflow 0
		.amdhsa_exception_fp_ieee_underflow 0
		.amdhsa_exception_fp_ieee_inexact 0
		.amdhsa_exception_int_div_zero 0
	.end_amdhsa_kernel
	.section	.text._ZN7rocprim17ROCPRIM_400000_NS6detail17trampoline_kernelINS0_14default_configENS1_21merge_config_selectorIiNS0_10empty_typeEEEZNS1_10merge_implIS3_N6thrust23THRUST_200600_302600_NS6detail15normal_iteratorINS9_10device_ptrIKiEEEESF_NSB_INSC_IiEEEEPS5_SI_SI_NS9_7greaterIiEEEE10hipError_tPvRmT0_T1_T2_T3_T4_T5_mmT6_P12ihipStream_tbEUlT_E_NS1_11comp_targetILNS1_3genE8ELNS1_11target_archE1030ELNS1_3gpuE2ELNS1_3repE0EEENS1_30default_config_static_selectorELNS0_4arch9wavefront6targetE1EEEvSP_,"axG",@progbits,_ZN7rocprim17ROCPRIM_400000_NS6detail17trampoline_kernelINS0_14default_configENS1_21merge_config_selectorIiNS0_10empty_typeEEEZNS1_10merge_implIS3_N6thrust23THRUST_200600_302600_NS6detail15normal_iteratorINS9_10device_ptrIKiEEEESF_NSB_INSC_IiEEEEPS5_SI_SI_NS9_7greaterIiEEEE10hipError_tPvRmT0_T1_T2_T3_T4_T5_mmT6_P12ihipStream_tbEUlT_E_NS1_11comp_targetILNS1_3genE8ELNS1_11target_archE1030ELNS1_3gpuE2ELNS1_3repE0EEENS1_30default_config_static_selectorELNS0_4arch9wavefront6targetE1EEEvSP_,comdat
.Lfunc_end577:
	.size	_ZN7rocprim17ROCPRIM_400000_NS6detail17trampoline_kernelINS0_14default_configENS1_21merge_config_selectorIiNS0_10empty_typeEEEZNS1_10merge_implIS3_N6thrust23THRUST_200600_302600_NS6detail15normal_iteratorINS9_10device_ptrIKiEEEESF_NSB_INSC_IiEEEEPS5_SI_SI_NS9_7greaterIiEEEE10hipError_tPvRmT0_T1_T2_T3_T4_T5_mmT6_P12ihipStream_tbEUlT_E_NS1_11comp_targetILNS1_3genE8ELNS1_11target_archE1030ELNS1_3gpuE2ELNS1_3repE0EEENS1_30default_config_static_selectorELNS0_4arch9wavefront6targetE1EEEvSP_, .Lfunc_end577-_ZN7rocprim17ROCPRIM_400000_NS6detail17trampoline_kernelINS0_14default_configENS1_21merge_config_selectorIiNS0_10empty_typeEEEZNS1_10merge_implIS3_N6thrust23THRUST_200600_302600_NS6detail15normal_iteratorINS9_10device_ptrIKiEEEESF_NSB_INSC_IiEEEEPS5_SI_SI_NS9_7greaterIiEEEE10hipError_tPvRmT0_T1_T2_T3_T4_T5_mmT6_P12ihipStream_tbEUlT_E_NS1_11comp_targetILNS1_3genE8ELNS1_11target_archE1030ELNS1_3gpuE2ELNS1_3repE0EEENS1_30default_config_static_selectorELNS0_4arch9wavefront6targetE1EEEvSP_
                                        ; -- End function
	.section	.AMDGPU.csdata,"",@progbits
; Kernel info:
; codeLenInByte = 0
; NumSgprs: 4
; NumVgprs: 0
; NumAgprs: 0
; TotalNumVgprs: 0
; ScratchSize: 0
; MemoryBound: 0
; FloatMode: 240
; IeeeMode: 1
; LDSByteSize: 0 bytes/workgroup (compile time only)
; SGPRBlocks: 0
; VGPRBlocks: 0
; NumSGPRsForWavesPerEU: 4
; NumVGPRsForWavesPerEU: 1
; AccumOffset: 4
; Occupancy: 8
; WaveLimiterHint : 0
; COMPUTE_PGM_RSRC2:SCRATCH_EN: 0
; COMPUTE_PGM_RSRC2:USER_SGPR: 6
; COMPUTE_PGM_RSRC2:TRAP_HANDLER: 0
; COMPUTE_PGM_RSRC2:TGID_X_EN: 1
; COMPUTE_PGM_RSRC2:TGID_Y_EN: 0
; COMPUTE_PGM_RSRC2:TGID_Z_EN: 0
; COMPUTE_PGM_RSRC2:TIDIG_COMP_CNT: 0
; COMPUTE_PGM_RSRC3_GFX90A:ACCUM_OFFSET: 0
; COMPUTE_PGM_RSRC3_GFX90A:TG_SPLIT: 0
	.section	.text._ZN7rocprim17ROCPRIM_400000_NS6detail17trampoline_kernelINS0_14default_configENS1_21merge_config_selectorIiNS0_10empty_typeEEEZNS1_10merge_implIS3_N6thrust23THRUST_200600_302600_NS6detail15normal_iteratorINS9_10device_ptrIKiEEEESF_NSB_INSC_IiEEEEPS5_SI_SI_NS9_7greaterIiEEEE10hipError_tPvRmT0_T1_T2_T3_T4_T5_mmT6_P12ihipStream_tbEUlT_E0_NS1_11comp_targetILNS1_3genE0ELNS1_11target_archE4294967295ELNS1_3gpuE0ELNS1_3repE0EEENS1_30default_config_static_selectorELNS0_4arch9wavefront6targetE1EEEvSP_,"axG",@progbits,_ZN7rocprim17ROCPRIM_400000_NS6detail17trampoline_kernelINS0_14default_configENS1_21merge_config_selectorIiNS0_10empty_typeEEEZNS1_10merge_implIS3_N6thrust23THRUST_200600_302600_NS6detail15normal_iteratorINS9_10device_ptrIKiEEEESF_NSB_INSC_IiEEEEPS5_SI_SI_NS9_7greaterIiEEEE10hipError_tPvRmT0_T1_T2_T3_T4_T5_mmT6_P12ihipStream_tbEUlT_E0_NS1_11comp_targetILNS1_3genE0ELNS1_11target_archE4294967295ELNS1_3gpuE0ELNS1_3repE0EEENS1_30default_config_static_selectorELNS0_4arch9wavefront6targetE1EEEvSP_,comdat
	.protected	_ZN7rocprim17ROCPRIM_400000_NS6detail17trampoline_kernelINS0_14default_configENS1_21merge_config_selectorIiNS0_10empty_typeEEEZNS1_10merge_implIS3_N6thrust23THRUST_200600_302600_NS6detail15normal_iteratorINS9_10device_ptrIKiEEEESF_NSB_INSC_IiEEEEPS5_SI_SI_NS9_7greaterIiEEEE10hipError_tPvRmT0_T1_T2_T3_T4_T5_mmT6_P12ihipStream_tbEUlT_E0_NS1_11comp_targetILNS1_3genE0ELNS1_11target_archE4294967295ELNS1_3gpuE0ELNS1_3repE0EEENS1_30default_config_static_selectorELNS0_4arch9wavefront6targetE1EEEvSP_ ; -- Begin function _ZN7rocprim17ROCPRIM_400000_NS6detail17trampoline_kernelINS0_14default_configENS1_21merge_config_selectorIiNS0_10empty_typeEEEZNS1_10merge_implIS3_N6thrust23THRUST_200600_302600_NS6detail15normal_iteratorINS9_10device_ptrIKiEEEESF_NSB_INSC_IiEEEEPS5_SI_SI_NS9_7greaterIiEEEE10hipError_tPvRmT0_T1_T2_T3_T4_T5_mmT6_P12ihipStream_tbEUlT_E0_NS1_11comp_targetILNS1_3genE0ELNS1_11target_archE4294967295ELNS1_3gpuE0ELNS1_3repE0EEENS1_30default_config_static_selectorELNS0_4arch9wavefront6targetE1EEEvSP_
	.globl	_ZN7rocprim17ROCPRIM_400000_NS6detail17trampoline_kernelINS0_14default_configENS1_21merge_config_selectorIiNS0_10empty_typeEEEZNS1_10merge_implIS3_N6thrust23THRUST_200600_302600_NS6detail15normal_iteratorINS9_10device_ptrIKiEEEESF_NSB_INSC_IiEEEEPS5_SI_SI_NS9_7greaterIiEEEE10hipError_tPvRmT0_T1_T2_T3_T4_T5_mmT6_P12ihipStream_tbEUlT_E0_NS1_11comp_targetILNS1_3genE0ELNS1_11target_archE4294967295ELNS1_3gpuE0ELNS1_3repE0EEENS1_30default_config_static_selectorELNS0_4arch9wavefront6targetE1EEEvSP_
	.p2align	8
	.type	_ZN7rocprim17ROCPRIM_400000_NS6detail17trampoline_kernelINS0_14default_configENS1_21merge_config_selectorIiNS0_10empty_typeEEEZNS1_10merge_implIS3_N6thrust23THRUST_200600_302600_NS6detail15normal_iteratorINS9_10device_ptrIKiEEEESF_NSB_INSC_IiEEEEPS5_SI_SI_NS9_7greaterIiEEEE10hipError_tPvRmT0_T1_T2_T3_T4_T5_mmT6_P12ihipStream_tbEUlT_E0_NS1_11comp_targetILNS1_3genE0ELNS1_11target_archE4294967295ELNS1_3gpuE0ELNS1_3repE0EEENS1_30default_config_static_selectorELNS0_4arch9wavefront6targetE1EEEvSP_,@function
_ZN7rocprim17ROCPRIM_400000_NS6detail17trampoline_kernelINS0_14default_configENS1_21merge_config_selectorIiNS0_10empty_typeEEEZNS1_10merge_implIS3_N6thrust23THRUST_200600_302600_NS6detail15normal_iteratorINS9_10device_ptrIKiEEEESF_NSB_INSC_IiEEEEPS5_SI_SI_NS9_7greaterIiEEEE10hipError_tPvRmT0_T1_T2_T3_T4_T5_mmT6_P12ihipStream_tbEUlT_E0_NS1_11comp_targetILNS1_3genE0ELNS1_11target_archE4294967295ELNS1_3gpuE0ELNS1_3repE0EEENS1_30default_config_static_selectorELNS0_4arch9wavefront6targetE1EEEvSP_: ; @_ZN7rocprim17ROCPRIM_400000_NS6detail17trampoline_kernelINS0_14default_configENS1_21merge_config_selectorIiNS0_10empty_typeEEEZNS1_10merge_implIS3_N6thrust23THRUST_200600_302600_NS6detail15normal_iteratorINS9_10device_ptrIKiEEEESF_NSB_INSC_IiEEEEPS5_SI_SI_NS9_7greaterIiEEEE10hipError_tPvRmT0_T1_T2_T3_T4_T5_mmT6_P12ihipStream_tbEUlT_E0_NS1_11comp_targetILNS1_3genE0ELNS1_11target_archE4294967295ELNS1_3gpuE0ELNS1_3repE0EEENS1_30default_config_static_selectorELNS0_4arch9wavefront6targetE1EEEvSP_
; %bb.0:
	.section	.rodata,"a",@progbits
	.p2align	6, 0x0
	.amdhsa_kernel _ZN7rocprim17ROCPRIM_400000_NS6detail17trampoline_kernelINS0_14default_configENS1_21merge_config_selectorIiNS0_10empty_typeEEEZNS1_10merge_implIS3_N6thrust23THRUST_200600_302600_NS6detail15normal_iteratorINS9_10device_ptrIKiEEEESF_NSB_INSC_IiEEEEPS5_SI_SI_NS9_7greaterIiEEEE10hipError_tPvRmT0_T1_T2_T3_T4_T5_mmT6_P12ihipStream_tbEUlT_E0_NS1_11comp_targetILNS1_3genE0ELNS1_11target_archE4294967295ELNS1_3gpuE0ELNS1_3repE0EEENS1_30default_config_static_selectorELNS0_4arch9wavefront6targetE1EEEvSP_
		.amdhsa_group_segment_fixed_size 0
		.amdhsa_private_segment_fixed_size 0
		.amdhsa_kernarg_size 88
		.amdhsa_user_sgpr_count 6
		.amdhsa_user_sgpr_private_segment_buffer 1
		.amdhsa_user_sgpr_dispatch_ptr 0
		.amdhsa_user_sgpr_queue_ptr 0
		.amdhsa_user_sgpr_kernarg_segment_ptr 1
		.amdhsa_user_sgpr_dispatch_id 0
		.amdhsa_user_sgpr_flat_scratch_init 0
		.amdhsa_user_sgpr_kernarg_preload_length 0
		.amdhsa_user_sgpr_kernarg_preload_offset 0
		.amdhsa_user_sgpr_private_segment_size 0
		.amdhsa_uses_dynamic_stack 0
		.amdhsa_system_sgpr_private_segment_wavefront_offset 0
		.amdhsa_system_sgpr_workgroup_id_x 1
		.amdhsa_system_sgpr_workgroup_id_y 0
		.amdhsa_system_sgpr_workgroup_id_z 0
		.amdhsa_system_sgpr_workgroup_info 0
		.amdhsa_system_vgpr_workitem_id 0
		.amdhsa_next_free_vgpr 1
		.amdhsa_next_free_sgpr 0
		.amdhsa_accum_offset 4
		.amdhsa_reserve_vcc 0
		.amdhsa_reserve_flat_scratch 0
		.amdhsa_float_round_mode_32 0
		.amdhsa_float_round_mode_16_64 0
		.amdhsa_float_denorm_mode_32 3
		.amdhsa_float_denorm_mode_16_64 3
		.amdhsa_dx10_clamp 1
		.amdhsa_ieee_mode 1
		.amdhsa_fp16_overflow 0
		.amdhsa_tg_split 0
		.amdhsa_exception_fp_ieee_invalid_op 0
		.amdhsa_exception_fp_denorm_src 0
		.amdhsa_exception_fp_ieee_div_zero 0
		.amdhsa_exception_fp_ieee_overflow 0
		.amdhsa_exception_fp_ieee_underflow 0
		.amdhsa_exception_fp_ieee_inexact 0
		.amdhsa_exception_int_div_zero 0
	.end_amdhsa_kernel
	.section	.text._ZN7rocprim17ROCPRIM_400000_NS6detail17trampoline_kernelINS0_14default_configENS1_21merge_config_selectorIiNS0_10empty_typeEEEZNS1_10merge_implIS3_N6thrust23THRUST_200600_302600_NS6detail15normal_iteratorINS9_10device_ptrIKiEEEESF_NSB_INSC_IiEEEEPS5_SI_SI_NS9_7greaterIiEEEE10hipError_tPvRmT0_T1_T2_T3_T4_T5_mmT6_P12ihipStream_tbEUlT_E0_NS1_11comp_targetILNS1_3genE0ELNS1_11target_archE4294967295ELNS1_3gpuE0ELNS1_3repE0EEENS1_30default_config_static_selectorELNS0_4arch9wavefront6targetE1EEEvSP_,"axG",@progbits,_ZN7rocprim17ROCPRIM_400000_NS6detail17trampoline_kernelINS0_14default_configENS1_21merge_config_selectorIiNS0_10empty_typeEEEZNS1_10merge_implIS3_N6thrust23THRUST_200600_302600_NS6detail15normal_iteratorINS9_10device_ptrIKiEEEESF_NSB_INSC_IiEEEEPS5_SI_SI_NS9_7greaterIiEEEE10hipError_tPvRmT0_T1_T2_T3_T4_T5_mmT6_P12ihipStream_tbEUlT_E0_NS1_11comp_targetILNS1_3genE0ELNS1_11target_archE4294967295ELNS1_3gpuE0ELNS1_3repE0EEENS1_30default_config_static_selectorELNS0_4arch9wavefront6targetE1EEEvSP_,comdat
.Lfunc_end578:
	.size	_ZN7rocprim17ROCPRIM_400000_NS6detail17trampoline_kernelINS0_14default_configENS1_21merge_config_selectorIiNS0_10empty_typeEEEZNS1_10merge_implIS3_N6thrust23THRUST_200600_302600_NS6detail15normal_iteratorINS9_10device_ptrIKiEEEESF_NSB_INSC_IiEEEEPS5_SI_SI_NS9_7greaterIiEEEE10hipError_tPvRmT0_T1_T2_T3_T4_T5_mmT6_P12ihipStream_tbEUlT_E0_NS1_11comp_targetILNS1_3genE0ELNS1_11target_archE4294967295ELNS1_3gpuE0ELNS1_3repE0EEENS1_30default_config_static_selectorELNS0_4arch9wavefront6targetE1EEEvSP_, .Lfunc_end578-_ZN7rocprim17ROCPRIM_400000_NS6detail17trampoline_kernelINS0_14default_configENS1_21merge_config_selectorIiNS0_10empty_typeEEEZNS1_10merge_implIS3_N6thrust23THRUST_200600_302600_NS6detail15normal_iteratorINS9_10device_ptrIKiEEEESF_NSB_INSC_IiEEEEPS5_SI_SI_NS9_7greaterIiEEEE10hipError_tPvRmT0_T1_T2_T3_T4_T5_mmT6_P12ihipStream_tbEUlT_E0_NS1_11comp_targetILNS1_3genE0ELNS1_11target_archE4294967295ELNS1_3gpuE0ELNS1_3repE0EEENS1_30default_config_static_selectorELNS0_4arch9wavefront6targetE1EEEvSP_
                                        ; -- End function
	.section	.AMDGPU.csdata,"",@progbits
; Kernel info:
; codeLenInByte = 0
; NumSgprs: 4
; NumVgprs: 0
; NumAgprs: 0
; TotalNumVgprs: 0
; ScratchSize: 0
; MemoryBound: 0
; FloatMode: 240
; IeeeMode: 1
; LDSByteSize: 0 bytes/workgroup (compile time only)
; SGPRBlocks: 0
; VGPRBlocks: 0
; NumSGPRsForWavesPerEU: 4
; NumVGPRsForWavesPerEU: 1
; AccumOffset: 4
; Occupancy: 8
; WaveLimiterHint : 0
; COMPUTE_PGM_RSRC2:SCRATCH_EN: 0
; COMPUTE_PGM_RSRC2:USER_SGPR: 6
; COMPUTE_PGM_RSRC2:TRAP_HANDLER: 0
; COMPUTE_PGM_RSRC2:TGID_X_EN: 1
; COMPUTE_PGM_RSRC2:TGID_Y_EN: 0
; COMPUTE_PGM_RSRC2:TGID_Z_EN: 0
; COMPUTE_PGM_RSRC2:TIDIG_COMP_CNT: 0
; COMPUTE_PGM_RSRC3_GFX90A:ACCUM_OFFSET: 0
; COMPUTE_PGM_RSRC3_GFX90A:TG_SPLIT: 0
	.section	.text._ZN7rocprim17ROCPRIM_400000_NS6detail17trampoline_kernelINS0_14default_configENS1_21merge_config_selectorIiNS0_10empty_typeEEEZNS1_10merge_implIS3_N6thrust23THRUST_200600_302600_NS6detail15normal_iteratorINS9_10device_ptrIKiEEEESF_NSB_INSC_IiEEEEPS5_SI_SI_NS9_7greaterIiEEEE10hipError_tPvRmT0_T1_T2_T3_T4_T5_mmT6_P12ihipStream_tbEUlT_E0_NS1_11comp_targetILNS1_3genE5ELNS1_11target_archE942ELNS1_3gpuE9ELNS1_3repE0EEENS1_30default_config_static_selectorELNS0_4arch9wavefront6targetE1EEEvSP_,"axG",@progbits,_ZN7rocprim17ROCPRIM_400000_NS6detail17trampoline_kernelINS0_14default_configENS1_21merge_config_selectorIiNS0_10empty_typeEEEZNS1_10merge_implIS3_N6thrust23THRUST_200600_302600_NS6detail15normal_iteratorINS9_10device_ptrIKiEEEESF_NSB_INSC_IiEEEEPS5_SI_SI_NS9_7greaterIiEEEE10hipError_tPvRmT0_T1_T2_T3_T4_T5_mmT6_P12ihipStream_tbEUlT_E0_NS1_11comp_targetILNS1_3genE5ELNS1_11target_archE942ELNS1_3gpuE9ELNS1_3repE0EEENS1_30default_config_static_selectorELNS0_4arch9wavefront6targetE1EEEvSP_,comdat
	.protected	_ZN7rocprim17ROCPRIM_400000_NS6detail17trampoline_kernelINS0_14default_configENS1_21merge_config_selectorIiNS0_10empty_typeEEEZNS1_10merge_implIS3_N6thrust23THRUST_200600_302600_NS6detail15normal_iteratorINS9_10device_ptrIKiEEEESF_NSB_INSC_IiEEEEPS5_SI_SI_NS9_7greaterIiEEEE10hipError_tPvRmT0_T1_T2_T3_T4_T5_mmT6_P12ihipStream_tbEUlT_E0_NS1_11comp_targetILNS1_3genE5ELNS1_11target_archE942ELNS1_3gpuE9ELNS1_3repE0EEENS1_30default_config_static_selectorELNS0_4arch9wavefront6targetE1EEEvSP_ ; -- Begin function _ZN7rocprim17ROCPRIM_400000_NS6detail17trampoline_kernelINS0_14default_configENS1_21merge_config_selectorIiNS0_10empty_typeEEEZNS1_10merge_implIS3_N6thrust23THRUST_200600_302600_NS6detail15normal_iteratorINS9_10device_ptrIKiEEEESF_NSB_INSC_IiEEEEPS5_SI_SI_NS9_7greaterIiEEEE10hipError_tPvRmT0_T1_T2_T3_T4_T5_mmT6_P12ihipStream_tbEUlT_E0_NS1_11comp_targetILNS1_3genE5ELNS1_11target_archE942ELNS1_3gpuE9ELNS1_3repE0EEENS1_30default_config_static_selectorELNS0_4arch9wavefront6targetE1EEEvSP_
	.globl	_ZN7rocprim17ROCPRIM_400000_NS6detail17trampoline_kernelINS0_14default_configENS1_21merge_config_selectorIiNS0_10empty_typeEEEZNS1_10merge_implIS3_N6thrust23THRUST_200600_302600_NS6detail15normal_iteratorINS9_10device_ptrIKiEEEESF_NSB_INSC_IiEEEEPS5_SI_SI_NS9_7greaterIiEEEE10hipError_tPvRmT0_T1_T2_T3_T4_T5_mmT6_P12ihipStream_tbEUlT_E0_NS1_11comp_targetILNS1_3genE5ELNS1_11target_archE942ELNS1_3gpuE9ELNS1_3repE0EEENS1_30default_config_static_selectorELNS0_4arch9wavefront6targetE1EEEvSP_
	.p2align	8
	.type	_ZN7rocprim17ROCPRIM_400000_NS6detail17trampoline_kernelINS0_14default_configENS1_21merge_config_selectorIiNS0_10empty_typeEEEZNS1_10merge_implIS3_N6thrust23THRUST_200600_302600_NS6detail15normal_iteratorINS9_10device_ptrIKiEEEESF_NSB_INSC_IiEEEEPS5_SI_SI_NS9_7greaterIiEEEE10hipError_tPvRmT0_T1_T2_T3_T4_T5_mmT6_P12ihipStream_tbEUlT_E0_NS1_11comp_targetILNS1_3genE5ELNS1_11target_archE942ELNS1_3gpuE9ELNS1_3repE0EEENS1_30default_config_static_selectorELNS0_4arch9wavefront6targetE1EEEvSP_,@function
_ZN7rocprim17ROCPRIM_400000_NS6detail17trampoline_kernelINS0_14default_configENS1_21merge_config_selectorIiNS0_10empty_typeEEEZNS1_10merge_implIS3_N6thrust23THRUST_200600_302600_NS6detail15normal_iteratorINS9_10device_ptrIKiEEEESF_NSB_INSC_IiEEEEPS5_SI_SI_NS9_7greaterIiEEEE10hipError_tPvRmT0_T1_T2_T3_T4_T5_mmT6_P12ihipStream_tbEUlT_E0_NS1_11comp_targetILNS1_3genE5ELNS1_11target_archE942ELNS1_3gpuE9ELNS1_3repE0EEENS1_30default_config_static_selectorELNS0_4arch9wavefront6targetE1EEEvSP_: ; @_ZN7rocprim17ROCPRIM_400000_NS6detail17trampoline_kernelINS0_14default_configENS1_21merge_config_selectorIiNS0_10empty_typeEEEZNS1_10merge_implIS3_N6thrust23THRUST_200600_302600_NS6detail15normal_iteratorINS9_10device_ptrIKiEEEESF_NSB_INSC_IiEEEEPS5_SI_SI_NS9_7greaterIiEEEE10hipError_tPvRmT0_T1_T2_T3_T4_T5_mmT6_P12ihipStream_tbEUlT_E0_NS1_11comp_targetILNS1_3genE5ELNS1_11target_archE942ELNS1_3gpuE9ELNS1_3repE0EEENS1_30default_config_static_selectorELNS0_4arch9wavefront6targetE1EEEvSP_
; %bb.0:
	.section	.rodata,"a",@progbits
	.p2align	6, 0x0
	.amdhsa_kernel _ZN7rocprim17ROCPRIM_400000_NS6detail17trampoline_kernelINS0_14default_configENS1_21merge_config_selectorIiNS0_10empty_typeEEEZNS1_10merge_implIS3_N6thrust23THRUST_200600_302600_NS6detail15normal_iteratorINS9_10device_ptrIKiEEEESF_NSB_INSC_IiEEEEPS5_SI_SI_NS9_7greaterIiEEEE10hipError_tPvRmT0_T1_T2_T3_T4_T5_mmT6_P12ihipStream_tbEUlT_E0_NS1_11comp_targetILNS1_3genE5ELNS1_11target_archE942ELNS1_3gpuE9ELNS1_3repE0EEENS1_30default_config_static_selectorELNS0_4arch9wavefront6targetE1EEEvSP_
		.amdhsa_group_segment_fixed_size 0
		.amdhsa_private_segment_fixed_size 0
		.amdhsa_kernarg_size 88
		.amdhsa_user_sgpr_count 6
		.amdhsa_user_sgpr_private_segment_buffer 1
		.amdhsa_user_sgpr_dispatch_ptr 0
		.amdhsa_user_sgpr_queue_ptr 0
		.amdhsa_user_sgpr_kernarg_segment_ptr 1
		.amdhsa_user_sgpr_dispatch_id 0
		.amdhsa_user_sgpr_flat_scratch_init 0
		.amdhsa_user_sgpr_kernarg_preload_length 0
		.amdhsa_user_sgpr_kernarg_preload_offset 0
		.amdhsa_user_sgpr_private_segment_size 0
		.amdhsa_uses_dynamic_stack 0
		.amdhsa_system_sgpr_private_segment_wavefront_offset 0
		.amdhsa_system_sgpr_workgroup_id_x 1
		.amdhsa_system_sgpr_workgroup_id_y 0
		.amdhsa_system_sgpr_workgroup_id_z 0
		.amdhsa_system_sgpr_workgroup_info 0
		.amdhsa_system_vgpr_workitem_id 0
		.amdhsa_next_free_vgpr 1
		.amdhsa_next_free_sgpr 0
		.amdhsa_accum_offset 4
		.amdhsa_reserve_vcc 0
		.amdhsa_reserve_flat_scratch 0
		.amdhsa_float_round_mode_32 0
		.amdhsa_float_round_mode_16_64 0
		.amdhsa_float_denorm_mode_32 3
		.amdhsa_float_denorm_mode_16_64 3
		.amdhsa_dx10_clamp 1
		.amdhsa_ieee_mode 1
		.amdhsa_fp16_overflow 0
		.amdhsa_tg_split 0
		.amdhsa_exception_fp_ieee_invalid_op 0
		.amdhsa_exception_fp_denorm_src 0
		.amdhsa_exception_fp_ieee_div_zero 0
		.amdhsa_exception_fp_ieee_overflow 0
		.amdhsa_exception_fp_ieee_underflow 0
		.amdhsa_exception_fp_ieee_inexact 0
		.amdhsa_exception_int_div_zero 0
	.end_amdhsa_kernel
	.section	.text._ZN7rocprim17ROCPRIM_400000_NS6detail17trampoline_kernelINS0_14default_configENS1_21merge_config_selectorIiNS0_10empty_typeEEEZNS1_10merge_implIS3_N6thrust23THRUST_200600_302600_NS6detail15normal_iteratorINS9_10device_ptrIKiEEEESF_NSB_INSC_IiEEEEPS5_SI_SI_NS9_7greaterIiEEEE10hipError_tPvRmT0_T1_T2_T3_T4_T5_mmT6_P12ihipStream_tbEUlT_E0_NS1_11comp_targetILNS1_3genE5ELNS1_11target_archE942ELNS1_3gpuE9ELNS1_3repE0EEENS1_30default_config_static_selectorELNS0_4arch9wavefront6targetE1EEEvSP_,"axG",@progbits,_ZN7rocprim17ROCPRIM_400000_NS6detail17trampoline_kernelINS0_14default_configENS1_21merge_config_selectorIiNS0_10empty_typeEEEZNS1_10merge_implIS3_N6thrust23THRUST_200600_302600_NS6detail15normal_iteratorINS9_10device_ptrIKiEEEESF_NSB_INSC_IiEEEEPS5_SI_SI_NS9_7greaterIiEEEE10hipError_tPvRmT0_T1_T2_T3_T4_T5_mmT6_P12ihipStream_tbEUlT_E0_NS1_11comp_targetILNS1_3genE5ELNS1_11target_archE942ELNS1_3gpuE9ELNS1_3repE0EEENS1_30default_config_static_selectorELNS0_4arch9wavefront6targetE1EEEvSP_,comdat
.Lfunc_end579:
	.size	_ZN7rocprim17ROCPRIM_400000_NS6detail17trampoline_kernelINS0_14default_configENS1_21merge_config_selectorIiNS0_10empty_typeEEEZNS1_10merge_implIS3_N6thrust23THRUST_200600_302600_NS6detail15normal_iteratorINS9_10device_ptrIKiEEEESF_NSB_INSC_IiEEEEPS5_SI_SI_NS9_7greaterIiEEEE10hipError_tPvRmT0_T1_T2_T3_T4_T5_mmT6_P12ihipStream_tbEUlT_E0_NS1_11comp_targetILNS1_3genE5ELNS1_11target_archE942ELNS1_3gpuE9ELNS1_3repE0EEENS1_30default_config_static_selectorELNS0_4arch9wavefront6targetE1EEEvSP_, .Lfunc_end579-_ZN7rocprim17ROCPRIM_400000_NS6detail17trampoline_kernelINS0_14default_configENS1_21merge_config_selectorIiNS0_10empty_typeEEEZNS1_10merge_implIS3_N6thrust23THRUST_200600_302600_NS6detail15normal_iteratorINS9_10device_ptrIKiEEEESF_NSB_INSC_IiEEEEPS5_SI_SI_NS9_7greaterIiEEEE10hipError_tPvRmT0_T1_T2_T3_T4_T5_mmT6_P12ihipStream_tbEUlT_E0_NS1_11comp_targetILNS1_3genE5ELNS1_11target_archE942ELNS1_3gpuE9ELNS1_3repE0EEENS1_30default_config_static_selectorELNS0_4arch9wavefront6targetE1EEEvSP_
                                        ; -- End function
	.section	.AMDGPU.csdata,"",@progbits
; Kernel info:
; codeLenInByte = 0
; NumSgprs: 4
; NumVgprs: 0
; NumAgprs: 0
; TotalNumVgprs: 0
; ScratchSize: 0
; MemoryBound: 0
; FloatMode: 240
; IeeeMode: 1
; LDSByteSize: 0 bytes/workgroup (compile time only)
; SGPRBlocks: 0
; VGPRBlocks: 0
; NumSGPRsForWavesPerEU: 4
; NumVGPRsForWavesPerEU: 1
; AccumOffset: 4
; Occupancy: 8
; WaveLimiterHint : 0
; COMPUTE_PGM_RSRC2:SCRATCH_EN: 0
; COMPUTE_PGM_RSRC2:USER_SGPR: 6
; COMPUTE_PGM_RSRC2:TRAP_HANDLER: 0
; COMPUTE_PGM_RSRC2:TGID_X_EN: 1
; COMPUTE_PGM_RSRC2:TGID_Y_EN: 0
; COMPUTE_PGM_RSRC2:TGID_Z_EN: 0
; COMPUTE_PGM_RSRC2:TIDIG_COMP_CNT: 0
; COMPUTE_PGM_RSRC3_GFX90A:ACCUM_OFFSET: 0
; COMPUTE_PGM_RSRC3_GFX90A:TG_SPLIT: 0
	.section	.text._ZN7rocprim17ROCPRIM_400000_NS6detail17trampoline_kernelINS0_14default_configENS1_21merge_config_selectorIiNS0_10empty_typeEEEZNS1_10merge_implIS3_N6thrust23THRUST_200600_302600_NS6detail15normal_iteratorINS9_10device_ptrIKiEEEESF_NSB_INSC_IiEEEEPS5_SI_SI_NS9_7greaterIiEEEE10hipError_tPvRmT0_T1_T2_T3_T4_T5_mmT6_P12ihipStream_tbEUlT_E0_NS1_11comp_targetILNS1_3genE4ELNS1_11target_archE910ELNS1_3gpuE8ELNS1_3repE0EEENS1_30default_config_static_selectorELNS0_4arch9wavefront6targetE1EEEvSP_,"axG",@progbits,_ZN7rocprim17ROCPRIM_400000_NS6detail17trampoline_kernelINS0_14default_configENS1_21merge_config_selectorIiNS0_10empty_typeEEEZNS1_10merge_implIS3_N6thrust23THRUST_200600_302600_NS6detail15normal_iteratorINS9_10device_ptrIKiEEEESF_NSB_INSC_IiEEEEPS5_SI_SI_NS9_7greaterIiEEEE10hipError_tPvRmT0_T1_T2_T3_T4_T5_mmT6_P12ihipStream_tbEUlT_E0_NS1_11comp_targetILNS1_3genE4ELNS1_11target_archE910ELNS1_3gpuE8ELNS1_3repE0EEENS1_30default_config_static_selectorELNS0_4arch9wavefront6targetE1EEEvSP_,comdat
	.protected	_ZN7rocprim17ROCPRIM_400000_NS6detail17trampoline_kernelINS0_14default_configENS1_21merge_config_selectorIiNS0_10empty_typeEEEZNS1_10merge_implIS3_N6thrust23THRUST_200600_302600_NS6detail15normal_iteratorINS9_10device_ptrIKiEEEESF_NSB_INSC_IiEEEEPS5_SI_SI_NS9_7greaterIiEEEE10hipError_tPvRmT0_T1_T2_T3_T4_T5_mmT6_P12ihipStream_tbEUlT_E0_NS1_11comp_targetILNS1_3genE4ELNS1_11target_archE910ELNS1_3gpuE8ELNS1_3repE0EEENS1_30default_config_static_selectorELNS0_4arch9wavefront6targetE1EEEvSP_ ; -- Begin function _ZN7rocprim17ROCPRIM_400000_NS6detail17trampoline_kernelINS0_14default_configENS1_21merge_config_selectorIiNS0_10empty_typeEEEZNS1_10merge_implIS3_N6thrust23THRUST_200600_302600_NS6detail15normal_iteratorINS9_10device_ptrIKiEEEESF_NSB_INSC_IiEEEEPS5_SI_SI_NS9_7greaterIiEEEE10hipError_tPvRmT0_T1_T2_T3_T4_T5_mmT6_P12ihipStream_tbEUlT_E0_NS1_11comp_targetILNS1_3genE4ELNS1_11target_archE910ELNS1_3gpuE8ELNS1_3repE0EEENS1_30default_config_static_selectorELNS0_4arch9wavefront6targetE1EEEvSP_
	.globl	_ZN7rocprim17ROCPRIM_400000_NS6detail17trampoline_kernelINS0_14default_configENS1_21merge_config_selectorIiNS0_10empty_typeEEEZNS1_10merge_implIS3_N6thrust23THRUST_200600_302600_NS6detail15normal_iteratorINS9_10device_ptrIKiEEEESF_NSB_INSC_IiEEEEPS5_SI_SI_NS9_7greaterIiEEEE10hipError_tPvRmT0_T1_T2_T3_T4_T5_mmT6_P12ihipStream_tbEUlT_E0_NS1_11comp_targetILNS1_3genE4ELNS1_11target_archE910ELNS1_3gpuE8ELNS1_3repE0EEENS1_30default_config_static_selectorELNS0_4arch9wavefront6targetE1EEEvSP_
	.p2align	8
	.type	_ZN7rocprim17ROCPRIM_400000_NS6detail17trampoline_kernelINS0_14default_configENS1_21merge_config_selectorIiNS0_10empty_typeEEEZNS1_10merge_implIS3_N6thrust23THRUST_200600_302600_NS6detail15normal_iteratorINS9_10device_ptrIKiEEEESF_NSB_INSC_IiEEEEPS5_SI_SI_NS9_7greaterIiEEEE10hipError_tPvRmT0_T1_T2_T3_T4_T5_mmT6_P12ihipStream_tbEUlT_E0_NS1_11comp_targetILNS1_3genE4ELNS1_11target_archE910ELNS1_3gpuE8ELNS1_3repE0EEENS1_30default_config_static_selectorELNS0_4arch9wavefront6targetE1EEEvSP_,@function
_ZN7rocprim17ROCPRIM_400000_NS6detail17trampoline_kernelINS0_14default_configENS1_21merge_config_selectorIiNS0_10empty_typeEEEZNS1_10merge_implIS3_N6thrust23THRUST_200600_302600_NS6detail15normal_iteratorINS9_10device_ptrIKiEEEESF_NSB_INSC_IiEEEEPS5_SI_SI_NS9_7greaterIiEEEE10hipError_tPvRmT0_T1_T2_T3_T4_T5_mmT6_P12ihipStream_tbEUlT_E0_NS1_11comp_targetILNS1_3genE4ELNS1_11target_archE910ELNS1_3gpuE8ELNS1_3repE0EEENS1_30default_config_static_selectorELNS0_4arch9wavefront6targetE1EEEvSP_: ; @_ZN7rocprim17ROCPRIM_400000_NS6detail17trampoline_kernelINS0_14default_configENS1_21merge_config_selectorIiNS0_10empty_typeEEEZNS1_10merge_implIS3_N6thrust23THRUST_200600_302600_NS6detail15normal_iteratorINS9_10device_ptrIKiEEEESF_NSB_INSC_IiEEEEPS5_SI_SI_NS9_7greaterIiEEEE10hipError_tPvRmT0_T1_T2_T3_T4_T5_mmT6_P12ihipStream_tbEUlT_E0_NS1_11comp_targetILNS1_3genE4ELNS1_11target_archE910ELNS1_3gpuE8ELNS1_3repE0EEENS1_30default_config_static_selectorELNS0_4arch9wavefront6targetE1EEEvSP_
; %bb.0:
	s_load_dwordx4 s[0:3], s[4:5], 0x40
	s_load_dwordx8 s[12:19], s[4:5], 0x8
	s_mul_i32 s20, s6, 0xa00
	s_mov_b32 s23, 0
	s_waitcnt lgkmcnt(0)
	s_mov_b32 s3, s23
	s_add_i32 s21, s2, s0
	s_add_i32 s0, s21, 0x9ff
	s_mul_hi_u32 s0, s0, 0xcccccccd
	s_lshr_b32 s0, s0, 11
	s_min_u32 s1, s6, s0
	s_lshl_b32 s1, s1, 2
	s_load_dword s22, s[12:13], s1 offset:0x0
	s_add_i32 s6, s6, 1
	s_min_u32 s0, s6, s0
	s_lshl_b32 s0, s0, 2
	s_load_dword s6, s[12:13], s0 offset:0x0
	s_add_i32 s0, s20, 0xa00
	s_min_u32 s7, s21, s0
	s_waitcnt lgkmcnt(0)
	s_sub_i32 s2, s20, s22
	s_lshl_b64 s[0:1], s[22:23], 2
	s_add_u32 s0, s14, s0
	s_addc_u32 s1, s15, s1
	s_lshl_b64 s[4:5], s[2:3], 2
	s_add_u32 s9, s16, s4
	s_addc_u32 s10, s17, s5
	s_add_i32 s2, s2, s6
	s_sub_i32 s22, s6, s22
	s_sub_i32 s8, s7, s2
	s_add_u32 s2, s8, s22
	s_addc_u32 s3, 0, 0
	v_mov_b32_e32 v1, 0
	v_cmp_le_u32_e32 vcc, s22, v0
	s_and_saveexec_b64 s[4:5], vcc
	s_xor_b64 s[4:5], exec, s[4:5]
	s_cbranch_execz .LBB580_4
; %bb.1:
	v_cmp_gt_u64_e32 vcc, s[2:3], v[0:1]
	s_and_saveexec_b64 s[6:7], vcc
	s_cbranch_execz .LBB580_3
; %bb.2:
	v_mov_b32_e32 v1, s23
	v_subrev_co_u32_e32 v2, vcc, s22, v0
	v_subb_co_u32_e32 v3, vcc, 0, v1, vcc
	v_lshlrev_b64 v[2:3], 2, v[2:3]
	v_mov_b32_e32 v1, s10
	v_add_co_u32_e32 v2, vcc, s9, v2
	v_addc_co_u32_e32 v3, vcc, v1, v3, vcc
	global_load_dword v1, v[2:3], off
	v_lshlrev_b32_e32 v2, 2, v0
	s_waitcnt vmcnt(0)
	ds_write_b32 v2, v1
.LBB580_3:
	s_or_b64 exec, exec, s[6:7]
.LBB580_4:
	s_or_saveexec_b64 s[4:5], s[4:5]
	v_lshlrev_b32_e32 v1, 2, v0
	s_xor_b64 exec, exec, s[4:5]
	s_cbranch_execz .LBB580_6
; %bb.5:
	global_load_dword v2, v1, s[0:1]
	s_waitcnt vmcnt(0)
	ds_write_b32 v1, v2
.LBB580_6:
	s_or_b64 exec, exec, s[4:5]
	v_or_b32_e32 v10, 0x100, v0
	v_mov_b32_e32 v11, 0
	v_cmp_le_u32_e32 vcc, s22, v10
	s_and_saveexec_b64 s[4:5], vcc
	s_xor_b64 s[4:5], exec, s[4:5]
	s_cbranch_execz .LBB580_10
; %bb.7:
	v_cmp_gt_u64_e32 vcc, s[2:3], v[10:11]
	s_and_saveexec_b64 s[6:7], vcc
	s_cbranch_execz .LBB580_9
; %bb.8:
	v_mov_b32_e32 v3, s23
	v_subrev_co_u32_e32 v2, vcc, s22, v0
	v_subb_co_u32_e32 v3, vcc, 0, v3, vcc
	v_lshlrev_b64 v[2:3], 2, v[2:3]
	v_mov_b32_e32 v4, s10
	v_add_co_u32_e32 v2, vcc, s9, v2
	v_addc_co_u32_e32 v3, vcc, v4, v3, vcc
	global_load_dword v2, v[2:3], off offset:1024
	s_waitcnt vmcnt(0)
	ds_write_b32 v1, v2 offset:1024
.LBB580_9:
	s_or_b64 exec, exec, s[6:7]
.LBB580_10:
	s_andn2_saveexec_b64 s[4:5], s[4:5]
	s_cbranch_execz .LBB580_12
; %bb.11:
	global_load_dword v2, v1, s[0:1] offset:1024
	s_waitcnt vmcnt(0)
	ds_write_b32 v1, v2 offset:1024
.LBB580_12:
	s_or_b64 exec, exec, s[4:5]
	v_or_b32_e32 v12, 0x200, v0
	v_mov_b32_e32 v13, 0
	v_cmp_le_u32_e32 vcc, s22, v12
	s_and_saveexec_b64 s[4:5], vcc
	s_xor_b64 s[4:5], exec, s[4:5]
	s_cbranch_execz .LBB580_16
; %bb.13:
	v_cmp_gt_u64_e32 vcc, s[2:3], v[12:13]
	s_and_saveexec_b64 s[6:7], vcc
	s_cbranch_execz .LBB580_15
; %bb.14:
	v_mov_b32_e32 v3, s23
	v_subrev_co_u32_e32 v2, vcc, s22, v0
	v_subb_co_u32_e32 v3, vcc, 0, v3, vcc
	v_lshlrev_b64 v[2:3], 2, v[2:3]
	v_mov_b32_e32 v4, s10
	v_add_co_u32_e32 v2, vcc, s9, v2
	v_addc_co_u32_e32 v3, vcc, v4, v3, vcc
	global_load_dword v2, v[2:3], off offset:2048
	s_waitcnt vmcnt(0)
	ds_write_b32 v1, v2 offset:2048
.LBB580_15:
	s_or_b64 exec, exec, s[6:7]
.LBB580_16:
	s_andn2_saveexec_b64 s[4:5], s[4:5]
	s_cbranch_execz .LBB580_18
; %bb.17:
	global_load_dword v2, v1, s[0:1] offset:2048
	s_waitcnt vmcnt(0)
	ds_write_b32 v1, v2 offset:2048
.LBB580_18:
	;; [unrolled: 32-line block ×3, first 2 shown]
	s_or_b64 exec, exec, s[4:5]
	v_or_b32_e32 v16, 0x400, v0
	v_mov_b32_e32 v17, 0
	v_cmp_le_u32_e32 vcc, s22, v16
	s_and_saveexec_b64 s[4:5], vcc
	s_xor_b64 s[4:5], exec, s[4:5]
	s_cbranch_execz .LBB580_28
; %bb.25:
	v_cmp_gt_u64_e32 vcc, s[2:3], v[16:17]
	s_and_saveexec_b64 s[6:7], vcc
	s_cbranch_execz .LBB580_27
; %bb.26:
	v_mov_b32_e32 v3, s23
	v_subrev_co_u32_e32 v2, vcc, s22, v16
	v_subb_co_u32_e32 v3, vcc, 0, v3, vcc
	v_lshlrev_b64 v[2:3], 2, v[2:3]
	v_mov_b32_e32 v4, s10
	v_add_co_u32_e32 v2, vcc, s9, v2
	v_addc_co_u32_e32 v3, vcc, v4, v3, vcc
	global_load_dword v2, v[2:3], off
	s_waitcnt vmcnt(0)
	ds_write_b32 v1, v2 offset:4096
.LBB580_27:
	s_or_b64 exec, exec, s[6:7]
.LBB580_28:
	s_andn2_saveexec_b64 s[4:5], s[4:5]
	s_cbranch_execz .LBB580_30
; %bb.29:
	v_lshlrev_b32_e32 v2, 2, v16
	global_load_dword v2, v2, s[0:1]
	s_waitcnt vmcnt(0)
	ds_write_b32 v1, v2 offset:4096
.LBB580_30:
	s_or_b64 exec, exec, s[4:5]
	v_or_b32_e32 v18, 0x500, v0
	v_mov_b32_e32 v19, 0
	v_cmp_le_u32_e32 vcc, s22, v18
	s_and_saveexec_b64 s[4:5], vcc
	s_xor_b64 s[4:5], exec, s[4:5]
	s_cbranch_execz .LBB580_34
; %bb.31:
	v_cmp_gt_u64_e32 vcc, s[2:3], v[18:19]
	s_and_saveexec_b64 s[6:7], vcc
	s_cbranch_execz .LBB580_33
; %bb.32:
	v_mov_b32_e32 v3, s23
	v_subrev_co_u32_e32 v2, vcc, s22, v18
	v_subb_co_u32_e32 v3, vcc, 0, v3, vcc
	v_lshlrev_b64 v[2:3], 2, v[2:3]
	v_mov_b32_e32 v4, s10
	v_add_co_u32_e32 v2, vcc, s9, v2
	v_addc_co_u32_e32 v3, vcc, v4, v3, vcc
	global_load_dword v2, v[2:3], off
	s_waitcnt vmcnt(0)
	ds_write_b32 v1, v2 offset:5120
.LBB580_33:
	s_or_b64 exec, exec, s[6:7]
.LBB580_34:
	s_andn2_saveexec_b64 s[4:5], s[4:5]
	s_cbranch_execz .LBB580_36
; %bb.35:
	v_lshlrev_b32_e32 v2, 2, v18
	global_load_dword v2, v2, s[0:1]
	s_waitcnt vmcnt(0)
	ds_write_b32 v1, v2 offset:5120
.LBB580_36:
	;; [unrolled: 33-line block ×6, first 2 shown]
	s_or_b64 exec, exec, s[2:3]
	v_mul_u32_u24_e32 v2, 10, v0
	v_sub_u32_e64 v13, v2, s8 clamp
	v_min_u32_e32 v3, s22, v2
	v_cmp_lt_u32_e32 vcc, v13, v3
	v_lshlrev_b32_e32 v11, 2, v2
	s_waitcnt lgkmcnt(0)
	s_barrier
	s_and_saveexec_b64 s[0:1], vcc
	s_cbranch_execz .LBB580_64
; %bb.61:
	v_lshl_add_u32 v4, s22, 2, v11
	s_mov_b64 s[2:3], 0
.LBB580_62:                             ; =>This Inner Loop Header: Depth=1
	v_add_u32_e32 v5, v3, v13
	v_lshrrev_b32_e32 v5, 1, v5
	v_not_b32_e32 v6, v5
	v_lshlrev_b32_e32 v7, 2, v5
	v_lshl_add_u32 v6, v6, 2, v4
	ds_read_b32 v7, v7
	ds_read_b32 v6, v6
	v_add_u32_e32 v8, 1, v5
	s_waitcnt lgkmcnt(0)
	v_cmp_gt_i32_e32 vcc, v6, v7
	v_cndmask_b32_e32 v3, v3, v5, vcc
	v_cndmask_b32_e32 v13, v8, v13, vcc
	v_cmp_ge_u32_e32 vcc, v13, v3
	s_or_b64 s[2:3], vcc, s[2:3]
	s_andn2_b64 exec, exec, s[2:3]
	s_cbranch_execnz .LBB580_62
; %bb.63:
	s_or_b64 exec, exec, s[2:3]
.LBB580_64:
	s_or_b64 exec, exec, s[0:1]
	v_add_u32_e32 v2, s22, v2
	s_add_i32 s23, s8, s22
	v_sub_u32_e32 v15, v2, v13
	v_cmp_ge_u32_e32 vcc, s22, v13
	v_cmp_ge_u32_e64 s[0:1], s23, v15
	s_or_b64 s[0:1], vcc, s[0:1]
                                        ; implicit-def: $vgpr31
                                        ; implicit-def: $vgpr33
                                        ; implicit-def: $vgpr29
	s_and_saveexec_b64 s[16:17], s[0:1]
                                        ; implicit-def: $vgpr6_vgpr7_vgpr8_vgpr9
                                        ; implicit-def: $vgpr2_vgpr3_vgpr4_vgpr5
	s_cbranch_execz .LBB580_70
; %bb.65:
	v_cmp_gt_u32_e32 vcc, s22, v13
                                        ; implicit-def: $vgpr2
	s_and_saveexec_b64 s[0:1], vcc
	s_cbranch_execz .LBB580_67
; %bb.66:
	v_lshlrev_b32_e32 v2, 2, v13
	ds_read_b32 v2, v2
.LBB580_67:
	s_or_b64 exec, exec, s[0:1]
	v_cmp_le_u32_e64 s[0:1], s23, v15
	v_cmp_gt_u32_e64 s[2:3], s23, v15
                                        ; implicit-def: $vgpr3
	s_and_saveexec_b64 s[4:5], s[2:3]
	s_cbranch_execz .LBB580_69
; %bb.68:
	v_lshlrev_b32_e32 v3, 2, v15
	ds_read_b32 v3, v3
.LBB580_69:
	s_or_b64 exec, exec, s[4:5]
	s_waitcnt lgkmcnt(0)
	v_cmp_le_i32_e64 s[2:3], v3, v2
	s_and_b64 s[2:3], vcc, s[2:3]
	s_or_b64 vcc, s[0:1], s[2:3]
	v_mov_b32_e32 v5, s23
	v_mov_b32_e32 v7, s22
	v_cndmask_b32_e32 v4, v15, v13, vcc
	v_cndmask_b32_e32 v6, v5, v7, vcc
	v_add_u32_e32 v4, 1, v4
	v_add_u32_e32 v6, -1, v6
	v_min_u32_e32 v6, v4, v6
	v_lshlrev_b32_e32 v6, 2, v6
	ds_read_b32 v6, v6
	v_cndmask_b32_e32 v9, v4, v15, vcc
	v_cndmask_b32_e32 v4, v13, v4, vcc
	v_cmp_gt_u32_e64 s[2:3], s22, v4
	v_cmp_le_u32_e64 s[0:1], s23, v9
	s_waitcnt lgkmcnt(0)
	v_cndmask_b32_e32 v8, v6, v3, vcc
	v_cndmask_b32_e32 v6, v2, v6, vcc
	v_cmp_le_i32_e64 s[4:5], v8, v6
	s_and_b64 s[2:3], s[2:3], s[4:5]
	s_or_b64 s[0:1], s[0:1], s[2:3]
	v_cndmask_b32_e64 v13, v9, v4, s[0:1]
	v_cndmask_b32_e64 v15, v5, v7, s[0:1]
	v_add_u32_e32 v13, 1, v13
	v_add_u32_e32 v15, -1, v15
	v_min_u32_e32 v15, v13, v15
	v_lshlrev_b32_e32 v15, 2, v15
	ds_read_b32 v15, v15
	v_cndmask_b32_e64 v4, v4, v13, s[0:1]
	v_cndmask_b32_e64 v9, v13, v9, s[0:1]
	v_cmp_gt_u32_e64 s[4:5], s22, v4
	v_cmp_le_u32_e64 s[2:3], s23, v9
	s_waitcnt lgkmcnt(0)
	v_cndmask_b32_e64 v17, v15, v8, s[0:1]
	v_cndmask_b32_e64 v15, v6, v15, s[0:1]
	v_cmp_le_i32_e64 s[6:7], v17, v15
	s_and_b64 s[4:5], s[4:5], s[6:7]
	s_or_b64 s[2:3], s[2:3], s[4:5]
	v_cndmask_b32_e64 v13, v9, v4, s[2:3]
	v_cndmask_b32_e64 v19, v5, v7, s[2:3]
	v_add_u32_e32 v13, 1, v13
	v_add_u32_e32 v19, -1, v19
	v_min_u32_e32 v19, v13, v19
	v_lshlrev_b32_e32 v19, 2, v19
	ds_read_b32 v19, v19
	v_cndmask_b32_e64 v4, v4, v13, s[2:3]
	v_cndmask_b32_e64 v9, v13, v9, s[2:3]
	v_cmp_gt_u32_e64 s[6:7], s22, v4
	v_cmp_le_u32_e64 s[4:5], s23, v9
	s_waitcnt lgkmcnt(0)
	v_cndmask_b32_e64 v21, v19, v17, s[2:3]
	v_cndmask_b32_e64 v19, v15, v19, s[2:3]
	;; [unrolled: 17-line block ×5, first 2 shown]
	v_cmp_le_i32_e64 s[14:15], v31, v32
	s_and_b64 s[12:13], s[12:13], s[14:15]
	s_or_b64 s[10:11], s[10:11], s[12:13]
	v_cndmask_b32_e64 v13, v9, v4, s[10:11]
	v_cndmask_b32_e64 v28, v5, v7, s[10:11]
	v_add_u32_e32 v13, 1, v13
	v_add_u32_e32 v28, -1, v28
	v_min_u32_e32 v28, v13, v28
	v_lshlrev_b32_e32 v28, 2, v28
	ds_read_b32 v28, v28
	v_cndmask_b32_e64 v4, v4, v13, s[10:11]
	v_cndmask_b32_e64 v9, v13, v9, s[10:11]
	v_cmp_gt_u32_e64 s[12:13], s22, v4
	v_cndmask_b32_e32 v2, v3, v2, vcc
	s_waitcnt lgkmcnt(0)
	v_cndmask_b32_e64 v33, v28, v31, s[10:11]
	v_cndmask_b32_e64 v34, v32, v28, s[10:11]
	v_cmp_le_i32_e64 s[14:15], v33, v34
	v_cmp_le_u32_e32 vcc, s23, v9
	s_and_b64 s[12:13], s[12:13], s[14:15]
	s_or_b64 vcc, vcc, s[12:13]
	v_cndmask_b32_e32 v3, v9, v4, vcc
	v_cndmask_b32_e32 v13, v5, v7, vcc
	v_add_u32_e32 v35, 1, v3
	v_add_u32_e32 v3, -1, v13
	v_min_u32_e32 v3, v35, v3
	v_lshlrev_b32_e32 v3, 2, v3
	ds_read_b32 v13, v3
	v_cndmask_b32_e64 v3, v8, v6, s[0:1]
	v_cndmask_b32_e32 v4, v4, v35, vcc
	v_cndmask_b32_e64 v28, v17, v15, s[2:3]
	v_cndmask_b32_e64 v29, v21, v19, s[4:5]
	s_waitcnt lgkmcnt(0)
	v_cndmask_b32_e32 v8, v13, v33, vcc
	v_cndmask_b32_e32 v13, v34, v13, vcc
	;; [unrolled: 1-line block ×3, first 2 shown]
	v_cmp_gt_u32_e64 s[2:3], s22, v4
	v_cmp_le_i32_e64 s[4:5], v8, v13
	v_cmp_le_u32_e64 s[0:1], s23, v9
	s_and_b64 s[2:3], s[2:3], s[4:5]
	s_or_b64 s[0:1], s[0:1], s[2:3]
	v_cndmask_b32_e64 v15, v9, v4, s[0:1]
	v_cndmask_b32_e64 v5, v5, v7, s[0:1]
	v_add_u32_e32 v15, 1, v15
	v_add_u32_e32 v5, -1, v5
	v_min_u32_e32 v5, v15, v5
	v_lshlrev_b32_e32 v5, 2, v5
	ds_read_b32 v5, v5
	v_cndmask_b32_e64 v7, v30, v27, s[8:9]
	v_cndmask_b32_e64 v30, v8, v13, s[0:1]
	;; [unrolled: 1-line block ×4, first 2 shown]
	s_waitcnt lgkmcnt(0)
	v_cndmask_b32_e64 v8, v5, v8, s[0:1]
	v_cndmask_b32_e64 v5, v13, v5, s[0:1]
	v_cmp_gt_u32_e64 s[0:1], s22, v4
	v_cmp_le_i32_e64 s[2:3], v8, v5
	v_cndmask_b32_e32 v33, v33, v34, vcc
	v_cmp_le_u32_e32 vcc, s23, v9
	s_and_b64 s[0:1], s[0:1], s[2:3]
	s_or_b64 vcc, vcc, s[0:1]
	v_cndmask_b32_e64 v6, v25, v23, s[6:7]
	v_cndmask_b32_e64 v32, v31, v32, s[10:11]
	v_cndmask_b32_e32 v31, v8, v5, vcc
.LBB580_70:
	s_or_b64 exec, exec, s[16:17]
	s_sub_i32 s6, s21, s20
	s_mov_b32 s21, 0
	s_lshl_b64 s[0:1], s[20:21], 2
	s_add_u32 s0, s18, s0
	s_addc_u32 s1, s19, s1
	s_cmpk_gt_u32 s6, 0x9ff
	s_barrier
	ds_write2_b64 v11, v[2:3], v[28:29] offset1:1
	ds_write2_b64 v11, v[6:7], v[32:33] offset0:2 offset1:3
	ds_write_b64 v11, v[30:31] offset:32
	s_waitcnt lgkmcnt(0)
	s_cbranch_scc0 .LBB580_72
; %bb.71:
	s_movk_i32 s2, 0xffdc
	v_mad_i32_i24 v2, v0, s2, v11
	s_barrier
	ds_read2st64_b32 v[4:5], v2 offset1:4
	ds_read2st64_b32 v[6:7], v2 offset0:8 offset1:12
	ds_read2st64_b32 v[8:9], v2 offset0:16 offset1:20
	;; [unrolled: 1-line block ×4, first 2 shown]
	v_mov_b32_e32 v13, s1
	v_add_co_u32_e32 v15, vcc, s0, v1
	v_addc_co_u32_e32 v13, vcc, 0, v13, vcc
	s_movk_i32 s2, 0x1000
	s_waitcnt lgkmcnt(4)
	global_store_dword v1, v4, s[0:1]
	global_store_dword v1, v5, s[0:1] offset:1024
	s_waitcnt lgkmcnt(3)
	global_store_dword v1, v6, s[0:1] offset:2048
	global_store_dword v1, v7, s[0:1] offset:3072
	v_add_co_u32_e32 v4, vcc, s2, v15
	v_addc_co_u32_e32 v5, vcc, 0, v13, vcc
	s_waitcnt lgkmcnt(2)
	global_store_dword v[4:5], v8, off
	global_store_dword v[4:5], v9, off offset:1024
	s_waitcnt lgkmcnt(1)
	global_store_dword v[4:5], v28, off offset:2048
	global_store_dword v[4:5], v29, off offset:3072
	v_add_co_u32_e32 v4, vcc, 0x2000, v15
	v_addc_co_u32_e32 v5, vcc, 0, v13, vcc
	s_waitcnt lgkmcnt(0)
	global_store_dword v[4:5], v2, off
	s_mov_b64 s[2:3], -1
	s_cbranch_execz .LBB580_73
	s_branch .LBB580_84
.LBB580_72:
	s_mov_b64 s[2:3], 0
                                        ; implicit-def: $vgpr3
.LBB580_73:
	s_movk_i32 s2, 0xffdc
	v_mad_i32_i24 v2, v0, s2, v11
	s_barrier
	ds_read2st64_b32 v[30:31], v2 offset0:4 offset1:8
	ds_read2st64_b32 v[28:29], v2 offset0:12 offset1:16
	;; [unrolled: 1-line block ×4, first 2 shown]
	ds_read_b32 v3, v2 offset:9216
	v_mov_b32_e32 v2, s1
	v_add_co_u32_e32 v6, vcc, s0, v1
	v_addc_co_u32_e32 v7, vcc, 0, v2, vcc
	v_cmp_gt_u32_e32 vcc, s6, v0
	s_and_saveexec_b64 s[2:3], vcc
	s_cbranch_execnz .LBB580_87
; %bb.74:
	s_or_b64 exec, exec, s[2:3]
	v_cmp_gt_u32_e32 vcc, s6, v10
	s_and_saveexec_b64 s[2:3], vcc
	s_cbranch_execnz .LBB580_88
.LBB580_75:
	s_or_b64 exec, exec, s[2:3]
	v_cmp_gt_u32_e32 vcc, s6, v12
	s_and_saveexec_b64 s[2:3], vcc
	s_cbranch_execnz .LBB580_89
.LBB580_76:
	s_or_b64 exec, exec, s[2:3]
	v_cmp_gt_u32_e32 vcc, s6, v14
	s_and_saveexec_b64 s[2:3], vcc
	s_cbranch_execnz .LBB580_90
.LBB580_77:
	s_or_b64 exec, exec, s[2:3]
	v_cmp_gt_u32_e32 vcc, s6, v16
	s_and_saveexec_b64 s[2:3], vcc
	s_cbranch_execnz .LBB580_91
.LBB580_78:
	s_or_b64 exec, exec, s[2:3]
	v_cmp_gt_u32_e32 vcc, s6, v18
	s_and_saveexec_b64 s[2:3], vcc
	s_cbranch_execnz .LBB580_92
.LBB580_79:
	s_or_b64 exec, exec, s[2:3]
	v_cmp_gt_u32_e32 vcc, s6, v20
	s_and_saveexec_b64 s[2:3], vcc
	s_cbranch_execnz .LBB580_93
.LBB580_80:
	s_or_b64 exec, exec, s[2:3]
	v_cmp_gt_u32_e32 vcc, s6, v22
	s_and_saveexec_b64 s[2:3], vcc
	s_cbranch_execnz .LBB580_94
.LBB580_81:
	s_or_b64 exec, exec, s[2:3]
	v_cmp_gt_u32_e32 vcc, s6, v24
	s_and_saveexec_b64 s[2:3], vcc
	s_cbranch_execz .LBB580_83
.LBB580_82:
	v_add_co_u32_e32 v6, vcc, 0x2000, v6
	v_addc_co_u32_e32 v7, vcc, 0, v7, vcc
	s_waitcnt lgkmcnt(1)
	global_store_dword v[6:7], v5, off
.LBB580_83:
	s_or_b64 exec, exec, s[2:3]
	v_cmp_gt_u32_e64 s[2:3], s6, v26
.LBB580_84:
	s_and_saveexec_b64 s[4:5], s[2:3]
	s_cbranch_execnz .LBB580_86
; %bb.85:
	s_endpgm
.LBB580_86:
	v_mov_b32_e32 v0, s1
	v_add_co_u32_e32 v1, vcc, s0, v1
	v_addc_co_u32_e32 v2, vcc, 0, v0, vcc
	v_add_co_u32_e32 v0, vcc, 0x2000, v1
	v_addc_co_u32_e32 v1, vcc, 0, v2, vcc
	s_waitcnt lgkmcnt(0)
	global_store_dword v[0:1], v3, off offset:1024
	s_endpgm
.LBB580_87:
	v_mul_i32_i24_e32 v0, 0xffffffdc, v0
	v_add_u32_e32 v0, v11, v0
	ds_read_b32 v0, v0
	s_waitcnt lgkmcnt(0)
	global_store_dword v[6:7], v0, off
	s_or_b64 exec, exec, s[2:3]
	v_cmp_gt_u32_e32 vcc, s6, v10
	s_and_saveexec_b64 s[2:3], vcc
	s_cbranch_execz .LBB580_75
.LBB580_88:
	s_waitcnt lgkmcnt(4)
	global_store_dword v[6:7], v30, off offset:1024
	s_or_b64 exec, exec, s[2:3]
	v_cmp_gt_u32_e32 vcc, s6, v12
	s_and_saveexec_b64 s[2:3], vcc
	s_cbranch_execz .LBB580_76
.LBB580_89:
	s_waitcnt lgkmcnt(4)
	global_store_dword v[6:7], v31, off offset:2048
	s_or_b64 exec, exec, s[2:3]
	v_cmp_gt_u32_e32 vcc, s6, v14
	s_and_saveexec_b64 s[2:3], vcc
	s_cbranch_execz .LBB580_77
.LBB580_90:
	s_waitcnt lgkmcnt(3)
	global_store_dword v[6:7], v28, off offset:3072
	s_or_b64 exec, exec, s[2:3]
	v_cmp_gt_u32_e32 vcc, s6, v16
	s_and_saveexec_b64 s[2:3], vcc
	s_cbranch_execz .LBB580_78
.LBB580_91:
	v_add_co_u32_e32 v10, vcc, 0x1000, v6
	v_addc_co_u32_e32 v11, vcc, 0, v7, vcc
	s_waitcnt lgkmcnt(3)
	global_store_dword v[10:11], v29, off
	s_or_b64 exec, exec, s[2:3]
	v_cmp_gt_u32_e32 vcc, s6, v18
	s_and_saveexec_b64 s[2:3], vcc
	s_cbranch_execz .LBB580_79
.LBB580_92:
	v_add_co_u32_e32 v10, vcc, 0x1000, v6
	v_addc_co_u32_e32 v11, vcc, 0, v7, vcc
	s_waitcnt lgkmcnt(2)
	global_store_dword v[10:11], v8, off offset:1024
	s_or_b64 exec, exec, s[2:3]
	v_cmp_gt_u32_e32 vcc, s6, v20
	s_and_saveexec_b64 s[2:3], vcc
	s_cbranch_execz .LBB580_80
.LBB580_93:
	v_add_co_u32_e32 v10, vcc, 0x1000, v6
	v_addc_co_u32_e32 v11, vcc, 0, v7, vcc
	s_waitcnt lgkmcnt(2)
	global_store_dword v[10:11], v9, off offset:2048
	s_or_b64 exec, exec, s[2:3]
	v_cmp_gt_u32_e32 vcc, s6, v22
	s_and_saveexec_b64 s[2:3], vcc
	s_cbranch_execz .LBB580_81
.LBB580_94:
	s_waitcnt lgkmcnt(2)
	v_add_co_u32_e32 v8, vcc, 0x1000, v6
	v_addc_co_u32_e32 v9, vcc, 0, v7, vcc
	s_waitcnt lgkmcnt(1)
	global_store_dword v[8:9], v4, off offset:3072
	s_or_b64 exec, exec, s[2:3]
	v_cmp_gt_u32_e32 vcc, s6, v24
	s_and_saveexec_b64 s[2:3], vcc
	s_cbranch_execnz .LBB580_82
	s_branch .LBB580_83
	.section	.rodata,"a",@progbits
	.p2align	6, 0x0
	.amdhsa_kernel _ZN7rocprim17ROCPRIM_400000_NS6detail17trampoline_kernelINS0_14default_configENS1_21merge_config_selectorIiNS0_10empty_typeEEEZNS1_10merge_implIS3_N6thrust23THRUST_200600_302600_NS6detail15normal_iteratorINS9_10device_ptrIKiEEEESF_NSB_INSC_IiEEEEPS5_SI_SI_NS9_7greaterIiEEEE10hipError_tPvRmT0_T1_T2_T3_T4_T5_mmT6_P12ihipStream_tbEUlT_E0_NS1_11comp_targetILNS1_3genE4ELNS1_11target_archE910ELNS1_3gpuE8ELNS1_3repE0EEENS1_30default_config_static_selectorELNS0_4arch9wavefront6targetE1EEEvSP_
		.amdhsa_group_segment_fixed_size 10256
		.amdhsa_private_segment_fixed_size 0
		.amdhsa_kernarg_size 88
		.amdhsa_user_sgpr_count 6
		.amdhsa_user_sgpr_private_segment_buffer 1
		.amdhsa_user_sgpr_dispatch_ptr 0
		.amdhsa_user_sgpr_queue_ptr 0
		.amdhsa_user_sgpr_kernarg_segment_ptr 1
		.amdhsa_user_sgpr_dispatch_id 0
		.amdhsa_user_sgpr_flat_scratch_init 0
		.amdhsa_user_sgpr_kernarg_preload_length 0
		.amdhsa_user_sgpr_kernarg_preload_offset 0
		.amdhsa_user_sgpr_private_segment_size 0
		.amdhsa_uses_dynamic_stack 0
		.amdhsa_system_sgpr_private_segment_wavefront_offset 0
		.amdhsa_system_sgpr_workgroup_id_x 1
		.amdhsa_system_sgpr_workgroup_id_y 0
		.amdhsa_system_sgpr_workgroup_id_z 0
		.amdhsa_system_sgpr_workgroup_info 0
		.amdhsa_system_vgpr_workitem_id 0
		.amdhsa_next_free_vgpr 36
		.amdhsa_next_free_sgpr 24
		.amdhsa_accum_offset 36
		.amdhsa_reserve_vcc 1
		.amdhsa_reserve_flat_scratch 0
		.amdhsa_float_round_mode_32 0
		.amdhsa_float_round_mode_16_64 0
		.amdhsa_float_denorm_mode_32 3
		.amdhsa_float_denorm_mode_16_64 3
		.amdhsa_dx10_clamp 1
		.amdhsa_ieee_mode 1
		.amdhsa_fp16_overflow 0
		.amdhsa_tg_split 0
		.amdhsa_exception_fp_ieee_invalid_op 0
		.amdhsa_exception_fp_denorm_src 0
		.amdhsa_exception_fp_ieee_div_zero 0
		.amdhsa_exception_fp_ieee_overflow 0
		.amdhsa_exception_fp_ieee_underflow 0
		.amdhsa_exception_fp_ieee_inexact 0
		.amdhsa_exception_int_div_zero 0
	.end_amdhsa_kernel
	.section	.text._ZN7rocprim17ROCPRIM_400000_NS6detail17trampoline_kernelINS0_14default_configENS1_21merge_config_selectorIiNS0_10empty_typeEEEZNS1_10merge_implIS3_N6thrust23THRUST_200600_302600_NS6detail15normal_iteratorINS9_10device_ptrIKiEEEESF_NSB_INSC_IiEEEEPS5_SI_SI_NS9_7greaterIiEEEE10hipError_tPvRmT0_T1_T2_T3_T4_T5_mmT6_P12ihipStream_tbEUlT_E0_NS1_11comp_targetILNS1_3genE4ELNS1_11target_archE910ELNS1_3gpuE8ELNS1_3repE0EEENS1_30default_config_static_selectorELNS0_4arch9wavefront6targetE1EEEvSP_,"axG",@progbits,_ZN7rocprim17ROCPRIM_400000_NS6detail17trampoline_kernelINS0_14default_configENS1_21merge_config_selectorIiNS0_10empty_typeEEEZNS1_10merge_implIS3_N6thrust23THRUST_200600_302600_NS6detail15normal_iteratorINS9_10device_ptrIKiEEEESF_NSB_INSC_IiEEEEPS5_SI_SI_NS9_7greaterIiEEEE10hipError_tPvRmT0_T1_T2_T3_T4_T5_mmT6_P12ihipStream_tbEUlT_E0_NS1_11comp_targetILNS1_3genE4ELNS1_11target_archE910ELNS1_3gpuE8ELNS1_3repE0EEENS1_30default_config_static_selectorELNS0_4arch9wavefront6targetE1EEEvSP_,comdat
.Lfunc_end580:
	.size	_ZN7rocprim17ROCPRIM_400000_NS6detail17trampoline_kernelINS0_14default_configENS1_21merge_config_selectorIiNS0_10empty_typeEEEZNS1_10merge_implIS3_N6thrust23THRUST_200600_302600_NS6detail15normal_iteratorINS9_10device_ptrIKiEEEESF_NSB_INSC_IiEEEEPS5_SI_SI_NS9_7greaterIiEEEE10hipError_tPvRmT0_T1_T2_T3_T4_T5_mmT6_P12ihipStream_tbEUlT_E0_NS1_11comp_targetILNS1_3genE4ELNS1_11target_archE910ELNS1_3gpuE8ELNS1_3repE0EEENS1_30default_config_static_selectorELNS0_4arch9wavefront6targetE1EEEvSP_, .Lfunc_end580-_ZN7rocprim17ROCPRIM_400000_NS6detail17trampoline_kernelINS0_14default_configENS1_21merge_config_selectorIiNS0_10empty_typeEEEZNS1_10merge_implIS3_N6thrust23THRUST_200600_302600_NS6detail15normal_iteratorINS9_10device_ptrIKiEEEESF_NSB_INSC_IiEEEEPS5_SI_SI_NS9_7greaterIiEEEE10hipError_tPvRmT0_T1_T2_T3_T4_T5_mmT6_P12ihipStream_tbEUlT_E0_NS1_11comp_targetILNS1_3genE4ELNS1_11target_archE910ELNS1_3gpuE8ELNS1_3repE0EEENS1_30default_config_static_selectorELNS0_4arch9wavefront6targetE1EEEvSP_
                                        ; -- End function
	.section	.AMDGPU.csdata,"",@progbits
; Kernel info:
; codeLenInByte = 3580
; NumSgprs: 28
; NumVgprs: 36
; NumAgprs: 0
; TotalNumVgprs: 36
; ScratchSize: 0
; MemoryBound: 0
; FloatMode: 240
; IeeeMode: 1
; LDSByteSize: 10256 bytes/workgroup (compile time only)
; SGPRBlocks: 3
; VGPRBlocks: 4
; NumSGPRsForWavesPerEU: 28
; NumVGPRsForWavesPerEU: 36
; AccumOffset: 36
; Occupancy: 6
; WaveLimiterHint : 1
; COMPUTE_PGM_RSRC2:SCRATCH_EN: 0
; COMPUTE_PGM_RSRC2:USER_SGPR: 6
; COMPUTE_PGM_RSRC2:TRAP_HANDLER: 0
; COMPUTE_PGM_RSRC2:TGID_X_EN: 1
; COMPUTE_PGM_RSRC2:TGID_Y_EN: 0
; COMPUTE_PGM_RSRC2:TGID_Z_EN: 0
; COMPUTE_PGM_RSRC2:TIDIG_COMP_CNT: 0
; COMPUTE_PGM_RSRC3_GFX90A:ACCUM_OFFSET: 8
; COMPUTE_PGM_RSRC3_GFX90A:TG_SPLIT: 0
	.section	.text._ZN7rocprim17ROCPRIM_400000_NS6detail17trampoline_kernelINS0_14default_configENS1_21merge_config_selectorIiNS0_10empty_typeEEEZNS1_10merge_implIS3_N6thrust23THRUST_200600_302600_NS6detail15normal_iteratorINS9_10device_ptrIKiEEEESF_NSB_INSC_IiEEEEPS5_SI_SI_NS9_7greaterIiEEEE10hipError_tPvRmT0_T1_T2_T3_T4_T5_mmT6_P12ihipStream_tbEUlT_E0_NS1_11comp_targetILNS1_3genE3ELNS1_11target_archE908ELNS1_3gpuE7ELNS1_3repE0EEENS1_30default_config_static_selectorELNS0_4arch9wavefront6targetE1EEEvSP_,"axG",@progbits,_ZN7rocprim17ROCPRIM_400000_NS6detail17trampoline_kernelINS0_14default_configENS1_21merge_config_selectorIiNS0_10empty_typeEEEZNS1_10merge_implIS3_N6thrust23THRUST_200600_302600_NS6detail15normal_iteratorINS9_10device_ptrIKiEEEESF_NSB_INSC_IiEEEEPS5_SI_SI_NS9_7greaterIiEEEE10hipError_tPvRmT0_T1_T2_T3_T4_T5_mmT6_P12ihipStream_tbEUlT_E0_NS1_11comp_targetILNS1_3genE3ELNS1_11target_archE908ELNS1_3gpuE7ELNS1_3repE0EEENS1_30default_config_static_selectorELNS0_4arch9wavefront6targetE1EEEvSP_,comdat
	.protected	_ZN7rocprim17ROCPRIM_400000_NS6detail17trampoline_kernelINS0_14default_configENS1_21merge_config_selectorIiNS0_10empty_typeEEEZNS1_10merge_implIS3_N6thrust23THRUST_200600_302600_NS6detail15normal_iteratorINS9_10device_ptrIKiEEEESF_NSB_INSC_IiEEEEPS5_SI_SI_NS9_7greaterIiEEEE10hipError_tPvRmT0_T1_T2_T3_T4_T5_mmT6_P12ihipStream_tbEUlT_E0_NS1_11comp_targetILNS1_3genE3ELNS1_11target_archE908ELNS1_3gpuE7ELNS1_3repE0EEENS1_30default_config_static_selectorELNS0_4arch9wavefront6targetE1EEEvSP_ ; -- Begin function _ZN7rocprim17ROCPRIM_400000_NS6detail17trampoline_kernelINS0_14default_configENS1_21merge_config_selectorIiNS0_10empty_typeEEEZNS1_10merge_implIS3_N6thrust23THRUST_200600_302600_NS6detail15normal_iteratorINS9_10device_ptrIKiEEEESF_NSB_INSC_IiEEEEPS5_SI_SI_NS9_7greaterIiEEEE10hipError_tPvRmT0_T1_T2_T3_T4_T5_mmT6_P12ihipStream_tbEUlT_E0_NS1_11comp_targetILNS1_3genE3ELNS1_11target_archE908ELNS1_3gpuE7ELNS1_3repE0EEENS1_30default_config_static_selectorELNS0_4arch9wavefront6targetE1EEEvSP_
	.globl	_ZN7rocprim17ROCPRIM_400000_NS6detail17trampoline_kernelINS0_14default_configENS1_21merge_config_selectorIiNS0_10empty_typeEEEZNS1_10merge_implIS3_N6thrust23THRUST_200600_302600_NS6detail15normal_iteratorINS9_10device_ptrIKiEEEESF_NSB_INSC_IiEEEEPS5_SI_SI_NS9_7greaterIiEEEE10hipError_tPvRmT0_T1_T2_T3_T4_T5_mmT6_P12ihipStream_tbEUlT_E0_NS1_11comp_targetILNS1_3genE3ELNS1_11target_archE908ELNS1_3gpuE7ELNS1_3repE0EEENS1_30default_config_static_selectorELNS0_4arch9wavefront6targetE1EEEvSP_
	.p2align	8
	.type	_ZN7rocprim17ROCPRIM_400000_NS6detail17trampoline_kernelINS0_14default_configENS1_21merge_config_selectorIiNS0_10empty_typeEEEZNS1_10merge_implIS3_N6thrust23THRUST_200600_302600_NS6detail15normal_iteratorINS9_10device_ptrIKiEEEESF_NSB_INSC_IiEEEEPS5_SI_SI_NS9_7greaterIiEEEE10hipError_tPvRmT0_T1_T2_T3_T4_T5_mmT6_P12ihipStream_tbEUlT_E0_NS1_11comp_targetILNS1_3genE3ELNS1_11target_archE908ELNS1_3gpuE7ELNS1_3repE0EEENS1_30default_config_static_selectorELNS0_4arch9wavefront6targetE1EEEvSP_,@function
_ZN7rocprim17ROCPRIM_400000_NS6detail17trampoline_kernelINS0_14default_configENS1_21merge_config_selectorIiNS0_10empty_typeEEEZNS1_10merge_implIS3_N6thrust23THRUST_200600_302600_NS6detail15normal_iteratorINS9_10device_ptrIKiEEEESF_NSB_INSC_IiEEEEPS5_SI_SI_NS9_7greaterIiEEEE10hipError_tPvRmT0_T1_T2_T3_T4_T5_mmT6_P12ihipStream_tbEUlT_E0_NS1_11comp_targetILNS1_3genE3ELNS1_11target_archE908ELNS1_3gpuE7ELNS1_3repE0EEENS1_30default_config_static_selectorELNS0_4arch9wavefront6targetE1EEEvSP_: ; @_ZN7rocprim17ROCPRIM_400000_NS6detail17trampoline_kernelINS0_14default_configENS1_21merge_config_selectorIiNS0_10empty_typeEEEZNS1_10merge_implIS3_N6thrust23THRUST_200600_302600_NS6detail15normal_iteratorINS9_10device_ptrIKiEEEESF_NSB_INSC_IiEEEEPS5_SI_SI_NS9_7greaterIiEEEE10hipError_tPvRmT0_T1_T2_T3_T4_T5_mmT6_P12ihipStream_tbEUlT_E0_NS1_11comp_targetILNS1_3genE3ELNS1_11target_archE908ELNS1_3gpuE7ELNS1_3repE0EEENS1_30default_config_static_selectorELNS0_4arch9wavefront6targetE1EEEvSP_
; %bb.0:
	.section	.rodata,"a",@progbits
	.p2align	6, 0x0
	.amdhsa_kernel _ZN7rocprim17ROCPRIM_400000_NS6detail17trampoline_kernelINS0_14default_configENS1_21merge_config_selectorIiNS0_10empty_typeEEEZNS1_10merge_implIS3_N6thrust23THRUST_200600_302600_NS6detail15normal_iteratorINS9_10device_ptrIKiEEEESF_NSB_INSC_IiEEEEPS5_SI_SI_NS9_7greaterIiEEEE10hipError_tPvRmT0_T1_T2_T3_T4_T5_mmT6_P12ihipStream_tbEUlT_E0_NS1_11comp_targetILNS1_3genE3ELNS1_11target_archE908ELNS1_3gpuE7ELNS1_3repE0EEENS1_30default_config_static_selectorELNS0_4arch9wavefront6targetE1EEEvSP_
		.amdhsa_group_segment_fixed_size 0
		.amdhsa_private_segment_fixed_size 0
		.amdhsa_kernarg_size 88
		.amdhsa_user_sgpr_count 6
		.amdhsa_user_sgpr_private_segment_buffer 1
		.amdhsa_user_sgpr_dispatch_ptr 0
		.amdhsa_user_sgpr_queue_ptr 0
		.amdhsa_user_sgpr_kernarg_segment_ptr 1
		.amdhsa_user_sgpr_dispatch_id 0
		.amdhsa_user_sgpr_flat_scratch_init 0
		.amdhsa_user_sgpr_kernarg_preload_length 0
		.amdhsa_user_sgpr_kernarg_preload_offset 0
		.amdhsa_user_sgpr_private_segment_size 0
		.amdhsa_uses_dynamic_stack 0
		.amdhsa_system_sgpr_private_segment_wavefront_offset 0
		.amdhsa_system_sgpr_workgroup_id_x 1
		.amdhsa_system_sgpr_workgroup_id_y 0
		.amdhsa_system_sgpr_workgroup_id_z 0
		.amdhsa_system_sgpr_workgroup_info 0
		.amdhsa_system_vgpr_workitem_id 0
		.amdhsa_next_free_vgpr 1
		.amdhsa_next_free_sgpr 0
		.amdhsa_accum_offset 4
		.amdhsa_reserve_vcc 0
		.amdhsa_reserve_flat_scratch 0
		.amdhsa_float_round_mode_32 0
		.amdhsa_float_round_mode_16_64 0
		.amdhsa_float_denorm_mode_32 3
		.amdhsa_float_denorm_mode_16_64 3
		.amdhsa_dx10_clamp 1
		.amdhsa_ieee_mode 1
		.amdhsa_fp16_overflow 0
		.amdhsa_tg_split 0
		.amdhsa_exception_fp_ieee_invalid_op 0
		.amdhsa_exception_fp_denorm_src 0
		.amdhsa_exception_fp_ieee_div_zero 0
		.amdhsa_exception_fp_ieee_overflow 0
		.amdhsa_exception_fp_ieee_underflow 0
		.amdhsa_exception_fp_ieee_inexact 0
		.amdhsa_exception_int_div_zero 0
	.end_amdhsa_kernel
	.section	.text._ZN7rocprim17ROCPRIM_400000_NS6detail17trampoline_kernelINS0_14default_configENS1_21merge_config_selectorIiNS0_10empty_typeEEEZNS1_10merge_implIS3_N6thrust23THRUST_200600_302600_NS6detail15normal_iteratorINS9_10device_ptrIKiEEEESF_NSB_INSC_IiEEEEPS5_SI_SI_NS9_7greaterIiEEEE10hipError_tPvRmT0_T1_T2_T3_T4_T5_mmT6_P12ihipStream_tbEUlT_E0_NS1_11comp_targetILNS1_3genE3ELNS1_11target_archE908ELNS1_3gpuE7ELNS1_3repE0EEENS1_30default_config_static_selectorELNS0_4arch9wavefront6targetE1EEEvSP_,"axG",@progbits,_ZN7rocprim17ROCPRIM_400000_NS6detail17trampoline_kernelINS0_14default_configENS1_21merge_config_selectorIiNS0_10empty_typeEEEZNS1_10merge_implIS3_N6thrust23THRUST_200600_302600_NS6detail15normal_iteratorINS9_10device_ptrIKiEEEESF_NSB_INSC_IiEEEEPS5_SI_SI_NS9_7greaterIiEEEE10hipError_tPvRmT0_T1_T2_T3_T4_T5_mmT6_P12ihipStream_tbEUlT_E0_NS1_11comp_targetILNS1_3genE3ELNS1_11target_archE908ELNS1_3gpuE7ELNS1_3repE0EEENS1_30default_config_static_selectorELNS0_4arch9wavefront6targetE1EEEvSP_,comdat
.Lfunc_end581:
	.size	_ZN7rocprim17ROCPRIM_400000_NS6detail17trampoline_kernelINS0_14default_configENS1_21merge_config_selectorIiNS0_10empty_typeEEEZNS1_10merge_implIS3_N6thrust23THRUST_200600_302600_NS6detail15normal_iteratorINS9_10device_ptrIKiEEEESF_NSB_INSC_IiEEEEPS5_SI_SI_NS9_7greaterIiEEEE10hipError_tPvRmT0_T1_T2_T3_T4_T5_mmT6_P12ihipStream_tbEUlT_E0_NS1_11comp_targetILNS1_3genE3ELNS1_11target_archE908ELNS1_3gpuE7ELNS1_3repE0EEENS1_30default_config_static_selectorELNS0_4arch9wavefront6targetE1EEEvSP_, .Lfunc_end581-_ZN7rocprim17ROCPRIM_400000_NS6detail17trampoline_kernelINS0_14default_configENS1_21merge_config_selectorIiNS0_10empty_typeEEEZNS1_10merge_implIS3_N6thrust23THRUST_200600_302600_NS6detail15normal_iteratorINS9_10device_ptrIKiEEEESF_NSB_INSC_IiEEEEPS5_SI_SI_NS9_7greaterIiEEEE10hipError_tPvRmT0_T1_T2_T3_T4_T5_mmT6_P12ihipStream_tbEUlT_E0_NS1_11comp_targetILNS1_3genE3ELNS1_11target_archE908ELNS1_3gpuE7ELNS1_3repE0EEENS1_30default_config_static_selectorELNS0_4arch9wavefront6targetE1EEEvSP_
                                        ; -- End function
	.section	.AMDGPU.csdata,"",@progbits
; Kernel info:
; codeLenInByte = 0
; NumSgprs: 4
; NumVgprs: 0
; NumAgprs: 0
; TotalNumVgprs: 0
; ScratchSize: 0
; MemoryBound: 0
; FloatMode: 240
; IeeeMode: 1
; LDSByteSize: 0 bytes/workgroup (compile time only)
; SGPRBlocks: 0
; VGPRBlocks: 0
; NumSGPRsForWavesPerEU: 4
; NumVGPRsForWavesPerEU: 1
; AccumOffset: 4
; Occupancy: 8
; WaveLimiterHint : 0
; COMPUTE_PGM_RSRC2:SCRATCH_EN: 0
; COMPUTE_PGM_RSRC2:USER_SGPR: 6
; COMPUTE_PGM_RSRC2:TRAP_HANDLER: 0
; COMPUTE_PGM_RSRC2:TGID_X_EN: 1
; COMPUTE_PGM_RSRC2:TGID_Y_EN: 0
; COMPUTE_PGM_RSRC2:TGID_Z_EN: 0
; COMPUTE_PGM_RSRC2:TIDIG_COMP_CNT: 0
; COMPUTE_PGM_RSRC3_GFX90A:ACCUM_OFFSET: 0
; COMPUTE_PGM_RSRC3_GFX90A:TG_SPLIT: 0
	.section	.text._ZN7rocprim17ROCPRIM_400000_NS6detail17trampoline_kernelINS0_14default_configENS1_21merge_config_selectorIiNS0_10empty_typeEEEZNS1_10merge_implIS3_N6thrust23THRUST_200600_302600_NS6detail15normal_iteratorINS9_10device_ptrIKiEEEESF_NSB_INSC_IiEEEEPS5_SI_SI_NS9_7greaterIiEEEE10hipError_tPvRmT0_T1_T2_T3_T4_T5_mmT6_P12ihipStream_tbEUlT_E0_NS1_11comp_targetILNS1_3genE2ELNS1_11target_archE906ELNS1_3gpuE6ELNS1_3repE0EEENS1_30default_config_static_selectorELNS0_4arch9wavefront6targetE1EEEvSP_,"axG",@progbits,_ZN7rocprim17ROCPRIM_400000_NS6detail17trampoline_kernelINS0_14default_configENS1_21merge_config_selectorIiNS0_10empty_typeEEEZNS1_10merge_implIS3_N6thrust23THRUST_200600_302600_NS6detail15normal_iteratorINS9_10device_ptrIKiEEEESF_NSB_INSC_IiEEEEPS5_SI_SI_NS9_7greaterIiEEEE10hipError_tPvRmT0_T1_T2_T3_T4_T5_mmT6_P12ihipStream_tbEUlT_E0_NS1_11comp_targetILNS1_3genE2ELNS1_11target_archE906ELNS1_3gpuE6ELNS1_3repE0EEENS1_30default_config_static_selectorELNS0_4arch9wavefront6targetE1EEEvSP_,comdat
	.protected	_ZN7rocprim17ROCPRIM_400000_NS6detail17trampoline_kernelINS0_14default_configENS1_21merge_config_selectorIiNS0_10empty_typeEEEZNS1_10merge_implIS3_N6thrust23THRUST_200600_302600_NS6detail15normal_iteratorINS9_10device_ptrIKiEEEESF_NSB_INSC_IiEEEEPS5_SI_SI_NS9_7greaterIiEEEE10hipError_tPvRmT0_T1_T2_T3_T4_T5_mmT6_P12ihipStream_tbEUlT_E0_NS1_11comp_targetILNS1_3genE2ELNS1_11target_archE906ELNS1_3gpuE6ELNS1_3repE0EEENS1_30default_config_static_selectorELNS0_4arch9wavefront6targetE1EEEvSP_ ; -- Begin function _ZN7rocprim17ROCPRIM_400000_NS6detail17trampoline_kernelINS0_14default_configENS1_21merge_config_selectorIiNS0_10empty_typeEEEZNS1_10merge_implIS3_N6thrust23THRUST_200600_302600_NS6detail15normal_iteratorINS9_10device_ptrIKiEEEESF_NSB_INSC_IiEEEEPS5_SI_SI_NS9_7greaterIiEEEE10hipError_tPvRmT0_T1_T2_T3_T4_T5_mmT6_P12ihipStream_tbEUlT_E0_NS1_11comp_targetILNS1_3genE2ELNS1_11target_archE906ELNS1_3gpuE6ELNS1_3repE0EEENS1_30default_config_static_selectorELNS0_4arch9wavefront6targetE1EEEvSP_
	.globl	_ZN7rocprim17ROCPRIM_400000_NS6detail17trampoline_kernelINS0_14default_configENS1_21merge_config_selectorIiNS0_10empty_typeEEEZNS1_10merge_implIS3_N6thrust23THRUST_200600_302600_NS6detail15normal_iteratorINS9_10device_ptrIKiEEEESF_NSB_INSC_IiEEEEPS5_SI_SI_NS9_7greaterIiEEEE10hipError_tPvRmT0_T1_T2_T3_T4_T5_mmT6_P12ihipStream_tbEUlT_E0_NS1_11comp_targetILNS1_3genE2ELNS1_11target_archE906ELNS1_3gpuE6ELNS1_3repE0EEENS1_30default_config_static_selectorELNS0_4arch9wavefront6targetE1EEEvSP_
	.p2align	8
	.type	_ZN7rocprim17ROCPRIM_400000_NS6detail17trampoline_kernelINS0_14default_configENS1_21merge_config_selectorIiNS0_10empty_typeEEEZNS1_10merge_implIS3_N6thrust23THRUST_200600_302600_NS6detail15normal_iteratorINS9_10device_ptrIKiEEEESF_NSB_INSC_IiEEEEPS5_SI_SI_NS9_7greaterIiEEEE10hipError_tPvRmT0_T1_T2_T3_T4_T5_mmT6_P12ihipStream_tbEUlT_E0_NS1_11comp_targetILNS1_3genE2ELNS1_11target_archE906ELNS1_3gpuE6ELNS1_3repE0EEENS1_30default_config_static_selectorELNS0_4arch9wavefront6targetE1EEEvSP_,@function
_ZN7rocprim17ROCPRIM_400000_NS6detail17trampoline_kernelINS0_14default_configENS1_21merge_config_selectorIiNS0_10empty_typeEEEZNS1_10merge_implIS3_N6thrust23THRUST_200600_302600_NS6detail15normal_iteratorINS9_10device_ptrIKiEEEESF_NSB_INSC_IiEEEEPS5_SI_SI_NS9_7greaterIiEEEE10hipError_tPvRmT0_T1_T2_T3_T4_T5_mmT6_P12ihipStream_tbEUlT_E0_NS1_11comp_targetILNS1_3genE2ELNS1_11target_archE906ELNS1_3gpuE6ELNS1_3repE0EEENS1_30default_config_static_selectorELNS0_4arch9wavefront6targetE1EEEvSP_: ; @_ZN7rocprim17ROCPRIM_400000_NS6detail17trampoline_kernelINS0_14default_configENS1_21merge_config_selectorIiNS0_10empty_typeEEEZNS1_10merge_implIS3_N6thrust23THRUST_200600_302600_NS6detail15normal_iteratorINS9_10device_ptrIKiEEEESF_NSB_INSC_IiEEEEPS5_SI_SI_NS9_7greaterIiEEEE10hipError_tPvRmT0_T1_T2_T3_T4_T5_mmT6_P12ihipStream_tbEUlT_E0_NS1_11comp_targetILNS1_3genE2ELNS1_11target_archE906ELNS1_3gpuE6ELNS1_3repE0EEENS1_30default_config_static_selectorELNS0_4arch9wavefront6targetE1EEEvSP_
; %bb.0:
	.section	.rodata,"a",@progbits
	.p2align	6, 0x0
	.amdhsa_kernel _ZN7rocprim17ROCPRIM_400000_NS6detail17trampoline_kernelINS0_14default_configENS1_21merge_config_selectorIiNS0_10empty_typeEEEZNS1_10merge_implIS3_N6thrust23THRUST_200600_302600_NS6detail15normal_iteratorINS9_10device_ptrIKiEEEESF_NSB_INSC_IiEEEEPS5_SI_SI_NS9_7greaterIiEEEE10hipError_tPvRmT0_T1_T2_T3_T4_T5_mmT6_P12ihipStream_tbEUlT_E0_NS1_11comp_targetILNS1_3genE2ELNS1_11target_archE906ELNS1_3gpuE6ELNS1_3repE0EEENS1_30default_config_static_selectorELNS0_4arch9wavefront6targetE1EEEvSP_
		.amdhsa_group_segment_fixed_size 0
		.amdhsa_private_segment_fixed_size 0
		.amdhsa_kernarg_size 88
		.amdhsa_user_sgpr_count 6
		.amdhsa_user_sgpr_private_segment_buffer 1
		.amdhsa_user_sgpr_dispatch_ptr 0
		.amdhsa_user_sgpr_queue_ptr 0
		.amdhsa_user_sgpr_kernarg_segment_ptr 1
		.amdhsa_user_sgpr_dispatch_id 0
		.amdhsa_user_sgpr_flat_scratch_init 0
		.amdhsa_user_sgpr_kernarg_preload_length 0
		.amdhsa_user_sgpr_kernarg_preload_offset 0
		.amdhsa_user_sgpr_private_segment_size 0
		.amdhsa_uses_dynamic_stack 0
		.amdhsa_system_sgpr_private_segment_wavefront_offset 0
		.amdhsa_system_sgpr_workgroup_id_x 1
		.amdhsa_system_sgpr_workgroup_id_y 0
		.amdhsa_system_sgpr_workgroup_id_z 0
		.amdhsa_system_sgpr_workgroup_info 0
		.amdhsa_system_vgpr_workitem_id 0
		.amdhsa_next_free_vgpr 1
		.amdhsa_next_free_sgpr 0
		.amdhsa_accum_offset 4
		.amdhsa_reserve_vcc 0
		.amdhsa_reserve_flat_scratch 0
		.amdhsa_float_round_mode_32 0
		.amdhsa_float_round_mode_16_64 0
		.amdhsa_float_denorm_mode_32 3
		.amdhsa_float_denorm_mode_16_64 3
		.amdhsa_dx10_clamp 1
		.amdhsa_ieee_mode 1
		.amdhsa_fp16_overflow 0
		.amdhsa_tg_split 0
		.amdhsa_exception_fp_ieee_invalid_op 0
		.amdhsa_exception_fp_denorm_src 0
		.amdhsa_exception_fp_ieee_div_zero 0
		.amdhsa_exception_fp_ieee_overflow 0
		.amdhsa_exception_fp_ieee_underflow 0
		.amdhsa_exception_fp_ieee_inexact 0
		.amdhsa_exception_int_div_zero 0
	.end_amdhsa_kernel
	.section	.text._ZN7rocprim17ROCPRIM_400000_NS6detail17trampoline_kernelINS0_14default_configENS1_21merge_config_selectorIiNS0_10empty_typeEEEZNS1_10merge_implIS3_N6thrust23THRUST_200600_302600_NS6detail15normal_iteratorINS9_10device_ptrIKiEEEESF_NSB_INSC_IiEEEEPS5_SI_SI_NS9_7greaterIiEEEE10hipError_tPvRmT0_T1_T2_T3_T4_T5_mmT6_P12ihipStream_tbEUlT_E0_NS1_11comp_targetILNS1_3genE2ELNS1_11target_archE906ELNS1_3gpuE6ELNS1_3repE0EEENS1_30default_config_static_selectorELNS0_4arch9wavefront6targetE1EEEvSP_,"axG",@progbits,_ZN7rocprim17ROCPRIM_400000_NS6detail17trampoline_kernelINS0_14default_configENS1_21merge_config_selectorIiNS0_10empty_typeEEEZNS1_10merge_implIS3_N6thrust23THRUST_200600_302600_NS6detail15normal_iteratorINS9_10device_ptrIKiEEEESF_NSB_INSC_IiEEEEPS5_SI_SI_NS9_7greaterIiEEEE10hipError_tPvRmT0_T1_T2_T3_T4_T5_mmT6_P12ihipStream_tbEUlT_E0_NS1_11comp_targetILNS1_3genE2ELNS1_11target_archE906ELNS1_3gpuE6ELNS1_3repE0EEENS1_30default_config_static_selectorELNS0_4arch9wavefront6targetE1EEEvSP_,comdat
.Lfunc_end582:
	.size	_ZN7rocprim17ROCPRIM_400000_NS6detail17trampoline_kernelINS0_14default_configENS1_21merge_config_selectorIiNS0_10empty_typeEEEZNS1_10merge_implIS3_N6thrust23THRUST_200600_302600_NS6detail15normal_iteratorINS9_10device_ptrIKiEEEESF_NSB_INSC_IiEEEEPS5_SI_SI_NS9_7greaterIiEEEE10hipError_tPvRmT0_T1_T2_T3_T4_T5_mmT6_P12ihipStream_tbEUlT_E0_NS1_11comp_targetILNS1_3genE2ELNS1_11target_archE906ELNS1_3gpuE6ELNS1_3repE0EEENS1_30default_config_static_selectorELNS0_4arch9wavefront6targetE1EEEvSP_, .Lfunc_end582-_ZN7rocprim17ROCPRIM_400000_NS6detail17trampoline_kernelINS0_14default_configENS1_21merge_config_selectorIiNS0_10empty_typeEEEZNS1_10merge_implIS3_N6thrust23THRUST_200600_302600_NS6detail15normal_iteratorINS9_10device_ptrIKiEEEESF_NSB_INSC_IiEEEEPS5_SI_SI_NS9_7greaterIiEEEE10hipError_tPvRmT0_T1_T2_T3_T4_T5_mmT6_P12ihipStream_tbEUlT_E0_NS1_11comp_targetILNS1_3genE2ELNS1_11target_archE906ELNS1_3gpuE6ELNS1_3repE0EEENS1_30default_config_static_selectorELNS0_4arch9wavefront6targetE1EEEvSP_
                                        ; -- End function
	.section	.AMDGPU.csdata,"",@progbits
; Kernel info:
; codeLenInByte = 0
; NumSgprs: 4
; NumVgprs: 0
; NumAgprs: 0
; TotalNumVgprs: 0
; ScratchSize: 0
; MemoryBound: 0
; FloatMode: 240
; IeeeMode: 1
; LDSByteSize: 0 bytes/workgroup (compile time only)
; SGPRBlocks: 0
; VGPRBlocks: 0
; NumSGPRsForWavesPerEU: 4
; NumVGPRsForWavesPerEU: 1
; AccumOffset: 4
; Occupancy: 8
; WaveLimiterHint : 0
; COMPUTE_PGM_RSRC2:SCRATCH_EN: 0
; COMPUTE_PGM_RSRC2:USER_SGPR: 6
; COMPUTE_PGM_RSRC2:TRAP_HANDLER: 0
; COMPUTE_PGM_RSRC2:TGID_X_EN: 1
; COMPUTE_PGM_RSRC2:TGID_Y_EN: 0
; COMPUTE_PGM_RSRC2:TGID_Z_EN: 0
; COMPUTE_PGM_RSRC2:TIDIG_COMP_CNT: 0
; COMPUTE_PGM_RSRC3_GFX90A:ACCUM_OFFSET: 0
; COMPUTE_PGM_RSRC3_GFX90A:TG_SPLIT: 0
	.section	.text._ZN7rocprim17ROCPRIM_400000_NS6detail17trampoline_kernelINS0_14default_configENS1_21merge_config_selectorIiNS0_10empty_typeEEEZNS1_10merge_implIS3_N6thrust23THRUST_200600_302600_NS6detail15normal_iteratorINS9_10device_ptrIKiEEEESF_NSB_INSC_IiEEEEPS5_SI_SI_NS9_7greaterIiEEEE10hipError_tPvRmT0_T1_T2_T3_T4_T5_mmT6_P12ihipStream_tbEUlT_E0_NS1_11comp_targetILNS1_3genE10ELNS1_11target_archE1201ELNS1_3gpuE5ELNS1_3repE0EEENS1_30default_config_static_selectorELNS0_4arch9wavefront6targetE1EEEvSP_,"axG",@progbits,_ZN7rocprim17ROCPRIM_400000_NS6detail17trampoline_kernelINS0_14default_configENS1_21merge_config_selectorIiNS0_10empty_typeEEEZNS1_10merge_implIS3_N6thrust23THRUST_200600_302600_NS6detail15normal_iteratorINS9_10device_ptrIKiEEEESF_NSB_INSC_IiEEEEPS5_SI_SI_NS9_7greaterIiEEEE10hipError_tPvRmT0_T1_T2_T3_T4_T5_mmT6_P12ihipStream_tbEUlT_E0_NS1_11comp_targetILNS1_3genE10ELNS1_11target_archE1201ELNS1_3gpuE5ELNS1_3repE0EEENS1_30default_config_static_selectorELNS0_4arch9wavefront6targetE1EEEvSP_,comdat
	.protected	_ZN7rocprim17ROCPRIM_400000_NS6detail17trampoline_kernelINS0_14default_configENS1_21merge_config_selectorIiNS0_10empty_typeEEEZNS1_10merge_implIS3_N6thrust23THRUST_200600_302600_NS6detail15normal_iteratorINS9_10device_ptrIKiEEEESF_NSB_INSC_IiEEEEPS5_SI_SI_NS9_7greaterIiEEEE10hipError_tPvRmT0_T1_T2_T3_T4_T5_mmT6_P12ihipStream_tbEUlT_E0_NS1_11comp_targetILNS1_3genE10ELNS1_11target_archE1201ELNS1_3gpuE5ELNS1_3repE0EEENS1_30default_config_static_selectorELNS0_4arch9wavefront6targetE1EEEvSP_ ; -- Begin function _ZN7rocprim17ROCPRIM_400000_NS6detail17trampoline_kernelINS0_14default_configENS1_21merge_config_selectorIiNS0_10empty_typeEEEZNS1_10merge_implIS3_N6thrust23THRUST_200600_302600_NS6detail15normal_iteratorINS9_10device_ptrIKiEEEESF_NSB_INSC_IiEEEEPS5_SI_SI_NS9_7greaterIiEEEE10hipError_tPvRmT0_T1_T2_T3_T4_T5_mmT6_P12ihipStream_tbEUlT_E0_NS1_11comp_targetILNS1_3genE10ELNS1_11target_archE1201ELNS1_3gpuE5ELNS1_3repE0EEENS1_30default_config_static_selectorELNS0_4arch9wavefront6targetE1EEEvSP_
	.globl	_ZN7rocprim17ROCPRIM_400000_NS6detail17trampoline_kernelINS0_14default_configENS1_21merge_config_selectorIiNS0_10empty_typeEEEZNS1_10merge_implIS3_N6thrust23THRUST_200600_302600_NS6detail15normal_iteratorINS9_10device_ptrIKiEEEESF_NSB_INSC_IiEEEEPS5_SI_SI_NS9_7greaterIiEEEE10hipError_tPvRmT0_T1_T2_T3_T4_T5_mmT6_P12ihipStream_tbEUlT_E0_NS1_11comp_targetILNS1_3genE10ELNS1_11target_archE1201ELNS1_3gpuE5ELNS1_3repE0EEENS1_30default_config_static_selectorELNS0_4arch9wavefront6targetE1EEEvSP_
	.p2align	8
	.type	_ZN7rocprim17ROCPRIM_400000_NS6detail17trampoline_kernelINS0_14default_configENS1_21merge_config_selectorIiNS0_10empty_typeEEEZNS1_10merge_implIS3_N6thrust23THRUST_200600_302600_NS6detail15normal_iteratorINS9_10device_ptrIKiEEEESF_NSB_INSC_IiEEEEPS5_SI_SI_NS9_7greaterIiEEEE10hipError_tPvRmT0_T1_T2_T3_T4_T5_mmT6_P12ihipStream_tbEUlT_E0_NS1_11comp_targetILNS1_3genE10ELNS1_11target_archE1201ELNS1_3gpuE5ELNS1_3repE0EEENS1_30default_config_static_selectorELNS0_4arch9wavefront6targetE1EEEvSP_,@function
_ZN7rocprim17ROCPRIM_400000_NS6detail17trampoline_kernelINS0_14default_configENS1_21merge_config_selectorIiNS0_10empty_typeEEEZNS1_10merge_implIS3_N6thrust23THRUST_200600_302600_NS6detail15normal_iteratorINS9_10device_ptrIKiEEEESF_NSB_INSC_IiEEEEPS5_SI_SI_NS9_7greaterIiEEEE10hipError_tPvRmT0_T1_T2_T3_T4_T5_mmT6_P12ihipStream_tbEUlT_E0_NS1_11comp_targetILNS1_3genE10ELNS1_11target_archE1201ELNS1_3gpuE5ELNS1_3repE0EEENS1_30default_config_static_selectorELNS0_4arch9wavefront6targetE1EEEvSP_: ; @_ZN7rocprim17ROCPRIM_400000_NS6detail17trampoline_kernelINS0_14default_configENS1_21merge_config_selectorIiNS0_10empty_typeEEEZNS1_10merge_implIS3_N6thrust23THRUST_200600_302600_NS6detail15normal_iteratorINS9_10device_ptrIKiEEEESF_NSB_INSC_IiEEEEPS5_SI_SI_NS9_7greaterIiEEEE10hipError_tPvRmT0_T1_T2_T3_T4_T5_mmT6_P12ihipStream_tbEUlT_E0_NS1_11comp_targetILNS1_3genE10ELNS1_11target_archE1201ELNS1_3gpuE5ELNS1_3repE0EEENS1_30default_config_static_selectorELNS0_4arch9wavefront6targetE1EEEvSP_
; %bb.0:
	.section	.rodata,"a",@progbits
	.p2align	6, 0x0
	.amdhsa_kernel _ZN7rocprim17ROCPRIM_400000_NS6detail17trampoline_kernelINS0_14default_configENS1_21merge_config_selectorIiNS0_10empty_typeEEEZNS1_10merge_implIS3_N6thrust23THRUST_200600_302600_NS6detail15normal_iteratorINS9_10device_ptrIKiEEEESF_NSB_INSC_IiEEEEPS5_SI_SI_NS9_7greaterIiEEEE10hipError_tPvRmT0_T1_T2_T3_T4_T5_mmT6_P12ihipStream_tbEUlT_E0_NS1_11comp_targetILNS1_3genE10ELNS1_11target_archE1201ELNS1_3gpuE5ELNS1_3repE0EEENS1_30default_config_static_selectorELNS0_4arch9wavefront6targetE1EEEvSP_
		.amdhsa_group_segment_fixed_size 0
		.amdhsa_private_segment_fixed_size 0
		.amdhsa_kernarg_size 88
		.amdhsa_user_sgpr_count 6
		.amdhsa_user_sgpr_private_segment_buffer 1
		.amdhsa_user_sgpr_dispatch_ptr 0
		.amdhsa_user_sgpr_queue_ptr 0
		.amdhsa_user_sgpr_kernarg_segment_ptr 1
		.amdhsa_user_sgpr_dispatch_id 0
		.amdhsa_user_sgpr_flat_scratch_init 0
		.amdhsa_user_sgpr_kernarg_preload_length 0
		.amdhsa_user_sgpr_kernarg_preload_offset 0
		.amdhsa_user_sgpr_private_segment_size 0
		.amdhsa_uses_dynamic_stack 0
		.amdhsa_system_sgpr_private_segment_wavefront_offset 0
		.amdhsa_system_sgpr_workgroup_id_x 1
		.amdhsa_system_sgpr_workgroup_id_y 0
		.amdhsa_system_sgpr_workgroup_id_z 0
		.amdhsa_system_sgpr_workgroup_info 0
		.amdhsa_system_vgpr_workitem_id 0
		.amdhsa_next_free_vgpr 1
		.amdhsa_next_free_sgpr 0
		.amdhsa_accum_offset 4
		.amdhsa_reserve_vcc 0
		.amdhsa_reserve_flat_scratch 0
		.amdhsa_float_round_mode_32 0
		.amdhsa_float_round_mode_16_64 0
		.amdhsa_float_denorm_mode_32 3
		.amdhsa_float_denorm_mode_16_64 3
		.amdhsa_dx10_clamp 1
		.amdhsa_ieee_mode 1
		.amdhsa_fp16_overflow 0
		.amdhsa_tg_split 0
		.amdhsa_exception_fp_ieee_invalid_op 0
		.amdhsa_exception_fp_denorm_src 0
		.amdhsa_exception_fp_ieee_div_zero 0
		.amdhsa_exception_fp_ieee_overflow 0
		.amdhsa_exception_fp_ieee_underflow 0
		.amdhsa_exception_fp_ieee_inexact 0
		.amdhsa_exception_int_div_zero 0
	.end_amdhsa_kernel
	.section	.text._ZN7rocprim17ROCPRIM_400000_NS6detail17trampoline_kernelINS0_14default_configENS1_21merge_config_selectorIiNS0_10empty_typeEEEZNS1_10merge_implIS3_N6thrust23THRUST_200600_302600_NS6detail15normal_iteratorINS9_10device_ptrIKiEEEESF_NSB_INSC_IiEEEEPS5_SI_SI_NS9_7greaterIiEEEE10hipError_tPvRmT0_T1_T2_T3_T4_T5_mmT6_P12ihipStream_tbEUlT_E0_NS1_11comp_targetILNS1_3genE10ELNS1_11target_archE1201ELNS1_3gpuE5ELNS1_3repE0EEENS1_30default_config_static_selectorELNS0_4arch9wavefront6targetE1EEEvSP_,"axG",@progbits,_ZN7rocprim17ROCPRIM_400000_NS6detail17trampoline_kernelINS0_14default_configENS1_21merge_config_selectorIiNS0_10empty_typeEEEZNS1_10merge_implIS3_N6thrust23THRUST_200600_302600_NS6detail15normal_iteratorINS9_10device_ptrIKiEEEESF_NSB_INSC_IiEEEEPS5_SI_SI_NS9_7greaterIiEEEE10hipError_tPvRmT0_T1_T2_T3_T4_T5_mmT6_P12ihipStream_tbEUlT_E0_NS1_11comp_targetILNS1_3genE10ELNS1_11target_archE1201ELNS1_3gpuE5ELNS1_3repE0EEENS1_30default_config_static_selectorELNS0_4arch9wavefront6targetE1EEEvSP_,comdat
.Lfunc_end583:
	.size	_ZN7rocprim17ROCPRIM_400000_NS6detail17trampoline_kernelINS0_14default_configENS1_21merge_config_selectorIiNS0_10empty_typeEEEZNS1_10merge_implIS3_N6thrust23THRUST_200600_302600_NS6detail15normal_iteratorINS9_10device_ptrIKiEEEESF_NSB_INSC_IiEEEEPS5_SI_SI_NS9_7greaterIiEEEE10hipError_tPvRmT0_T1_T2_T3_T4_T5_mmT6_P12ihipStream_tbEUlT_E0_NS1_11comp_targetILNS1_3genE10ELNS1_11target_archE1201ELNS1_3gpuE5ELNS1_3repE0EEENS1_30default_config_static_selectorELNS0_4arch9wavefront6targetE1EEEvSP_, .Lfunc_end583-_ZN7rocprim17ROCPRIM_400000_NS6detail17trampoline_kernelINS0_14default_configENS1_21merge_config_selectorIiNS0_10empty_typeEEEZNS1_10merge_implIS3_N6thrust23THRUST_200600_302600_NS6detail15normal_iteratorINS9_10device_ptrIKiEEEESF_NSB_INSC_IiEEEEPS5_SI_SI_NS9_7greaterIiEEEE10hipError_tPvRmT0_T1_T2_T3_T4_T5_mmT6_P12ihipStream_tbEUlT_E0_NS1_11comp_targetILNS1_3genE10ELNS1_11target_archE1201ELNS1_3gpuE5ELNS1_3repE0EEENS1_30default_config_static_selectorELNS0_4arch9wavefront6targetE1EEEvSP_
                                        ; -- End function
	.section	.AMDGPU.csdata,"",@progbits
; Kernel info:
; codeLenInByte = 0
; NumSgprs: 4
; NumVgprs: 0
; NumAgprs: 0
; TotalNumVgprs: 0
; ScratchSize: 0
; MemoryBound: 0
; FloatMode: 240
; IeeeMode: 1
; LDSByteSize: 0 bytes/workgroup (compile time only)
; SGPRBlocks: 0
; VGPRBlocks: 0
; NumSGPRsForWavesPerEU: 4
; NumVGPRsForWavesPerEU: 1
; AccumOffset: 4
; Occupancy: 8
; WaveLimiterHint : 0
; COMPUTE_PGM_RSRC2:SCRATCH_EN: 0
; COMPUTE_PGM_RSRC2:USER_SGPR: 6
; COMPUTE_PGM_RSRC2:TRAP_HANDLER: 0
; COMPUTE_PGM_RSRC2:TGID_X_EN: 1
; COMPUTE_PGM_RSRC2:TGID_Y_EN: 0
; COMPUTE_PGM_RSRC2:TGID_Z_EN: 0
; COMPUTE_PGM_RSRC2:TIDIG_COMP_CNT: 0
; COMPUTE_PGM_RSRC3_GFX90A:ACCUM_OFFSET: 0
; COMPUTE_PGM_RSRC3_GFX90A:TG_SPLIT: 0
	.section	.text._ZN7rocprim17ROCPRIM_400000_NS6detail17trampoline_kernelINS0_14default_configENS1_21merge_config_selectorIiNS0_10empty_typeEEEZNS1_10merge_implIS3_N6thrust23THRUST_200600_302600_NS6detail15normal_iteratorINS9_10device_ptrIKiEEEESF_NSB_INSC_IiEEEEPS5_SI_SI_NS9_7greaterIiEEEE10hipError_tPvRmT0_T1_T2_T3_T4_T5_mmT6_P12ihipStream_tbEUlT_E0_NS1_11comp_targetILNS1_3genE10ELNS1_11target_archE1200ELNS1_3gpuE4ELNS1_3repE0EEENS1_30default_config_static_selectorELNS0_4arch9wavefront6targetE1EEEvSP_,"axG",@progbits,_ZN7rocprim17ROCPRIM_400000_NS6detail17trampoline_kernelINS0_14default_configENS1_21merge_config_selectorIiNS0_10empty_typeEEEZNS1_10merge_implIS3_N6thrust23THRUST_200600_302600_NS6detail15normal_iteratorINS9_10device_ptrIKiEEEESF_NSB_INSC_IiEEEEPS5_SI_SI_NS9_7greaterIiEEEE10hipError_tPvRmT0_T1_T2_T3_T4_T5_mmT6_P12ihipStream_tbEUlT_E0_NS1_11comp_targetILNS1_3genE10ELNS1_11target_archE1200ELNS1_3gpuE4ELNS1_3repE0EEENS1_30default_config_static_selectorELNS0_4arch9wavefront6targetE1EEEvSP_,comdat
	.protected	_ZN7rocprim17ROCPRIM_400000_NS6detail17trampoline_kernelINS0_14default_configENS1_21merge_config_selectorIiNS0_10empty_typeEEEZNS1_10merge_implIS3_N6thrust23THRUST_200600_302600_NS6detail15normal_iteratorINS9_10device_ptrIKiEEEESF_NSB_INSC_IiEEEEPS5_SI_SI_NS9_7greaterIiEEEE10hipError_tPvRmT0_T1_T2_T3_T4_T5_mmT6_P12ihipStream_tbEUlT_E0_NS1_11comp_targetILNS1_3genE10ELNS1_11target_archE1200ELNS1_3gpuE4ELNS1_3repE0EEENS1_30default_config_static_selectorELNS0_4arch9wavefront6targetE1EEEvSP_ ; -- Begin function _ZN7rocprim17ROCPRIM_400000_NS6detail17trampoline_kernelINS0_14default_configENS1_21merge_config_selectorIiNS0_10empty_typeEEEZNS1_10merge_implIS3_N6thrust23THRUST_200600_302600_NS6detail15normal_iteratorINS9_10device_ptrIKiEEEESF_NSB_INSC_IiEEEEPS5_SI_SI_NS9_7greaterIiEEEE10hipError_tPvRmT0_T1_T2_T3_T4_T5_mmT6_P12ihipStream_tbEUlT_E0_NS1_11comp_targetILNS1_3genE10ELNS1_11target_archE1200ELNS1_3gpuE4ELNS1_3repE0EEENS1_30default_config_static_selectorELNS0_4arch9wavefront6targetE1EEEvSP_
	.globl	_ZN7rocprim17ROCPRIM_400000_NS6detail17trampoline_kernelINS0_14default_configENS1_21merge_config_selectorIiNS0_10empty_typeEEEZNS1_10merge_implIS3_N6thrust23THRUST_200600_302600_NS6detail15normal_iteratorINS9_10device_ptrIKiEEEESF_NSB_INSC_IiEEEEPS5_SI_SI_NS9_7greaterIiEEEE10hipError_tPvRmT0_T1_T2_T3_T4_T5_mmT6_P12ihipStream_tbEUlT_E0_NS1_11comp_targetILNS1_3genE10ELNS1_11target_archE1200ELNS1_3gpuE4ELNS1_3repE0EEENS1_30default_config_static_selectorELNS0_4arch9wavefront6targetE1EEEvSP_
	.p2align	8
	.type	_ZN7rocprim17ROCPRIM_400000_NS6detail17trampoline_kernelINS0_14default_configENS1_21merge_config_selectorIiNS0_10empty_typeEEEZNS1_10merge_implIS3_N6thrust23THRUST_200600_302600_NS6detail15normal_iteratorINS9_10device_ptrIKiEEEESF_NSB_INSC_IiEEEEPS5_SI_SI_NS9_7greaterIiEEEE10hipError_tPvRmT0_T1_T2_T3_T4_T5_mmT6_P12ihipStream_tbEUlT_E0_NS1_11comp_targetILNS1_3genE10ELNS1_11target_archE1200ELNS1_3gpuE4ELNS1_3repE0EEENS1_30default_config_static_selectorELNS0_4arch9wavefront6targetE1EEEvSP_,@function
_ZN7rocprim17ROCPRIM_400000_NS6detail17trampoline_kernelINS0_14default_configENS1_21merge_config_selectorIiNS0_10empty_typeEEEZNS1_10merge_implIS3_N6thrust23THRUST_200600_302600_NS6detail15normal_iteratorINS9_10device_ptrIKiEEEESF_NSB_INSC_IiEEEEPS5_SI_SI_NS9_7greaterIiEEEE10hipError_tPvRmT0_T1_T2_T3_T4_T5_mmT6_P12ihipStream_tbEUlT_E0_NS1_11comp_targetILNS1_3genE10ELNS1_11target_archE1200ELNS1_3gpuE4ELNS1_3repE0EEENS1_30default_config_static_selectorELNS0_4arch9wavefront6targetE1EEEvSP_: ; @_ZN7rocprim17ROCPRIM_400000_NS6detail17trampoline_kernelINS0_14default_configENS1_21merge_config_selectorIiNS0_10empty_typeEEEZNS1_10merge_implIS3_N6thrust23THRUST_200600_302600_NS6detail15normal_iteratorINS9_10device_ptrIKiEEEESF_NSB_INSC_IiEEEEPS5_SI_SI_NS9_7greaterIiEEEE10hipError_tPvRmT0_T1_T2_T3_T4_T5_mmT6_P12ihipStream_tbEUlT_E0_NS1_11comp_targetILNS1_3genE10ELNS1_11target_archE1200ELNS1_3gpuE4ELNS1_3repE0EEENS1_30default_config_static_selectorELNS0_4arch9wavefront6targetE1EEEvSP_
; %bb.0:
	.section	.rodata,"a",@progbits
	.p2align	6, 0x0
	.amdhsa_kernel _ZN7rocprim17ROCPRIM_400000_NS6detail17trampoline_kernelINS0_14default_configENS1_21merge_config_selectorIiNS0_10empty_typeEEEZNS1_10merge_implIS3_N6thrust23THRUST_200600_302600_NS6detail15normal_iteratorINS9_10device_ptrIKiEEEESF_NSB_INSC_IiEEEEPS5_SI_SI_NS9_7greaterIiEEEE10hipError_tPvRmT0_T1_T2_T3_T4_T5_mmT6_P12ihipStream_tbEUlT_E0_NS1_11comp_targetILNS1_3genE10ELNS1_11target_archE1200ELNS1_3gpuE4ELNS1_3repE0EEENS1_30default_config_static_selectorELNS0_4arch9wavefront6targetE1EEEvSP_
		.amdhsa_group_segment_fixed_size 0
		.amdhsa_private_segment_fixed_size 0
		.amdhsa_kernarg_size 88
		.amdhsa_user_sgpr_count 6
		.amdhsa_user_sgpr_private_segment_buffer 1
		.amdhsa_user_sgpr_dispatch_ptr 0
		.amdhsa_user_sgpr_queue_ptr 0
		.amdhsa_user_sgpr_kernarg_segment_ptr 1
		.amdhsa_user_sgpr_dispatch_id 0
		.amdhsa_user_sgpr_flat_scratch_init 0
		.amdhsa_user_sgpr_kernarg_preload_length 0
		.amdhsa_user_sgpr_kernarg_preload_offset 0
		.amdhsa_user_sgpr_private_segment_size 0
		.amdhsa_uses_dynamic_stack 0
		.amdhsa_system_sgpr_private_segment_wavefront_offset 0
		.amdhsa_system_sgpr_workgroup_id_x 1
		.amdhsa_system_sgpr_workgroup_id_y 0
		.amdhsa_system_sgpr_workgroup_id_z 0
		.amdhsa_system_sgpr_workgroup_info 0
		.amdhsa_system_vgpr_workitem_id 0
		.amdhsa_next_free_vgpr 1
		.amdhsa_next_free_sgpr 0
		.amdhsa_accum_offset 4
		.amdhsa_reserve_vcc 0
		.amdhsa_reserve_flat_scratch 0
		.amdhsa_float_round_mode_32 0
		.amdhsa_float_round_mode_16_64 0
		.amdhsa_float_denorm_mode_32 3
		.amdhsa_float_denorm_mode_16_64 3
		.amdhsa_dx10_clamp 1
		.amdhsa_ieee_mode 1
		.amdhsa_fp16_overflow 0
		.amdhsa_tg_split 0
		.amdhsa_exception_fp_ieee_invalid_op 0
		.amdhsa_exception_fp_denorm_src 0
		.amdhsa_exception_fp_ieee_div_zero 0
		.amdhsa_exception_fp_ieee_overflow 0
		.amdhsa_exception_fp_ieee_underflow 0
		.amdhsa_exception_fp_ieee_inexact 0
		.amdhsa_exception_int_div_zero 0
	.end_amdhsa_kernel
	.section	.text._ZN7rocprim17ROCPRIM_400000_NS6detail17trampoline_kernelINS0_14default_configENS1_21merge_config_selectorIiNS0_10empty_typeEEEZNS1_10merge_implIS3_N6thrust23THRUST_200600_302600_NS6detail15normal_iteratorINS9_10device_ptrIKiEEEESF_NSB_INSC_IiEEEEPS5_SI_SI_NS9_7greaterIiEEEE10hipError_tPvRmT0_T1_T2_T3_T4_T5_mmT6_P12ihipStream_tbEUlT_E0_NS1_11comp_targetILNS1_3genE10ELNS1_11target_archE1200ELNS1_3gpuE4ELNS1_3repE0EEENS1_30default_config_static_selectorELNS0_4arch9wavefront6targetE1EEEvSP_,"axG",@progbits,_ZN7rocprim17ROCPRIM_400000_NS6detail17trampoline_kernelINS0_14default_configENS1_21merge_config_selectorIiNS0_10empty_typeEEEZNS1_10merge_implIS3_N6thrust23THRUST_200600_302600_NS6detail15normal_iteratorINS9_10device_ptrIKiEEEESF_NSB_INSC_IiEEEEPS5_SI_SI_NS9_7greaterIiEEEE10hipError_tPvRmT0_T1_T2_T3_T4_T5_mmT6_P12ihipStream_tbEUlT_E0_NS1_11comp_targetILNS1_3genE10ELNS1_11target_archE1200ELNS1_3gpuE4ELNS1_3repE0EEENS1_30default_config_static_selectorELNS0_4arch9wavefront6targetE1EEEvSP_,comdat
.Lfunc_end584:
	.size	_ZN7rocprim17ROCPRIM_400000_NS6detail17trampoline_kernelINS0_14default_configENS1_21merge_config_selectorIiNS0_10empty_typeEEEZNS1_10merge_implIS3_N6thrust23THRUST_200600_302600_NS6detail15normal_iteratorINS9_10device_ptrIKiEEEESF_NSB_INSC_IiEEEEPS5_SI_SI_NS9_7greaterIiEEEE10hipError_tPvRmT0_T1_T2_T3_T4_T5_mmT6_P12ihipStream_tbEUlT_E0_NS1_11comp_targetILNS1_3genE10ELNS1_11target_archE1200ELNS1_3gpuE4ELNS1_3repE0EEENS1_30default_config_static_selectorELNS0_4arch9wavefront6targetE1EEEvSP_, .Lfunc_end584-_ZN7rocprim17ROCPRIM_400000_NS6detail17trampoline_kernelINS0_14default_configENS1_21merge_config_selectorIiNS0_10empty_typeEEEZNS1_10merge_implIS3_N6thrust23THRUST_200600_302600_NS6detail15normal_iteratorINS9_10device_ptrIKiEEEESF_NSB_INSC_IiEEEEPS5_SI_SI_NS9_7greaterIiEEEE10hipError_tPvRmT0_T1_T2_T3_T4_T5_mmT6_P12ihipStream_tbEUlT_E0_NS1_11comp_targetILNS1_3genE10ELNS1_11target_archE1200ELNS1_3gpuE4ELNS1_3repE0EEENS1_30default_config_static_selectorELNS0_4arch9wavefront6targetE1EEEvSP_
                                        ; -- End function
	.section	.AMDGPU.csdata,"",@progbits
; Kernel info:
; codeLenInByte = 0
; NumSgprs: 4
; NumVgprs: 0
; NumAgprs: 0
; TotalNumVgprs: 0
; ScratchSize: 0
; MemoryBound: 0
; FloatMode: 240
; IeeeMode: 1
; LDSByteSize: 0 bytes/workgroup (compile time only)
; SGPRBlocks: 0
; VGPRBlocks: 0
; NumSGPRsForWavesPerEU: 4
; NumVGPRsForWavesPerEU: 1
; AccumOffset: 4
; Occupancy: 8
; WaveLimiterHint : 0
; COMPUTE_PGM_RSRC2:SCRATCH_EN: 0
; COMPUTE_PGM_RSRC2:USER_SGPR: 6
; COMPUTE_PGM_RSRC2:TRAP_HANDLER: 0
; COMPUTE_PGM_RSRC2:TGID_X_EN: 1
; COMPUTE_PGM_RSRC2:TGID_Y_EN: 0
; COMPUTE_PGM_RSRC2:TGID_Z_EN: 0
; COMPUTE_PGM_RSRC2:TIDIG_COMP_CNT: 0
; COMPUTE_PGM_RSRC3_GFX90A:ACCUM_OFFSET: 0
; COMPUTE_PGM_RSRC3_GFX90A:TG_SPLIT: 0
	.section	.text._ZN7rocprim17ROCPRIM_400000_NS6detail17trampoline_kernelINS0_14default_configENS1_21merge_config_selectorIiNS0_10empty_typeEEEZNS1_10merge_implIS3_N6thrust23THRUST_200600_302600_NS6detail15normal_iteratorINS9_10device_ptrIKiEEEESF_NSB_INSC_IiEEEEPS5_SI_SI_NS9_7greaterIiEEEE10hipError_tPvRmT0_T1_T2_T3_T4_T5_mmT6_P12ihipStream_tbEUlT_E0_NS1_11comp_targetILNS1_3genE9ELNS1_11target_archE1100ELNS1_3gpuE3ELNS1_3repE0EEENS1_30default_config_static_selectorELNS0_4arch9wavefront6targetE1EEEvSP_,"axG",@progbits,_ZN7rocprim17ROCPRIM_400000_NS6detail17trampoline_kernelINS0_14default_configENS1_21merge_config_selectorIiNS0_10empty_typeEEEZNS1_10merge_implIS3_N6thrust23THRUST_200600_302600_NS6detail15normal_iteratorINS9_10device_ptrIKiEEEESF_NSB_INSC_IiEEEEPS5_SI_SI_NS9_7greaterIiEEEE10hipError_tPvRmT0_T1_T2_T3_T4_T5_mmT6_P12ihipStream_tbEUlT_E0_NS1_11comp_targetILNS1_3genE9ELNS1_11target_archE1100ELNS1_3gpuE3ELNS1_3repE0EEENS1_30default_config_static_selectorELNS0_4arch9wavefront6targetE1EEEvSP_,comdat
	.protected	_ZN7rocprim17ROCPRIM_400000_NS6detail17trampoline_kernelINS0_14default_configENS1_21merge_config_selectorIiNS0_10empty_typeEEEZNS1_10merge_implIS3_N6thrust23THRUST_200600_302600_NS6detail15normal_iteratorINS9_10device_ptrIKiEEEESF_NSB_INSC_IiEEEEPS5_SI_SI_NS9_7greaterIiEEEE10hipError_tPvRmT0_T1_T2_T3_T4_T5_mmT6_P12ihipStream_tbEUlT_E0_NS1_11comp_targetILNS1_3genE9ELNS1_11target_archE1100ELNS1_3gpuE3ELNS1_3repE0EEENS1_30default_config_static_selectorELNS0_4arch9wavefront6targetE1EEEvSP_ ; -- Begin function _ZN7rocprim17ROCPRIM_400000_NS6detail17trampoline_kernelINS0_14default_configENS1_21merge_config_selectorIiNS0_10empty_typeEEEZNS1_10merge_implIS3_N6thrust23THRUST_200600_302600_NS6detail15normal_iteratorINS9_10device_ptrIKiEEEESF_NSB_INSC_IiEEEEPS5_SI_SI_NS9_7greaterIiEEEE10hipError_tPvRmT0_T1_T2_T3_T4_T5_mmT6_P12ihipStream_tbEUlT_E0_NS1_11comp_targetILNS1_3genE9ELNS1_11target_archE1100ELNS1_3gpuE3ELNS1_3repE0EEENS1_30default_config_static_selectorELNS0_4arch9wavefront6targetE1EEEvSP_
	.globl	_ZN7rocprim17ROCPRIM_400000_NS6detail17trampoline_kernelINS0_14default_configENS1_21merge_config_selectorIiNS0_10empty_typeEEEZNS1_10merge_implIS3_N6thrust23THRUST_200600_302600_NS6detail15normal_iteratorINS9_10device_ptrIKiEEEESF_NSB_INSC_IiEEEEPS5_SI_SI_NS9_7greaterIiEEEE10hipError_tPvRmT0_T1_T2_T3_T4_T5_mmT6_P12ihipStream_tbEUlT_E0_NS1_11comp_targetILNS1_3genE9ELNS1_11target_archE1100ELNS1_3gpuE3ELNS1_3repE0EEENS1_30default_config_static_selectorELNS0_4arch9wavefront6targetE1EEEvSP_
	.p2align	8
	.type	_ZN7rocprim17ROCPRIM_400000_NS6detail17trampoline_kernelINS0_14default_configENS1_21merge_config_selectorIiNS0_10empty_typeEEEZNS1_10merge_implIS3_N6thrust23THRUST_200600_302600_NS6detail15normal_iteratorINS9_10device_ptrIKiEEEESF_NSB_INSC_IiEEEEPS5_SI_SI_NS9_7greaterIiEEEE10hipError_tPvRmT0_T1_T2_T3_T4_T5_mmT6_P12ihipStream_tbEUlT_E0_NS1_11comp_targetILNS1_3genE9ELNS1_11target_archE1100ELNS1_3gpuE3ELNS1_3repE0EEENS1_30default_config_static_selectorELNS0_4arch9wavefront6targetE1EEEvSP_,@function
_ZN7rocprim17ROCPRIM_400000_NS6detail17trampoline_kernelINS0_14default_configENS1_21merge_config_selectorIiNS0_10empty_typeEEEZNS1_10merge_implIS3_N6thrust23THRUST_200600_302600_NS6detail15normal_iteratorINS9_10device_ptrIKiEEEESF_NSB_INSC_IiEEEEPS5_SI_SI_NS9_7greaterIiEEEE10hipError_tPvRmT0_T1_T2_T3_T4_T5_mmT6_P12ihipStream_tbEUlT_E0_NS1_11comp_targetILNS1_3genE9ELNS1_11target_archE1100ELNS1_3gpuE3ELNS1_3repE0EEENS1_30default_config_static_selectorELNS0_4arch9wavefront6targetE1EEEvSP_: ; @_ZN7rocprim17ROCPRIM_400000_NS6detail17trampoline_kernelINS0_14default_configENS1_21merge_config_selectorIiNS0_10empty_typeEEEZNS1_10merge_implIS3_N6thrust23THRUST_200600_302600_NS6detail15normal_iteratorINS9_10device_ptrIKiEEEESF_NSB_INSC_IiEEEEPS5_SI_SI_NS9_7greaterIiEEEE10hipError_tPvRmT0_T1_T2_T3_T4_T5_mmT6_P12ihipStream_tbEUlT_E0_NS1_11comp_targetILNS1_3genE9ELNS1_11target_archE1100ELNS1_3gpuE3ELNS1_3repE0EEENS1_30default_config_static_selectorELNS0_4arch9wavefront6targetE1EEEvSP_
; %bb.0:
	.section	.rodata,"a",@progbits
	.p2align	6, 0x0
	.amdhsa_kernel _ZN7rocprim17ROCPRIM_400000_NS6detail17trampoline_kernelINS0_14default_configENS1_21merge_config_selectorIiNS0_10empty_typeEEEZNS1_10merge_implIS3_N6thrust23THRUST_200600_302600_NS6detail15normal_iteratorINS9_10device_ptrIKiEEEESF_NSB_INSC_IiEEEEPS5_SI_SI_NS9_7greaterIiEEEE10hipError_tPvRmT0_T1_T2_T3_T4_T5_mmT6_P12ihipStream_tbEUlT_E0_NS1_11comp_targetILNS1_3genE9ELNS1_11target_archE1100ELNS1_3gpuE3ELNS1_3repE0EEENS1_30default_config_static_selectorELNS0_4arch9wavefront6targetE1EEEvSP_
		.amdhsa_group_segment_fixed_size 0
		.amdhsa_private_segment_fixed_size 0
		.amdhsa_kernarg_size 88
		.amdhsa_user_sgpr_count 6
		.amdhsa_user_sgpr_private_segment_buffer 1
		.amdhsa_user_sgpr_dispatch_ptr 0
		.amdhsa_user_sgpr_queue_ptr 0
		.amdhsa_user_sgpr_kernarg_segment_ptr 1
		.amdhsa_user_sgpr_dispatch_id 0
		.amdhsa_user_sgpr_flat_scratch_init 0
		.amdhsa_user_sgpr_kernarg_preload_length 0
		.amdhsa_user_sgpr_kernarg_preload_offset 0
		.amdhsa_user_sgpr_private_segment_size 0
		.amdhsa_uses_dynamic_stack 0
		.amdhsa_system_sgpr_private_segment_wavefront_offset 0
		.amdhsa_system_sgpr_workgroup_id_x 1
		.amdhsa_system_sgpr_workgroup_id_y 0
		.amdhsa_system_sgpr_workgroup_id_z 0
		.amdhsa_system_sgpr_workgroup_info 0
		.amdhsa_system_vgpr_workitem_id 0
		.amdhsa_next_free_vgpr 1
		.amdhsa_next_free_sgpr 0
		.amdhsa_accum_offset 4
		.amdhsa_reserve_vcc 0
		.amdhsa_reserve_flat_scratch 0
		.amdhsa_float_round_mode_32 0
		.amdhsa_float_round_mode_16_64 0
		.amdhsa_float_denorm_mode_32 3
		.amdhsa_float_denorm_mode_16_64 3
		.amdhsa_dx10_clamp 1
		.amdhsa_ieee_mode 1
		.amdhsa_fp16_overflow 0
		.amdhsa_tg_split 0
		.amdhsa_exception_fp_ieee_invalid_op 0
		.amdhsa_exception_fp_denorm_src 0
		.amdhsa_exception_fp_ieee_div_zero 0
		.amdhsa_exception_fp_ieee_overflow 0
		.amdhsa_exception_fp_ieee_underflow 0
		.amdhsa_exception_fp_ieee_inexact 0
		.amdhsa_exception_int_div_zero 0
	.end_amdhsa_kernel
	.section	.text._ZN7rocprim17ROCPRIM_400000_NS6detail17trampoline_kernelINS0_14default_configENS1_21merge_config_selectorIiNS0_10empty_typeEEEZNS1_10merge_implIS3_N6thrust23THRUST_200600_302600_NS6detail15normal_iteratorINS9_10device_ptrIKiEEEESF_NSB_INSC_IiEEEEPS5_SI_SI_NS9_7greaterIiEEEE10hipError_tPvRmT0_T1_T2_T3_T4_T5_mmT6_P12ihipStream_tbEUlT_E0_NS1_11comp_targetILNS1_3genE9ELNS1_11target_archE1100ELNS1_3gpuE3ELNS1_3repE0EEENS1_30default_config_static_selectorELNS0_4arch9wavefront6targetE1EEEvSP_,"axG",@progbits,_ZN7rocprim17ROCPRIM_400000_NS6detail17trampoline_kernelINS0_14default_configENS1_21merge_config_selectorIiNS0_10empty_typeEEEZNS1_10merge_implIS3_N6thrust23THRUST_200600_302600_NS6detail15normal_iteratorINS9_10device_ptrIKiEEEESF_NSB_INSC_IiEEEEPS5_SI_SI_NS9_7greaterIiEEEE10hipError_tPvRmT0_T1_T2_T3_T4_T5_mmT6_P12ihipStream_tbEUlT_E0_NS1_11comp_targetILNS1_3genE9ELNS1_11target_archE1100ELNS1_3gpuE3ELNS1_3repE0EEENS1_30default_config_static_selectorELNS0_4arch9wavefront6targetE1EEEvSP_,comdat
.Lfunc_end585:
	.size	_ZN7rocprim17ROCPRIM_400000_NS6detail17trampoline_kernelINS0_14default_configENS1_21merge_config_selectorIiNS0_10empty_typeEEEZNS1_10merge_implIS3_N6thrust23THRUST_200600_302600_NS6detail15normal_iteratorINS9_10device_ptrIKiEEEESF_NSB_INSC_IiEEEEPS5_SI_SI_NS9_7greaterIiEEEE10hipError_tPvRmT0_T1_T2_T3_T4_T5_mmT6_P12ihipStream_tbEUlT_E0_NS1_11comp_targetILNS1_3genE9ELNS1_11target_archE1100ELNS1_3gpuE3ELNS1_3repE0EEENS1_30default_config_static_selectorELNS0_4arch9wavefront6targetE1EEEvSP_, .Lfunc_end585-_ZN7rocprim17ROCPRIM_400000_NS6detail17trampoline_kernelINS0_14default_configENS1_21merge_config_selectorIiNS0_10empty_typeEEEZNS1_10merge_implIS3_N6thrust23THRUST_200600_302600_NS6detail15normal_iteratorINS9_10device_ptrIKiEEEESF_NSB_INSC_IiEEEEPS5_SI_SI_NS9_7greaterIiEEEE10hipError_tPvRmT0_T1_T2_T3_T4_T5_mmT6_P12ihipStream_tbEUlT_E0_NS1_11comp_targetILNS1_3genE9ELNS1_11target_archE1100ELNS1_3gpuE3ELNS1_3repE0EEENS1_30default_config_static_selectorELNS0_4arch9wavefront6targetE1EEEvSP_
                                        ; -- End function
	.section	.AMDGPU.csdata,"",@progbits
; Kernel info:
; codeLenInByte = 0
; NumSgprs: 4
; NumVgprs: 0
; NumAgprs: 0
; TotalNumVgprs: 0
; ScratchSize: 0
; MemoryBound: 0
; FloatMode: 240
; IeeeMode: 1
; LDSByteSize: 0 bytes/workgroup (compile time only)
; SGPRBlocks: 0
; VGPRBlocks: 0
; NumSGPRsForWavesPerEU: 4
; NumVGPRsForWavesPerEU: 1
; AccumOffset: 4
; Occupancy: 8
; WaveLimiterHint : 0
; COMPUTE_PGM_RSRC2:SCRATCH_EN: 0
; COMPUTE_PGM_RSRC2:USER_SGPR: 6
; COMPUTE_PGM_RSRC2:TRAP_HANDLER: 0
; COMPUTE_PGM_RSRC2:TGID_X_EN: 1
; COMPUTE_PGM_RSRC2:TGID_Y_EN: 0
; COMPUTE_PGM_RSRC2:TGID_Z_EN: 0
; COMPUTE_PGM_RSRC2:TIDIG_COMP_CNT: 0
; COMPUTE_PGM_RSRC3_GFX90A:ACCUM_OFFSET: 0
; COMPUTE_PGM_RSRC3_GFX90A:TG_SPLIT: 0
	.section	.text._ZN7rocprim17ROCPRIM_400000_NS6detail17trampoline_kernelINS0_14default_configENS1_21merge_config_selectorIiNS0_10empty_typeEEEZNS1_10merge_implIS3_N6thrust23THRUST_200600_302600_NS6detail15normal_iteratorINS9_10device_ptrIKiEEEESF_NSB_INSC_IiEEEEPS5_SI_SI_NS9_7greaterIiEEEE10hipError_tPvRmT0_T1_T2_T3_T4_T5_mmT6_P12ihipStream_tbEUlT_E0_NS1_11comp_targetILNS1_3genE8ELNS1_11target_archE1030ELNS1_3gpuE2ELNS1_3repE0EEENS1_30default_config_static_selectorELNS0_4arch9wavefront6targetE1EEEvSP_,"axG",@progbits,_ZN7rocprim17ROCPRIM_400000_NS6detail17trampoline_kernelINS0_14default_configENS1_21merge_config_selectorIiNS0_10empty_typeEEEZNS1_10merge_implIS3_N6thrust23THRUST_200600_302600_NS6detail15normal_iteratorINS9_10device_ptrIKiEEEESF_NSB_INSC_IiEEEEPS5_SI_SI_NS9_7greaterIiEEEE10hipError_tPvRmT0_T1_T2_T3_T4_T5_mmT6_P12ihipStream_tbEUlT_E0_NS1_11comp_targetILNS1_3genE8ELNS1_11target_archE1030ELNS1_3gpuE2ELNS1_3repE0EEENS1_30default_config_static_selectorELNS0_4arch9wavefront6targetE1EEEvSP_,comdat
	.protected	_ZN7rocprim17ROCPRIM_400000_NS6detail17trampoline_kernelINS0_14default_configENS1_21merge_config_selectorIiNS0_10empty_typeEEEZNS1_10merge_implIS3_N6thrust23THRUST_200600_302600_NS6detail15normal_iteratorINS9_10device_ptrIKiEEEESF_NSB_INSC_IiEEEEPS5_SI_SI_NS9_7greaterIiEEEE10hipError_tPvRmT0_T1_T2_T3_T4_T5_mmT6_P12ihipStream_tbEUlT_E0_NS1_11comp_targetILNS1_3genE8ELNS1_11target_archE1030ELNS1_3gpuE2ELNS1_3repE0EEENS1_30default_config_static_selectorELNS0_4arch9wavefront6targetE1EEEvSP_ ; -- Begin function _ZN7rocprim17ROCPRIM_400000_NS6detail17trampoline_kernelINS0_14default_configENS1_21merge_config_selectorIiNS0_10empty_typeEEEZNS1_10merge_implIS3_N6thrust23THRUST_200600_302600_NS6detail15normal_iteratorINS9_10device_ptrIKiEEEESF_NSB_INSC_IiEEEEPS5_SI_SI_NS9_7greaterIiEEEE10hipError_tPvRmT0_T1_T2_T3_T4_T5_mmT6_P12ihipStream_tbEUlT_E0_NS1_11comp_targetILNS1_3genE8ELNS1_11target_archE1030ELNS1_3gpuE2ELNS1_3repE0EEENS1_30default_config_static_selectorELNS0_4arch9wavefront6targetE1EEEvSP_
	.globl	_ZN7rocprim17ROCPRIM_400000_NS6detail17trampoline_kernelINS0_14default_configENS1_21merge_config_selectorIiNS0_10empty_typeEEEZNS1_10merge_implIS3_N6thrust23THRUST_200600_302600_NS6detail15normal_iteratorINS9_10device_ptrIKiEEEESF_NSB_INSC_IiEEEEPS5_SI_SI_NS9_7greaterIiEEEE10hipError_tPvRmT0_T1_T2_T3_T4_T5_mmT6_P12ihipStream_tbEUlT_E0_NS1_11comp_targetILNS1_3genE8ELNS1_11target_archE1030ELNS1_3gpuE2ELNS1_3repE0EEENS1_30default_config_static_selectorELNS0_4arch9wavefront6targetE1EEEvSP_
	.p2align	8
	.type	_ZN7rocprim17ROCPRIM_400000_NS6detail17trampoline_kernelINS0_14default_configENS1_21merge_config_selectorIiNS0_10empty_typeEEEZNS1_10merge_implIS3_N6thrust23THRUST_200600_302600_NS6detail15normal_iteratorINS9_10device_ptrIKiEEEESF_NSB_INSC_IiEEEEPS5_SI_SI_NS9_7greaterIiEEEE10hipError_tPvRmT0_T1_T2_T3_T4_T5_mmT6_P12ihipStream_tbEUlT_E0_NS1_11comp_targetILNS1_3genE8ELNS1_11target_archE1030ELNS1_3gpuE2ELNS1_3repE0EEENS1_30default_config_static_selectorELNS0_4arch9wavefront6targetE1EEEvSP_,@function
_ZN7rocprim17ROCPRIM_400000_NS6detail17trampoline_kernelINS0_14default_configENS1_21merge_config_selectorIiNS0_10empty_typeEEEZNS1_10merge_implIS3_N6thrust23THRUST_200600_302600_NS6detail15normal_iteratorINS9_10device_ptrIKiEEEESF_NSB_INSC_IiEEEEPS5_SI_SI_NS9_7greaterIiEEEE10hipError_tPvRmT0_T1_T2_T3_T4_T5_mmT6_P12ihipStream_tbEUlT_E0_NS1_11comp_targetILNS1_3genE8ELNS1_11target_archE1030ELNS1_3gpuE2ELNS1_3repE0EEENS1_30default_config_static_selectorELNS0_4arch9wavefront6targetE1EEEvSP_: ; @_ZN7rocprim17ROCPRIM_400000_NS6detail17trampoline_kernelINS0_14default_configENS1_21merge_config_selectorIiNS0_10empty_typeEEEZNS1_10merge_implIS3_N6thrust23THRUST_200600_302600_NS6detail15normal_iteratorINS9_10device_ptrIKiEEEESF_NSB_INSC_IiEEEEPS5_SI_SI_NS9_7greaterIiEEEE10hipError_tPvRmT0_T1_T2_T3_T4_T5_mmT6_P12ihipStream_tbEUlT_E0_NS1_11comp_targetILNS1_3genE8ELNS1_11target_archE1030ELNS1_3gpuE2ELNS1_3repE0EEENS1_30default_config_static_selectorELNS0_4arch9wavefront6targetE1EEEvSP_
; %bb.0:
	.section	.rodata,"a",@progbits
	.p2align	6, 0x0
	.amdhsa_kernel _ZN7rocprim17ROCPRIM_400000_NS6detail17trampoline_kernelINS0_14default_configENS1_21merge_config_selectorIiNS0_10empty_typeEEEZNS1_10merge_implIS3_N6thrust23THRUST_200600_302600_NS6detail15normal_iteratorINS9_10device_ptrIKiEEEESF_NSB_INSC_IiEEEEPS5_SI_SI_NS9_7greaterIiEEEE10hipError_tPvRmT0_T1_T2_T3_T4_T5_mmT6_P12ihipStream_tbEUlT_E0_NS1_11comp_targetILNS1_3genE8ELNS1_11target_archE1030ELNS1_3gpuE2ELNS1_3repE0EEENS1_30default_config_static_selectorELNS0_4arch9wavefront6targetE1EEEvSP_
		.amdhsa_group_segment_fixed_size 0
		.amdhsa_private_segment_fixed_size 0
		.amdhsa_kernarg_size 88
		.amdhsa_user_sgpr_count 6
		.amdhsa_user_sgpr_private_segment_buffer 1
		.amdhsa_user_sgpr_dispatch_ptr 0
		.amdhsa_user_sgpr_queue_ptr 0
		.amdhsa_user_sgpr_kernarg_segment_ptr 1
		.amdhsa_user_sgpr_dispatch_id 0
		.amdhsa_user_sgpr_flat_scratch_init 0
		.amdhsa_user_sgpr_kernarg_preload_length 0
		.amdhsa_user_sgpr_kernarg_preload_offset 0
		.amdhsa_user_sgpr_private_segment_size 0
		.amdhsa_uses_dynamic_stack 0
		.amdhsa_system_sgpr_private_segment_wavefront_offset 0
		.amdhsa_system_sgpr_workgroup_id_x 1
		.amdhsa_system_sgpr_workgroup_id_y 0
		.amdhsa_system_sgpr_workgroup_id_z 0
		.amdhsa_system_sgpr_workgroup_info 0
		.amdhsa_system_vgpr_workitem_id 0
		.amdhsa_next_free_vgpr 1
		.amdhsa_next_free_sgpr 0
		.amdhsa_accum_offset 4
		.amdhsa_reserve_vcc 0
		.amdhsa_reserve_flat_scratch 0
		.amdhsa_float_round_mode_32 0
		.amdhsa_float_round_mode_16_64 0
		.amdhsa_float_denorm_mode_32 3
		.amdhsa_float_denorm_mode_16_64 3
		.amdhsa_dx10_clamp 1
		.amdhsa_ieee_mode 1
		.amdhsa_fp16_overflow 0
		.amdhsa_tg_split 0
		.amdhsa_exception_fp_ieee_invalid_op 0
		.amdhsa_exception_fp_denorm_src 0
		.amdhsa_exception_fp_ieee_div_zero 0
		.amdhsa_exception_fp_ieee_overflow 0
		.amdhsa_exception_fp_ieee_underflow 0
		.amdhsa_exception_fp_ieee_inexact 0
		.amdhsa_exception_int_div_zero 0
	.end_amdhsa_kernel
	.section	.text._ZN7rocprim17ROCPRIM_400000_NS6detail17trampoline_kernelINS0_14default_configENS1_21merge_config_selectorIiNS0_10empty_typeEEEZNS1_10merge_implIS3_N6thrust23THRUST_200600_302600_NS6detail15normal_iteratorINS9_10device_ptrIKiEEEESF_NSB_INSC_IiEEEEPS5_SI_SI_NS9_7greaterIiEEEE10hipError_tPvRmT0_T1_T2_T3_T4_T5_mmT6_P12ihipStream_tbEUlT_E0_NS1_11comp_targetILNS1_3genE8ELNS1_11target_archE1030ELNS1_3gpuE2ELNS1_3repE0EEENS1_30default_config_static_selectorELNS0_4arch9wavefront6targetE1EEEvSP_,"axG",@progbits,_ZN7rocprim17ROCPRIM_400000_NS6detail17trampoline_kernelINS0_14default_configENS1_21merge_config_selectorIiNS0_10empty_typeEEEZNS1_10merge_implIS3_N6thrust23THRUST_200600_302600_NS6detail15normal_iteratorINS9_10device_ptrIKiEEEESF_NSB_INSC_IiEEEEPS5_SI_SI_NS9_7greaterIiEEEE10hipError_tPvRmT0_T1_T2_T3_T4_T5_mmT6_P12ihipStream_tbEUlT_E0_NS1_11comp_targetILNS1_3genE8ELNS1_11target_archE1030ELNS1_3gpuE2ELNS1_3repE0EEENS1_30default_config_static_selectorELNS0_4arch9wavefront6targetE1EEEvSP_,comdat
.Lfunc_end586:
	.size	_ZN7rocprim17ROCPRIM_400000_NS6detail17trampoline_kernelINS0_14default_configENS1_21merge_config_selectorIiNS0_10empty_typeEEEZNS1_10merge_implIS3_N6thrust23THRUST_200600_302600_NS6detail15normal_iteratorINS9_10device_ptrIKiEEEESF_NSB_INSC_IiEEEEPS5_SI_SI_NS9_7greaterIiEEEE10hipError_tPvRmT0_T1_T2_T3_T4_T5_mmT6_P12ihipStream_tbEUlT_E0_NS1_11comp_targetILNS1_3genE8ELNS1_11target_archE1030ELNS1_3gpuE2ELNS1_3repE0EEENS1_30default_config_static_selectorELNS0_4arch9wavefront6targetE1EEEvSP_, .Lfunc_end586-_ZN7rocprim17ROCPRIM_400000_NS6detail17trampoline_kernelINS0_14default_configENS1_21merge_config_selectorIiNS0_10empty_typeEEEZNS1_10merge_implIS3_N6thrust23THRUST_200600_302600_NS6detail15normal_iteratorINS9_10device_ptrIKiEEEESF_NSB_INSC_IiEEEEPS5_SI_SI_NS9_7greaterIiEEEE10hipError_tPvRmT0_T1_T2_T3_T4_T5_mmT6_P12ihipStream_tbEUlT_E0_NS1_11comp_targetILNS1_3genE8ELNS1_11target_archE1030ELNS1_3gpuE2ELNS1_3repE0EEENS1_30default_config_static_selectorELNS0_4arch9wavefront6targetE1EEEvSP_
                                        ; -- End function
	.section	.AMDGPU.csdata,"",@progbits
; Kernel info:
; codeLenInByte = 0
; NumSgprs: 4
; NumVgprs: 0
; NumAgprs: 0
; TotalNumVgprs: 0
; ScratchSize: 0
; MemoryBound: 0
; FloatMode: 240
; IeeeMode: 1
; LDSByteSize: 0 bytes/workgroup (compile time only)
; SGPRBlocks: 0
; VGPRBlocks: 0
; NumSGPRsForWavesPerEU: 4
; NumVGPRsForWavesPerEU: 1
; AccumOffset: 4
; Occupancy: 8
; WaveLimiterHint : 0
; COMPUTE_PGM_RSRC2:SCRATCH_EN: 0
; COMPUTE_PGM_RSRC2:USER_SGPR: 6
; COMPUTE_PGM_RSRC2:TRAP_HANDLER: 0
; COMPUTE_PGM_RSRC2:TGID_X_EN: 1
; COMPUTE_PGM_RSRC2:TGID_Y_EN: 0
; COMPUTE_PGM_RSRC2:TGID_Z_EN: 0
; COMPUTE_PGM_RSRC2:TIDIG_COMP_CNT: 0
; COMPUTE_PGM_RSRC3_GFX90A:ACCUM_OFFSET: 0
; COMPUTE_PGM_RSRC3_GFX90A:TG_SPLIT: 0
	.section	.text._ZN7rocprim17ROCPRIM_400000_NS6detail17trampoline_kernelINS0_14default_configENS1_21merge_config_selectorIsNS0_10empty_typeEEEZNS1_10merge_implIS3_N6thrust23THRUST_200600_302600_NS6detail15normal_iteratorINS9_10device_ptrIKsEEEESF_NSB_INSC_IsEEEEPS5_SI_SI_NS9_7greaterIsEEEE10hipError_tPvRmT0_T1_T2_T3_T4_T5_mmT6_P12ihipStream_tbEUlT_E_NS1_11comp_targetILNS1_3genE0ELNS1_11target_archE4294967295ELNS1_3gpuE0ELNS1_3repE0EEENS1_30default_config_static_selectorELNS0_4arch9wavefront6targetE1EEEvSP_,"axG",@progbits,_ZN7rocprim17ROCPRIM_400000_NS6detail17trampoline_kernelINS0_14default_configENS1_21merge_config_selectorIsNS0_10empty_typeEEEZNS1_10merge_implIS3_N6thrust23THRUST_200600_302600_NS6detail15normal_iteratorINS9_10device_ptrIKsEEEESF_NSB_INSC_IsEEEEPS5_SI_SI_NS9_7greaterIsEEEE10hipError_tPvRmT0_T1_T2_T3_T4_T5_mmT6_P12ihipStream_tbEUlT_E_NS1_11comp_targetILNS1_3genE0ELNS1_11target_archE4294967295ELNS1_3gpuE0ELNS1_3repE0EEENS1_30default_config_static_selectorELNS0_4arch9wavefront6targetE1EEEvSP_,comdat
	.protected	_ZN7rocprim17ROCPRIM_400000_NS6detail17trampoline_kernelINS0_14default_configENS1_21merge_config_selectorIsNS0_10empty_typeEEEZNS1_10merge_implIS3_N6thrust23THRUST_200600_302600_NS6detail15normal_iteratorINS9_10device_ptrIKsEEEESF_NSB_INSC_IsEEEEPS5_SI_SI_NS9_7greaterIsEEEE10hipError_tPvRmT0_T1_T2_T3_T4_T5_mmT6_P12ihipStream_tbEUlT_E_NS1_11comp_targetILNS1_3genE0ELNS1_11target_archE4294967295ELNS1_3gpuE0ELNS1_3repE0EEENS1_30default_config_static_selectorELNS0_4arch9wavefront6targetE1EEEvSP_ ; -- Begin function _ZN7rocprim17ROCPRIM_400000_NS6detail17trampoline_kernelINS0_14default_configENS1_21merge_config_selectorIsNS0_10empty_typeEEEZNS1_10merge_implIS3_N6thrust23THRUST_200600_302600_NS6detail15normal_iteratorINS9_10device_ptrIKsEEEESF_NSB_INSC_IsEEEEPS5_SI_SI_NS9_7greaterIsEEEE10hipError_tPvRmT0_T1_T2_T3_T4_T5_mmT6_P12ihipStream_tbEUlT_E_NS1_11comp_targetILNS1_3genE0ELNS1_11target_archE4294967295ELNS1_3gpuE0ELNS1_3repE0EEENS1_30default_config_static_selectorELNS0_4arch9wavefront6targetE1EEEvSP_
	.globl	_ZN7rocprim17ROCPRIM_400000_NS6detail17trampoline_kernelINS0_14default_configENS1_21merge_config_selectorIsNS0_10empty_typeEEEZNS1_10merge_implIS3_N6thrust23THRUST_200600_302600_NS6detail15normal_iteratorINS9_10device_ptrIKsEEEESF_NSB_INSC_IsEEEEPS5_SI_SI_NS9_7greaterIsEEEE10hipError_tPvRmT0_T1_T2_T3_T4_T5_mmT6_P12ihipStream_tbEUlT_E_NS1_11comp_targetILNS1_3genE0ELNS1_11target_archE4294967295ELNS1_3gpuE0ELNS1_3repE0EEENS1_30default_config_static_selectorELNS0_4arch9wavefront6targetE1EEEvSP_
	.p2align	8
	.type	_ZN7rocprim17ROCPRIM_400000_NS6detail17trampoline_kernelINS0_14default_configENS1_21merge_config_selectorIsNS0_10empty_typeEEEZNS1_10merge_implIS3_N6thrust23THRUST_200600_302600_NS6detail15normal_iteratorINS9_10device_ptrIKsEEEESF_NSB_INSC_IsEEEEPS5_SI_SI_NS9_7greaterIsEEEE10hipError_tPvRmT0_T1_T2_T3_T4_T5_mmT6_P12ihipStream_tbEUlT_E_NS1_11comp_targetILNS1_3genE0ELNS1_11target_archE4294967295ELNS1_3gpuE0ELNS1_3repE0EEENS1_30default_config_static_selectorELNS0_4arch9wavefront6targetE1EEEvSP_,@function
_ZN7rocprim17ROCPRIM_400000_NS6detail17trampoline_kernelINS0_14default_configENS1_21merge_config_selectorIsNS0_10empty_typeEEEZNS1_10merge_implIS3_N6thrust23THRUST_200600_302600_NS6detail15normal_iteratorINS9_10device_ptrIKsEEEESF_NSB_INSC_IsEEEEPS5_SI_SI_NS9_7greaterIsEEEE10hipError_tPvRmT0_T1_T2_T3_T4_T5_mmT6_P12ihipStream_tbEUlT_E_NS1_11comp_targetILNS1_3genE0ELNS1_11target_archE4294967295ELNS1_3gpuE0ELNS1_3repE0EEENS1_30default_config_static_selectorELNS0_4arch9wavefront6targetE1EEEvSP_: ; @_ZN7rocprim17ROCPRIM_400000_NS6detail17trampoline_kernelINS0_14default_configENS1_21merge_config_selectorIsNS0_10empty_typeEEEZNS1_10merge_implIS3_N6thrust23THRUST_200600_302600_NS6detail15normal_iteratorINS9_10device_ptrIKsEEEESF_NSB_INSC_IsEEEEPS5_SI_SI_NS9_7greaterIsEEEE10hipError_tPvRmT0_T1_T2_T3_T4_T5_mmT6_P12ihipStream_tbEUlT_E_NS1_11comp_targetILNS1_3genE0ELNS1_11target_archE4294967295ELNS1_3gpuE0ELNS1_3repE0EEENS1_30default_config_static_selectorELNS0_4arch9wavefront6targetE1EEEvSP_
; %bb.0:
	.section	.rodata,"a",@progbits
	.p2align	6, 0x0
	.amdhsa_kernel _ZN7rocprim17ROCPRIM_400000_NS6detail17trampoline_kernelINS0_14default_configENS1_21merge_config_selectorIsNS0_10empty_typeEEEZNS1_10merge_implIS3_N6thrust23THRUST_200600_302600_NS6detail15normal_iteratorINS9_10device_ptrIKsEEEESF_NSB_INSC_IsEEEEPS5_SI_SI_NS9_7greaterIsEEEE10hipError_tPvRmT0_T1_T2_T3_T4_T5_mmT6_P12ihipStream_tbEUlT_E_NS1_11comp_targetILNS1_3genE0ELNS1_11target_archE4294967295ELNS1_3gpuE0ELNS1_3repE0EEENS1_30default_config_static_selectorELNS0_4arch9wavefront6targetE1EEEvSP_
		.amdhsa_group_segment_fixed_size 0
		.amdhsa_private_segment_fixed_size 0
		.amdhsa_kernarg_size 48
		.amdhsa_user_sgpr_count 6
		.amdhsa_user_sgpr_private_segment_buffer 1
		.amdhsa_user_sgpr_dispatch_ptr 0
		.amdhsa_user_sgpr_queue_ptr 0
		.amdhsa_user_sgpr_kernarg_segment_ptr 1
		.amdhsa_user_sgpr_dispatch_id 0
		.amdhsa_user_sgpr_flat_scratch_init 0
		.amdhsa_user_sgpr_kernarg_preload_length 0
		.amdhsa_user_sgpr_kernarg_preload_offset 0
		.amdhsa_user_sgpr_private_segment_size 0
		.amdhsa_uses_dynamic_stack 0
		.amdhsa_system_sgpr_private_segment_wavefront_offset 0
		.amdhsa_system_sgpr_workgroup_id_x 1
		.amdhsa_system_sgpr_workgroup_id_y 0
		.amdhsa_system_sgpr_workgroup_id_z 0
		.amdhsa_system_sgpr_workgroup_info 0
		.amdhsa_system_vgpr_workitem_id 0
		.amdhsa_next_free_vgpr 1
		.amdhsa_next_free_sgpr 0
		.amdhsa_accum_offset 4
		.amdhsa_reserve_vcc 0
		.amdhsa_reserve_flat_scratch 0
		.amdhsa_float_round_mode_32 0
		.amdhsa_float_round_mode_16_64 0
		.amdhsa_float_denorm_mode_32 3
		.amdhsa_float_denorm_mode_16_64 3
		.amdhsa_dx10_clamp 1
		.amdhsa_ieee_mode 1
		.amdhsa_fp16_overflow 0
		.amdhsa_tg_split 0
		.amdhsa_exception_fp_ieee_invalid_op 0
		.amdhsa_exception_fp_denorm_src 0
		.amdhsa_exception_fp_ieee_div_zero 0
		.amdhsa_exception_fp_ieee_overflow 0
		.amdhsa_exception_fp_ieee_underflow 0
		.amdhsa_exception_fp_ieee_inexact 0
		.amdhsa_exception_int_div_zero 0
	.end_amdhsa_kernel
	.section	.text._ZN7rocprim17ROCPRIM_400000_NS6detail17trampoline_kernelINS0_14default_configENS1_21merge_config_selectorIsNS0_10empty_typeEEEZNS1_10merge_implIS3_N6thrust23THRUST_200600_302600_NS6detail15normal_iteratorINS9_10device_ptrIKsEEEESF_NSB_INSC_IsEEEEPS5_SI_SI_NS9_7greaterIsEEEE10hipError_tPvRmT0_T1_T2_T3_T4_T5_mmT6_P12ihipStream_tbEUlT_E_NS1_11comp_targetILNS1_3genE0ELNS1_11target_archE4294967295ELNS1_3gpuE0ELNS1_3repE0EEENS1_30default_config_static_selectorELNS0_4arch9wavefront6targetE1EEEvSP_,"axG",@progbits,_ZN7rocprim17ROCPRIM_400000_NS6detail17trampoline_kernelINS0_14default_configENS1_21merge_config_selectorIsNS0_10empty_typeEEEZNS1_10merge_implIS3_N6thrust23THRUST_200600_302600_NS6detail15normal_iteratorINS9_10device_ptrIKsEEEESF_NSB_INSC_IsEEEEPS5_SI_SI_NS9_7greaterIsEEEE10hipError_tPvRmT0_T1_T2_T3_T4_T5_mmT6_P12ihipStream_tbEUlT_E_NS1_11comp_targetILNS1_3genE0ELNS1_11target_archE4294967295ELNS1_3gpuE0ELNS1_3repE0EEENS1_30default_config_static_selectorELNS0_4arch9wavefront6targetE1EEEvSP_,comdat
.Lfunc_end587:
	.size	_ZN7rocprim17ROCPRIM_400000_NS6detail17trampoline_kernelINS0_14default_configENS1_21merge_config_selectorIsNS0_10empty_typeEEEZNS1_10merge_implIS3_N6thrust23THRUST_200600_302600_NS6detail15normal_iteratorINS9_10device_ptrIKsEEEESF_NSB_INSC_IsEEEEPS5_SI_SI_NS9_7greaterIsEEEE10hipError_tPvRmT0_T1_T2_T3_T4_T5_mmT6_P12ihipStream_tbEUlT_E_NS1_11comp_targetILNS1_3genE0ELNS1_11target_archE4294967295ELNS1_3gpuE0ELNS1_3repE0EEENS1_30default_config_static_selectorELNS0_4arch9wavefront6targetE1EEEvSP_, .Lfunc_end587-_ZN7rocprim17ROCPRIM_400000_NS6detail17trampoline_kernelINS0_14default_configENS1_21merge_config_selectorIsNS0_10empty_typeEEEZNS1_10merge_implIS3_N6thrust23THRUST_200600_302600_NS6detail15normal_iteratorINS9_10device_ptrIKsEEEESF_NSB_INSC_IsEEEEPS5_SI_SI_NS9_7greaterIsEEEE10hipError_tPvRmT0_T1_T2_T3_T4_T5_mmT6_P12ihipStream_tbEUlT_E_NS1_11comp_targetILNS1_3genE0ELNS1_11target_archE4294967295ELNS1_3gpuE0ELNS1_3repE0EEENS1_30default_config_static_selectorELNS0_4arch9wavefront6targetE1EEEvSP_
                                        ; -- End function
	.section	.AMDGPU.csdata,"",@progbits
; Kernel info:
; codeLenInByte = 0
; NumSgprs: 4
; NumVgprs: 0
; NumAgprs: 0
; TotalNumVgprs: 0
; ScratchSize: 0
; MemoryBound: 0
; FloatMode: 240
; IeeeMode: 1
; LDSByteSize: 0 bytes/workgroup (compile time only)
; SGPRBlocks: 0
; VGPRBlocks: 0
; NumSGPRsForWavesPerEU: 4
; NumVGPRsForWavesPerEU: 1
; AccumOffset: 4
; Occupancy: 8
; WaveLimiterHint : 0
; COMPUTE_PGM_RSRC2:SCRATCH_EN: 0
; COMPUTE_PGM_RSRC2:USER_SGPR: 6
; COMPUTE_PGM_RSRC2:TRAP_HANDLER: 0
; COMPUTE_PGM_RSRC2:TGID_X_EN: 1
; COMPUTE_PGM_RSRC2:TGID_Y_EN: 0
; COMPUTE_PGM_RSRC2:TGID_Z_EN: 0
; COMPUTE_PGM_RSRC2:TIDIG_COMP_CNT: 0
; COMPUTE_PGM_RSRC3_GFX90A:ACCUM_OFFSET: 0
; COMPUTE_PGM_RSRC3_GFX90A:TG_SPLIT: 0
	.section	.text._ZN7rocprim17ROCPRIM_400000_NS6detail17trampoline_kernelINS0_14default_configENS1_21merge_config_selectorIsNS0_10empty_typeEEEZNS1_10merge_implIS3_N6thrust23THRUST_200600_302600_NS6detail15normal_iteratorINS9_10device_ptrIKsEEEESF_NSB_INSC_IsEEEEPS5_SI_SI_NS9_7greaterIsEEEE10hipError_tPvRmT0_T1_T2_T3_T4_T5_mmT6_P12ihipStream_tbEUlT_E_NS1_11comp_targetILNS1_3genE5ELNS1_11target_archE942ELNS1_3gpuE9ELNS1_3repE0EEENS1_30default_config_static_selectorELNS0_4arch9wavefront6targetE1EEEvSP_,"axG",@progbits,_ZN7rocprim17ROCPRIM_400000_NS6detail17trampoline_kernelINS0_14default_configENS1_21merge_config_selectorIsNS0_10empty_typeEEEZNS1_10merge_implIS3_N6thrust23THRUST_200600_302600_NS6detail15normal_iteratorINS9_10device_ptrIKsEEEESF_NSB_INSC_IsEEEEPS5_SI_SI_NS9_7greaterIsEEEE10hipError_tPvRmT0_T1_T2_T3_T4_T5_mmT6_P12ihipStream_tbEUlT_E_NS1_11comp_targetILNS1_3genE5ELNS1_11target_archE942ELNS1_3gpuE9ELNS1_3repE0EEENS1_30default_config_static_selectorELNS0_4arch9wavefront6targetE1EEEvSP_,comdat
	.protected	_ZN7rocprim17ROCPRIM_400000_NS6detail17trampoline_kernelINS0_14default_configENS1_21merge_config_selectorIsNS0_10empty_typeEEEZNS1_10merge_implIS3_N6thrust23THRUST_200600_302600_NS6detail15normal_iteratorINS9_10device_ptrIKsEEEESF_NSB_INSC_IsEEEEPS5_SI_SI_NS9_7greaterIsEEEE10hipError_tPvRmT0_T1_T2_T3_T4_T5_mmT6_P12ihipStream_tbEUlT_E_NS1_11comp_targetILNS1_3genE5ELNS1_11target_archE942ELNS1_3gpuE9ELNS1_3repE0EEENS1_30default_config_static_selectorELNS0_4arch9wavefront6targetE1EEEvSP_ ; -- Begin function _ZN7rocprim17ROCPRIM_400000_NS6detail17trampoline_kernelINS0_14default_configENS1_21merge_config_selectorIsNS0_10empty_typeEEEZNS1_10merge_implIS3_N6thrust23THRUST_200600_302600_NS6detail15normal_iteratorINS9_10device_ptrIKsEEEESF_NSB_INSC_IsEEEEPS5_SI_SI_NS9_7greaterIsEEEE10hipError_tPvRmT0_T1_T2_T3_T4_T5_mmT6_P12ihipStream_tbEUlT_E_NS1_11comp_targetILNS1_3genE5ELNS1_11target_archE942ELNS1_3gpuE9ELNS1_3repE0EEENS1_30default_config_static_selectorELNS0_4arch9wavefront6targetE1EEEvSP_
	.globl	_ZN7rocprim17ROCPRIM_400000_NS6detail17trampoline_kernelINS0_14default_configENS1_21merge_config_selectorIsNS0_10empty_typeEEEZNS1_10merge_implIS3_N6thrust23THRUST_200600_302600_NS6detail15normal_iteratorINS9_10device_ptrIKsEEEESF_NSB_INSC_IsEEEEPS5_SI_SI_NS9_7greaterIsEEEE10hipError_tPvRmT0_T1_T2_T3_T4_T5_mmT6_P12ihipStream_tbEUlT_E_NS1_11comp_targetILNS1_3genE5ELNS1_11target_archE942ELNS1_3gpuE9ELNS1_3repE0EEENS1_30default_config_static_selectorELNS0_4arch9wavefront6targetE1EEEvSP_
	.p2align	8
	.type	_ZN7rocprim17ROCPRIM_400000_NS6detail17trampoline_kernelINS0_14default_configENS1_21merge_config_selectorIsNS0_10empty_typeEEEZNS1_10merge_implIS3_N6thrust23THRUST_200600_302600_NS6detail15normal_iteratorINS9_10device_ptrIKsEEEESF_NSB_INSC_IsEEEEPS5_SI_SI_NS9_7greaterIsEEEE10hipError_tPvRmT0_T1_T2_T3_T4_T5_mmT6_P12ihipStream_tbEUlT_E_NS1_11comp_targetILNS1_3genE5ELNS1_11target_archE942ELNS1_3gpuE9ELNS1_3repE0EEENS1_30default_config_static_selectorELNS0_4arch9wavefront6targetE1EEEvSP_,@function
_ZN7rocprim17ROCPRIM_400000_NS6detail17trampoline_kernelINS0_14default_configENS1_21merge_config_selectorIsNS0_10empty_typeEEEZNS1_10merge_implIS3_N6thrust23THRUST_200600_302600_NS6detail15normal_iteratorINS9_10device_ptrIKsEEEESF_NSB_INSC_IsEEEEPS5_SI_SI_NS9_7greaterIsEEEE10hipError_tPvRmT0_T1_T2_T3_T4_T5_mmT6_P12ihipStream_tbEUlT_E_NS1_11comp_targetILNS1_3genE5ELNS1_11target_archE942ELNS1_3gpuE9ELNS1_3repE0EEENS1_30default_config_static_selectorELNS0_4arch9wavefront6targetE1EEEvSP_: ; @_ZN7rocprim17ROCPRIM_400000_NS6detail17trampoline_kernelINS0_14default_configENS1_21merge_config_selectorIsNS0_10empty_typeEEEZNS1_10merge_implIS3_N6thrust23THRUST_200600_302600_NS6detail15normal_iteratorINS9_10device_ptrIKsEEEESF_NSB_INSC_IsEEEEPS5_SI_SI_NS9_7greaterIsEEEE10hipError_tPvRmT0_T1_T2_T3_T4_T5_mmT6_P12ihipStream_tbEUlT_E_NS1_11comp_targetILNS1_3genE5ELNS1_11target_archE942ELNS1_3gpuE9ELNS1_3repE0EEENS1_30default_config_static_selectorELNS0_4arch9wavefront6targetE1EEEvSP_
; %bb.0:
	.section	.rodata,"a",@progbits
	.p2align	6, 0x0
	.amdhsa_kernel _ZN7rocprim17ROCPRIM_400000_NS6detail17trampoline_kernelINS0_14default_configENS1_21merge_config_selectorIsNS0_10empty_typeEEEZNS1_10merge_implIS3_N6thrust23THRUST_200600_302600_NS6detail15normal_iteratorINS9_10device_ptrIKsEEEESF_NSB_INSC_IsEEEEPS5_SI_SI_NS9_7greaterIsEEEE10hipError_tPvRmT0_T1_T2_T3_T4_T5_mmT6_P12ihipStream_tbEUlT_E_NS1_11comp_targetILNS1_3genE5ELNS1_11target_archE942ELNS1_3gpuE9ELNS1_3repE0EEENS1_30default_config_static_selectorELNS0_4arch9wavefront6targetE1EEEvSP_
		.amdhsa_group_segment_fixed_size 0
		.amdhsa_private_segment_fixed_size 0
		.amdhsa_kernarg_size 48
		.amdhsa_user_sgpr_count 6
		.amdhsa_user_sgpr_private_segment_buffer 1
		.amdhsa_user_sgpr_dispatch_ptr 0
		.amdhsa_user_sgpr_queue_ptr 0
		.amdhsa_user_sgpr_kernarg_segment_ptr 1
		.amdhsa_user_sgpr_dispatch_id 0
		.amdhsa_user_sgpr_flat_scratch_init 0
		.amdhsa_user_sgpr_kernarg_preload_length 0
		.amdhsa_user_sgpr_kernarg_preload_offset 0
		.amdhsa_user_sgpr_private_segment_size 0
		.amdhsa_uses_dynamic_stack 0
		.amdhsa_system_sgpr_private_segment_wavefront_offset 0
		.amdhsa_system_sgpr_workgroup_id_x 1
		.amdhsa_system_sgpr_workgroup_id_y 0
		.amdhsa_system_sgpr_workgroup_id_z 0
		.amdhsa_system_sgpr_workgroup_info 0
		.amdhsa_system_vgpr_workitem_id 0
		.amdhsa_next_free_vgpr 1
		.amdhsa_next_free_sgpr 0
		.amdhsa_accum_offset 4
		.amdhsa_reserve_vcc 0
		.amdhsa_reserve_flat_scratch 0
		.amdhsa_float_round_mode_32 0
		.amdhsa_float_round_mode_16_64 0
		.amdhsa_float_denorm_mode_32 3
		.amdhsa_float_denorm_mode_16_64 3
		.amdhsa_dx10_clamp 1
		.amdhsa_ieee_mode 1
		.amdhsa_fp16_overflow 0
		.amdhsa_tg_split 0
		.amdhsa_exception_fp_ieee_invalid_op 0
		.amdhsa_exception_fp_denorm_src 0
		.amdhsa_exception_fp_ieee_div_zero 0
		.amdhsa_exception_fp_ieee_overflow 0
		.amdhsa_exception_fp_ieee_underflow 0
		.amdhsa_exception_fp_ieee_inexact 0
		.amdhsa_exception_int_div_zero 0
	.end_amdhsa_kernel
	.section	.text._ZN7rocprim17ROCPRIM_400000_NS6detail17trampoline_kernelINS0_14default_configENS1_21merge_config_selectorIsNS0_10empty_typeEEEZNS1_10merge_implIS3_N6thrust23THRUST_200600_302600_NS6detail15normal_iteratorINS9_10device_ptrIKsEEEESF_NSB_INSC_IsEEEEPS5_SI_SI_NS9_7greaterIsEEEE10hipError_tPvRmT0_T1_T2_T3_T4_T5_mmT6_P12ihipStream_tbEUlT_E_NS1_11comp_targetILNS1_3genE5ELNS1_11target_archE942ELNS1_3gpuE9ELNS1_3repE0EEENS1_30default_config_static_selectorELNS0_4arch9wavefront6targetE1EEEvSP_,"axG",@progbits,_ZN7rocprim17ROCPRIM_400000_NS6detail17trampoline_kernelINS0_14default_configENS1_21merge_config_selectorIsNS0_10empty_typeEEEZNS1_10merge_implIS3_N6thrust23THRUST_200600_302600_NS6detail15normal_iteratorINS9_10device_ptrIKsEEEESF_NSB_INSC_IsEEEEPS5_SI_SI_NS9_7greaterIsEEEE10hipError_tPvRmT0_T1_T2_T3_T4_T5_mmT6_P12ihipStream_tbEUlT_E_NS1_11comp_targetILNS1_3genE5ELNS1_11target_archE942ELNS1_3gpuE9ELNS1_3repE0EEENS1_30default_config_static_selectorELNS0_4arch9wavefront6targetE1EEEvSP_,comdat
.Lfunc_end588:
	.size	_ZN7rocprim17ROCPRIM_400000_NS6detail17trampoline_kernelINS0_14default_configENS1_21merge_config_selectorIsNS0_10empty_typeEEEZNS1_10merge_implIS3_N6thrust23THRUST_200600_302600_NS6detail15normal_iteratorINS9_10device_ptrIKsEEEESF_NSB_INSC_IsEEEEPS5_SI_SI_NS9_7greaterIsEEEE10hipError_tPvRmT0_T1_T2_T3_T4_T5_mmT6_P12ihipStream_tbEUlT_E_NS1_11comp_targetILNS1_3genE5ELNS1_11target_archE942ELNS1_3gpuE9ELNS1_3repE0EEENS1_30default_config_static_selectorELNS0_4arch9wavefront6targetE1EEEvSP_, .Lfunc_end588-_ZN7rocprim17ROCPRIM_400000_NS6detail17trampoline_kernelINS0_14default_configENS1_21merge_config_selectorIsNS0_10empty_typeEEEZNS1_10merge_implIS3_N6thrust23THRUST_200600_302600_NS6detail15normal_iteratorINS9_10device_ptrIKsEEEESF_NSB_INSC_IsEEEEPS5_SI_SI_NS9_7greaterIsEEEE10hipError_tPvRmT0_T1_T2_T3_T4_T5_mmT6_P12ihipStream_tbEUlT_E_NS1_11comp_targetILNS1_3genE5ELNS1_11target_archE942ELNS1_3gpuE9ELNS1_3repE0EEENS1_30default_config_static_selectorELNS0_4arch9wavefront6targetE1EEEvSP_
                                        ; -- End function
	.section	.AMDGPU.csdata,"",@progbits
; Kernel info:
; codeLenInByte = 0
; NumSgprs: 4
; NumVgprs: 0
; NumAgprs: 0
; TotalNumVgprs: 0
; ScratchSize: 0
; MemoryBound: 0
; FloatMode: 240
; IeeeMode: 1
; LDSByteSize: 0 bytes/workgroup (compile time only)
; SGPRBlocks: 0
; VGPRBlocks: 0
; NumSGPRsForWavesPerEU: 4
; NumVGPRsForWavesPerEU: 1
; AccumOffset: 4
; Occupancy: 8
; WaveLimiterHint : 0
; COMPUTE_PGM_RSRC2:SCRATCH_EN: 0
; COMPUTE_PGM_RSRC2:USER_SGPR: 6
; COMPUTE_PGM_RSRC2:TRAP_HANDLER: 0
; COMPUTE_PGM_RSRC2:TGID_X_EN: 1
; COMPUTE_PGM_RSRC2:TGID_Y_EN: 0
; COMPUTE_PGM_RSRC2:TGID_Z_EN: 0
; COMPUTE_PGM_RSRC2:TIDIG_COMP_CNT: 0
; COMPUTE_PGM_RSRC3_GFX90A:ACCUM_OFFSET: 0
; COMPUTE_PGM_RSRC3_GFX90A:TG_SPLIT: 0
	.section	.text._ZN7rocprim17ROCPRIM_400000_NS6detail17trampoline_kernelINS0_14default_configENS1_21merge_config_selectorIsNS0_10empty_typeEEEZNS1_10merge_implIS3_N6thrust23THRUST_200600_302600_NS6detail15normal_iteratorINS9_10device_ptrIKsEEEESF_NSB_INSC_IsEEEEPS5_SI_SI_NS9_7greaterIsEEEE10hipError_tPvRmT0_T1_T2_T3_T4_T5_mmT6_P12ihipStream_tbEUlT_E_NS1_11comp_targetILNS1_3genE4ELNS1_11target_archE910ELNS1_3gpuE8ELNS1_3repE0EEENS1_30default_config_static_selectorELNS0_4arch9wavefront6targetE1EEEvSP_,"axG",@progbits,_ZN7rocprim17ROCPRIM_400000_NS6detail17trampoline_kernelINS0_14default_configENS1_21merge_config_selectorIsNS0_10empty_typeEEEZNS1_10merge_implIS3_N6thrust23THRUST_200600_302600_NS6detail15normal_iteratorINS9_10device_ptrIKsEEEESF_NSB_INSC_IsEEEEPS5_SI_SI_NS9_7greaterIsEEEE10hipError_tPvRmT0_T1_T2_T3_T4_T5_mmT6_P12ihipStream_tbEUlT_E_NS1_11comp_targetILNS1_3genE4ELNS1_11target_archE910ELNS1_3gpuE8ELNS1_3repE0EEENS1_30default_config_static_selectorELNS0_4arch9wavefront6targetE1EEEvSP_,comdat
	.protected	_ZN7rocprim17ROCPRIM_400000_NS6detail17trampoline_kernelINS0_14default_configENS1_21merge_config_selectorIsNS0_10empty_typeEEEZNS1_10merge_implIS3_N6thrust23THRUST_200600_302600_NS6detail15normal_iteratorINS9_10device_ptrIKsEEEESF_NSB_INSC_IsEEEEPS5_SI_SI_NS9_7greaterIsEEEE10hipError_tPvRmT0_T1_T2_T3_T4_T5_mmT6_P12ihipStream_tbEUlT_E_NS1_11comp_targetILNS1_3genE4ELNS1_11target_archE910ELNS1_3gpuE8ELNS1_3repE0EEENS1_30default_config_static_selectorELNS0_4arch9wavefront6targetE1EEEvSP_ ; -- Begin function _ZN7rocprim17ROCPRIM_400000_NS6detail17trampoline_kernelINS0_14default_configENS1_21merge_config_selectorIsNS0_10empty_typeEEEZNS1_10merge_implIS3_N6thrust23THRUST_200600_302600_NS6detail15normal_iteratorINS9_10device_ptrIKsEEEESF_NSB_INSC_IsEEEEPS5_SI_SI_NS9_7greaterIsEEEE10hipError_tPvRmT0_T1_T2_T3_T4_T5_mmT6_P12ihipStream_tbEUlT_E_NS1_11comp_targetILNS1_3genE4ELNS1_11target_archE910ELNS1_3gpuE8ELNS1_3repE0EEENS1_30default_config_static_selectorELNS0_4arch9wavefront6targetE1EEEvSP_
	.globl	_ZN7rocprim17ROCPRIM_400000_NS6detail17trampoline_kernelINS0_14default_configENS1_21merge_config_selectorIsNS0_10empty_typeEEEZNS1_10merge_implIS3_N6thrust23THRUST_200600_302600_NS6detail15normal_iteratorINS9_10device_ptrIKsEEEESF_NSB_INSC_IsEEEEPS5_SI_SI_NS9_7greaterIsEEEE10hipError_tPvRmT0_T1_T2_T3_T4_T5_mmT6_P12ihipStream_tbEUlT_E_NS1_11comp_targetILNS1_3genE4ELNS1_11target_archE910ELNS1_3gpuE8ELNS1_3repE0EEENS1_30default_config_static_selectorELNS0_4arch9wavefront6targetE1EEEvSP_
	.p2align	8
	.type	_ZN7rocprim17ROCPRIM_400000_NS6detail17trampoline_kernelINS0_14default_configENS1_21merge_config_selectorIsNS0_10empty_typeEEEZNS1_10merge_implIS3_N6thrust23THRUST_200600_302600_NS6detail15normal_iteratorINS9_10device_ptrIKsEEEESF_NSB_INSC_IsEEEEPS5_SI_SI_NS9_7greaterIsEEEE10hipError_tPvRmT0_T1_T2_T3_T4_T5_mmT6_P12ihipStream_tbEUlT_E_NS1_11comp_targetILNS1_3genE4ELNS1_11target_archE910ELNS1_3gpuE8ELNS1_3repE0EEENS1_30default_config_static_selectorELNS0_4arch9wavefront6targetE1EEEvSP_,@function
_ZN7rocprim17ROCPRIM_400000_NS6detail17trampoline_kernelINS0_14default_configENS1_21merge_config_selectorIsNS0_10empty_typeEEEZNS1_10merge_implIS3_N6thrust23THRUST_200600_302600_NS6detail15normal_iteratorINS9_10device_ptrIKsEEEESF_NSB_INSC_IsEEEEPS5_SI_SI_NS9_7greaterIsEEEE10hipError_tPvRmT0_T1_T2_T3_T4_T5_mmT6_P12ihipStream_tbEUlT_E_NS1_11comp_targetILNS1_3genE4ELNS1_11target_archE910ELNS1_3gpuE8ELNS1_3repE0EEENS1_30default_config_static_selectorELNS0_4arch9wavefront6targetE1EEEvSP_: ; @_ZN7rocprim17ROCPRIM_400000_NS6detail17trampoline_kernelINS0_14default_configENS1_21merge_config_selectorIsNS0_10empty_typeEEEZNS1_10merge_implIS3_N6thrust23THRUST_200600_302600_NS6detail15normal_iteratorINS9_10device_ptrIKsEEEESF_NSB_INSC_IsEEEEPS5_SI_SI_NS9_7greaterIsEEEE10hipError_tPvRmT0_T1_T2_T3_T4_T5_mmT6_P12ihipStream_tbEUlT_E_NS1_11comp_targetILNS1_3genE4ELNS1_11target_archE910ELNS1_3gpuE8ELNS1_3repE0EEENS1_30default_config_static_selectorELNS0_4arch9wavefront6targetE1EEEvSP_
; %bb.0:
	s_load_dword s7, s[4:5], 0x28
	s_load_dword s0, s[4:5], 0x3c
	s_load_dwordx4 s[8:11], s[4:5], 0x18
	s_waitcnt lgkmcnt(0)
	v_cvt_f32_u32_e32 v1, s7
	s_and_b32 s0, s0, 0xffff
	s_add_u32 s12, s10, s8
	s_addc_u32 s13, s11, s9
	v_rcp_iflag_f32_e32 v1, v1
	s_sub_i32 s1, 0, s7
	s_mul_i32 s6, s6, s0
	s_add_i32 s0, s7, s12
	v_mul_f32_e32 v1, 0x4f7ffffe, v1
	v_cvt_u32_f32_e32 v1, v1
	s_add_i32 s0, s0, -1
	v_add_u32_e32 v0, s6, v0
	v_readfirstlane_b32 s2, v1
	s_mul_i32 s1, s1, s2
	s_mul_hi_u32 s1, s2, s1
	s_add_i32 s2, s2, s1
	s_mul_hi_u32 s1, s0, s2
	s_mul_i32 s2, s1, s7
	s_sub_i32 s0, s0, s2
	s_add_i32 s3, s1, 1
	s_sub_i32 s2, s0, s7
	s_cmp_ge_u32 s0, s7
	s_cselect_b32 s1, s3, s1
	s_cselect_b32 s0, s2, s0
	s_add_i32 s2, s1, 1
	s_cmp_ge_u32 s0, s7
	s_cselect_b32 s0, s2, s1
	v_cmp_ge_u32_e32 vcc, s0, v0
	s_and_saveexec_b64 s[0:1], vcc
	s_cbranch_execz .LBB589_6
; %bb.1:
	v_mul_lo_u32 v2, v0, s7
	v_mov_b32_e32 v3, 0
	v_mov_b32_e32 v1, s13
	v_cmp_gt_u64_e32 vcc, s[12:13], v[2:3]
	v_cndmask_b32_e64 v7, v1, 0, vcc
	v_mov_b32_e32 v1, s12
	v_cndmask_b32_e32 v6, v1, v2, vcc
	v_mov_b32_e32 v1, s11
	v_subrev_co_u32_e32 v2, vcc, s10, v6
	v_subb_co_u32_e32 v3, vcc, v7, v1, vcc
	s_load_dwordx4 s[0:3], s[4:5], 0x0
	v_cmp_gt_u64_e32 vcc, v[2:3], v[6:7]
	v_cndmask_b32_e64 v3, v3, 0, vcc
	v_cndmask_b32_e64 v2, v2, 0, vcc
	v_mov_b32_e32 v1, s9
	v_cmp_gt_u64_e32 vcc, s[8:9], v[6:7]
	v_cndmask_b32_e32 v5, v1, v7, vcc
	v_mov_b32_e32 v1, s8
	v_cndmask_b32_e32 v4, v1, v6, vcc
	v_cmp_lt_u64_e32 vcc, v[2:3], v[4:5]
	s_and_saveexec_b64 s[6:7], vcc
	s_cbranch_execz .LBB589_5
; %bb.2:
	s_load_dwordx2 s[4:5], s[4:5], 0x10
	v_lshlrev_b64 v[6:7], 1, v[6:7]
	s_waitcnt lgkmcnt(0)
	v_mov_b32_e32 v8, s5
	v_add_co_u32_e32 v1, vcc, s4, v6
	v_addc_co_u32_e32 v6, vcc, v8, v7, vcc
	s_mov_b64 s[4:5], 0
	v_mov_b32_e32 v7, s3
.LBB589_3:                              ; =>This Inner Loop Header: Depth=1
	v_add_co_u32_e32 v8, vcc, v4, v2
	v_addc_co_u32_e32 v9, vcc, v5, v3, vcc
	v_lshrrev_b64 v[10:11], 1, v[8:9]
	v_and_b32_e32 v8, -2, v8
	v_add_co_u32_e32 v8, vcc, s2, v8
	v_not_b32_e32 v13, v11
	v_not_b32_e32 v12, v10
	v_addc_co_u32_e32 v9, vcc, v7, v9, vcc
	global_load_ushort v14, v[8:9], off
	v_lshlrev_b64 v[8:9], 1, v[12:13]
	v_add_co_u32_e32 v8, vcc, v1, v8
	v_addc_co_u32_e32 v9, vcc, v6, v9, vcc
	global_load_ushort v8, v[8:9], off
	v_add_co_u32_e32 v9, vcc, 1, v10
	v_addc_co_u32_e32 v12, vcc, 0, v11, vcc
	s_waitcnt vmcnt(0)
	v_cmp_gt_i16_e32 vcc, v8, v14
	v_cndmask_b32_e32 v5, v5, v11, vcc
	v_cndmask_b32_e32 v4, v4, v10, vcc
	;; [unrolled: 1-line block ×4, first 2 shown]
	v_cmp_ge_u64_e32 vcc, v[2:3], v[4:5]
	s_or_b64 s[4:5], vcc, s[4:5]
	s_andn2_b64 exec, exec, s[4:5]
	s_cbranch_execnz .LBB589_3
; %bb.4:
	s_or_b64 exec, exec, s[4:5]
.LBB589_5:
	s_or_b64 exec, exec, s[6:7]
	v_mov_b32_e32 v1, 0
	v_lshlrev_b64 v[0:1], 2, v[0:1]
	s_waitcnt lgkmcnt(0)
	v_mov_b32_e32 v3, s1
	v_add_co_u32_e32 v0, vcc, s0, v0
	v_addc_co_u32_e32 v1, vcc, v3, v1, vcc
	global_store_dword v[0:1], v2, off
.LBB589_6:
	s_endpgm
	.section	.rodata,"a",@progbits
	.p2align	6, 0x0
	.amdhsa_kernel _ZN7rocprim17ROCPRIM_400000_NS6detail17trampoline_kernelINS0_14default_configENS1_21merge_config_selectorIsNS0_10empty_typeEEEZNS1_10merge_implIS3_N6thrust23THRUST_200600_302600_NS6detail15normal_iteratorINS9_10device_ptrIKsEEEESF_NSB_INSC_IsEEEEPS5_SI_SI_NS9_7greaterIsEEEE10hipError_tPvRmT0_T1_T2_T3_T4_T5_mmT6_P12ihipStream_tbEUlT_E_NS1_11comp_targetILNS1_3genE4ELNS1_11target_archE910ELNS1_3gpuE8ELNS1_3repE0EEENS1_30default_config_static_selectorELNS0_4arch9wavefront6targetE1EEEvSP_
		.amdhsa_group_segment_fixed_size 0
		.amdhsa_private_segment_fixed_size 0
		.amdhsa_kernarg_size 304
		.amdhsa_user_sgpr_count 6
		.amdhsa_user_sgpr_private_segment_buffer 1
		.amdhsa_user_sgpr_dispatch_ptr 0
		.amdhsa_user_sgpr_queue_ptr 0
		.amdhsa_user_sgpr_kernarg_segment_ptr 1
		.amdhsa_user_sgpr_dispatch_id 0
		.amdhsa_user_sgpr_flat_scratch_init 0
		.amdhsa_user_sgpr_kernarg_preload_length 0
		.amdhsa_user_sgpr_kernarg_preload_offset 0
		.amdhsa_user_sgpr_private_segment_size 0
		.amdhsa_uses_dynamic_stack 0
		.amdhsa_system_sgpr_private_segment_wavefront_offset 0
		.amdhsa_system_sgpr_workgroup_id_x 1
		.amdhsa_system_sgpr_workgroup_id_y 0
		.amdhsa_system_sgpr_workgroup_id_z 0
		.amdhsa_system_sgpr_workgroup_info 0
		.amdhsa_system_vgpr_workitem_id 0
		.amdhsa_next_free_vgpr 15
		.amdhsa_next_free_sgpr 14
		.amdhsa_accum_offset 16
		.amdhsa_reserve_vcc 1
		.amdhsa_reserve_flat_scratch 0
		.amdhsa_float_round_mode_32 0
		.amdhsa_float_round_mode_16_64 0
		.amdhsa_float_denorm_mode_32 3
		.amdhsa_float_denorm_mode_16_64 3
		.amdhsa_dx10_clamp 1
		.amdhsa_ieee_mode 1
		.amdhsa_fp16_overflow 0
		.amdhsa_tg_split 0
		.amdhsa_exception_fp_ieee_invalid_op 0
		.amdhsa_exception_fp_denorm_src 0
		.amdhsa_exception_fp_ieee_div_zero 0
		.amdhsa_exception_fp_ieee_overflow 0
		.amdhsa_exception_fp_ieee_underflow 0
		.amdhsa_exception_fp_ieee_inexact 0
		.amdhsa_exception_int_div_zero 0
	.end_amdhsa_kernel
	.section	.text._ZN7rocprim17ROCPRIM_400000_NS6detail17trampoline_kernelINS0_14default_configENS1_21merge_config_selectorIsNS0_10empty_typeEEEZNS1_10merge_implIS3_N6thrust23THRUST_200600_302600_NS6detail15normal_iteratorINS9_10device_ptrIKsEEEESF_NSB_INSC_IsEEEEPS5_SI_SI_NS9_7greaterIsEEEE10hipError_tPvRmT0_T1_T2_T3_T4_T5_mmT6_P12ihipStream_tbEUlT_E_NS1_11comp_targetILNS1_3genE4ELNS1_11target_archE910ELNS1_3gpuE8ELNS1_3repE0EEENS1_30default_config_static_selectorELNS0_4arch9wavefront6targetE1EEEvSP_,"axG",@progbits,_ZN7rocprim17ROCPRIM_400000_NS6detail17trampoline_kernelINS0_14default_configENS1_21merge_config_selectorIsNS0_10empty_typeEEEZNS1_10merge_implIS3_N6thrust23THRUST_200600_302600_NS6detail15normal_iteratorINS9_10device_ptrIKsEEEESF_NSB_INSC_IsEEEEPS5_SI_SI_NS9_7greaterIsEEEE10hipError_tPvRmT0_T1_T2_T3_T4_T5_mmT6_P12ihipStream_tbEUlT_E_NS1_11comp_targetILNS1_3genE4ELNS1_11target_archE910ELNS1_3gpuE8ELNS1_3repE0EEENS1_30default_config_static_selectorELNS0_4arch9wavefront6targetE1EEEvSP_,comdat
.Lfunc_end589:
	.size	_ZN7rocprim17ROCPRIM_400000_NS6detail17trampoline_kernelINS0_14default_configENS1_21merge_config_selectorIsNS0_10empty_typeEEEZNS1_10merge_implIS3_N6thrust23THRUST_200600_302600_NS6detail15normal_iteratorINS9_10device_ptrIKsEEEESF_NSB_INSC_IsEEEEPS5_SI_SI_NS9_7greaterIsEEEE10hipError_tPvRmT0_T1_T2_T3_T4_T5_mmT6_P12ihipStream_tbEUlT_E_NS1_11comp_targetILNS1_3genE4ELNS1_11target_archE910ELNS1_3gpuE8ELNS1_3repE0EEENS1_30default_config_static_selectorELNS0_4arch9wavefront6targetE1EEEvSP_, .Lfunc_end589-_ZN7rocprim17ROCPRIM_400000_NS6detail17trampoline_kernelINS0_14default_configENS1_21merge_config_selectorIsNS0_10empty_typeEEEZNS1_10merge_implIS3_N6thrust23THRUST_200600_302600_NS6detail15normal_iteratorINS9_10device_ptrIKsEEEESF_NSB_INSC_IsEEEEPS5_SI_SI_NS9_7greaterIsEEEE10hipError_tPvRmT0_T1_T2_T3_T4_T5_mmT6_P12ihipStream_tbEUlT_E_NS1_11comp_targetILNS1_3genE4ELNS1_11target_archE910ELNS1_3gpuE8ELNS1_3repE0EEENS1_30default_config_static_selectorELNS0_4arch9wavefront6targetE1EEEvSP_
                                        ; -- End function
	.section	.AMDGPU.csdata,"",@progbits
; Kernel info:
; codeLenInByte = 468
; NumSgprs: 18
; NumVgprs: 15
; NumAgprs: 0
; TotalNumVgprs: 15
; ScratchSize: 0
; MemoryBound: 0
; FloatMode: 240
; IeeeMode: 1
; LDSByteSize: 0 bytes/workgroup (compile time only)
; SGPRBlocks: 2
; VGPRBlocks: 1
; NumSGPRsForWavesPerEU: 18
; NumVGPRsForWavesPerEU: 15
; AccumOffset: 16
; Occupancy: 8
; WaveLimiterHint : 0
; COMPUTE_PGM_RSRC2:SCRATCH_EN: 0
; COMPUTE_PGM_RSRC2:USER_SGPR: 6
; COMPUTE_PGM_RSRC2:TRAP_HANDLER: 0
; COMPUTE_PGM_RSRC2:TGID_X_EN: 1
; COMPUTE_PGM_RSRC2:TGID_Y_EN: 0
; COMPUTE_PGM_RSRC2:TGID_Z_EN: 0
; COMPUTE_PGM_RSRC2:TIDIG_COMP_CNT: 0
; COMPUTE_PGM_RSRC3_GFX90A:ACCUM_OFFSET: 3
; COMPUTE_PGM_RSRC3_GFX90A:TG_SPLIT: 0
	.section	.text._ZN7rocprim17ROCPRIM_400000_NS6detail17trampoline_kernelINS0_14default_configENS1_21merge_config_selectorIsNS0_10empty_typeEEEZNS1_10merge_implIS3_N6thrust23THRUST_200600_302600_NS6detail15normal_iteratorINS9_10device_ptrIKsEEEESF_NSB_INSC_IsEEEEPS5_SI_SI_NS9_7greaterIsEEEE10hipError_tPvRmT0_T1_T2_T3_T4_T5_mmT6_P12ihipStream_tbEUlT_E_NS1_11comp_targetILNS1_3genE3ELNS1_11target_archE908ELNS1_3gpuE7ELNS1_3repE0EEENS1_30default_config_static_selectorELNS0_4arch9wavefront6targetE1EEEvSP_,"axG",@progbits,_ZN7rocprim17ROCPRIM_400000_NS6detail17trampoline_kernelINS0_14default_configENS1_21merge_config_selectorIsNS0_10empty_typeEEEZNS1_10merge_implIS3_N6thrust23THRUST_200600_302600_NS6detail15normal_iteratorINS9_10device_ptrIKsEEEESF_NSB_INSC_IsEEEEPS5_SI_SI_NS9_7greaterIsEEEE10hipError_tPvRmT0_T1_T2_T3_T4_T5_mmT6_P12ihipStream_tbEUlT_E_NS1_11comp_targetILNS1_3genE3ELNS1_11target_archE908ELNS1_3gpuE7ELNS1_3repE0EEENS1_30default_config_static_selectorELNS0_4arch9wavefront6targetE1EEEvSP_,comdat
	.protected	_ZN7rocprim17ROCPRIM_400000_NS6detail17trampoline_kernelINS0_14default_configENS1_21merge_config_selectorIsNS0_10empty_typeEEEZNS1_10merge_implIS3_N6thrust23THRUST_200600_302600_NS6detail15normal_iteratorINS9_10device_ptrIKsEEEESF_NSB_INSC_IsEEEEPS5_SI_SI_NS9_7greaterIsEEEE10hipError_tPvRmT0_T1_T2_T3_T4_T5_mmT6_P12ihipStream_tbEUlT_E_NS1_11comp_targetILNS1_3genE3ELNS1_11target_archE908ELNS1_3gpuE7ELNS1_3repE0EEENS1_30default_config_static_selectorELNS0_4arch9wavefront6targetE1EEEvSP_ ; -- Begin function _ZN7rocprim17ROCPRIM_400000_NS6detail17trampoline_kernelINS0_14default_configENS1_21merge_config_selectorIsNS0_10empty_typeEEEZNS1_10merge_implIS3_N6thrust23THRUST_200600_302600_NS6detail15normal_iteratorINS9_10device_ptrIKsEEEESF_NSB_INSC_IsEEEEPS5_SI_SI_NS9_7greaterIsEEEE10hipError_tPvRmT0_T1_T2_T3_T4_T5_mmT6_P12ihipStream_tbEUlT_E_NS1_11comp_targetILNS1_3genE3ELNS1_11target_archE908ELNS1_3gpuE7ELNS1_3repE0EEENS1_30default_config_static_selectorELNS0_4arch9wavefront6targetE1EEEvSP_
	.globl	_ZN7rocprim17ROCPRIM_400000_NS6detail17trampoline_kernelINS0_14default_configENS1_21merge_config_selectorIsNS0_10empty_typeEEEZNS1_10merge_implIS3_N6thrust23THRUST_200600_302600_NS6detail15normal_iteratorINS9_10device_ptrIKsEEEESF_NSB_INSC_IsEEEEPS5_SI_SI_NS9_7greaterIsEEEE10hipError_tPvRmT0_T1_T2_T3_T4_T5_mmT6_P12ihipStream_tbEUlT_E_NS1_11comp_targetILNS1_3genE3ELNS1_11target_archE908ELNS1_3gpuE7ELNS1_3repE0EEENS1_30default_config_static_selectorELNS0_4arch9wavefront6targetE1EEEvSP_
	.p2align	8
	.type	_ZN7rocprim17ROCPRIM_400000_NS6detail17trampoline_kernelINS0_14default_configENS1_21merge_config_selectorIsNS0_10empty_typeEEEZNS1_10merge_implIS3_N6thrust23THRUST_200600_302600_NS6detail15normal_iteratorINS9_10device_ptrIKsEEEESF_NSB_INSC_IsEEEEPS5_SI_SI_NS9_7greaterIsEEEE10hipError_tPvRmT0_T1_T2_T3_T4_T5_mmT6_P12ihipStream_tbEUlT_E_NS1_11comp_targetILNS1_3genE3ELNS1_11target_archE908ELNS1_3gpuE7ELNS1_3repE0EEENS1_30default_config_static_selectorELNS0_4arch9wavefront6targetE1EEEvSP_,@function
_ZN7rocprim17ROCPRIM_400000_NS6detail17trampoline_kernelINS0_14default_configENS1_21merge_config_selectorIsNS0_10empty_typeEEEZNS1_10merge_implIS3_N6thrust23THRUST_200600_302600_NS6detail15normal_iteratorINS9_10device_ptrIKsEEEESF_NSB_INSC_IsEEEEPS5_SI_SI_NS9_7greaterIsEEEE10hipError_tPvRmT0_T1_T2_T3_T4_T5_mmT6_P12ihipStream_tbEUlT_E_NS1_11comp_targetILNS1_3genE3ELNS1_11target_archE908ELNS1_3gpuE7ELNS1_3repE0EEENS1_30default_config_static_selectorELNS0_4arch9wavefront6targetE1EEEvSP_: ; @_ZN7rocprim17ROCPRIM_400000_NS6detail17trampoline_kernelINS0_14default_configENS1_21merge_config_selectorIsNS0_10empty_typeEEEZNS1_10merge_implIS3_N6thrust23THRUST_200600_302600_NS6detail15normal_iteratorINS9_10device_ptrIKsEEEESF_NSB_INSC_IsEEEEPS5_SI_SI_NS9_7greaterIsEEEE10hipError_tPvRmT0_T1_T2_T3_T4_T5_mmT6_P12ihipStream_tbEUlT_E_NS1_11comp_targetILNS1_3genE3ELNS1_11target_archE908ELNS1_3gpuE7ELNS1_3repE0EEENS1_30default_config_static_selectorELNS0_4arch9wavefront6targetE1EEEvSP_
; %bb.0:
	.section	.rodata,"a",@progbits
	.p2align	6, 0x0
	.amdhsa_kernel _ZN7rocprim17ROCPRIM_400000_NS6detail17trampoline_kernelINS0_14default_configENS1_21merge_config_selectorIsNS0_10empty_typeEEEZNS1_10merge_implIS3_N6thrust23THRUST_200600_302600_NS6detail15normal_iteratorINS9_10device_ptrIKsEEEESF_NSB_INSC_IsEEEEPS5_SI_SI_NS9_7greaterIsEEEE10hipError_tPvRmT0_T1_T2_T3_T4_T5_mmT6_P12ihipStream_tbEUlT_E_NS1_11comp_targetILNS1_3genE3ELNS1_11target_archE908ELNS1_3gpuE7ELNS1_3repE0EEENS1_30default_config_static_selectorELNS0_4arch9wavefront6targetE1EEEvSP_
		.amdhsa_group_segment_fixed_size 0
		.amdhsa_private_segment_fixed_size 0
		.amdhsa_kernarg_size 48
		.amdhsa_user_sgpr_count 6
		.amdhsa_user_sgpr_private_segment_buffer 1
		.amdhsa_user_sgpr_dispatch_ptr 0
		.amdhsa_user_sgpr_queue_ptr 0
		.amdhsa_user_sgpr_kernarg_segment_ptr 1
		.amdhsa_user_sgpr_dispatch_id 0
		.amdhsa_user_sgpr_flat_scratch_init 0
		.amdhsa_user_sgpr_kernarg_preload_length 0
		.amdhsa_user_sgpr_kernarg_preload_offset 0
		.amdhsa_user_sgpr_private_segment_size 0
		.amdhsa_uses_dynamic_stack 0
		.amdhsa_system_sgpr_private_segment_wavefront_offset 0
		.amdhsa_system_sgpr_workgroup_id_x 1
		.amdhsa_system_sgpr_workgroup_id_y 0
		.amdhsa_system_sgpr_workgroup_id_z 0
		.amdhsa_system_sgpr_workgroup_info 0
		.amdhsa_system_vgpr_workitem_id 0
		.amdhsa_next_free_vgpr 1
		.amdhsa_next_free_sgpr 0
		.amdhsa_accum_offset 4
		.amdhsa_reserve_vcc 0
		.amdhsa_reserve_flat_scratch 0
		.amdhsa_float_round_mode_32 0
		.amdhsa_float_round_mode_16_64 0
		.amdhsa_float_denorm_mode_32 3
		.amdhsa_float_denorm_mode_16_64 3
		.amdhsa_dx10_clamp 1
		.amdhsa_ieee_mode 1
		.amdhsa_fp16_overflow 0
		.amdhsa_tg_split 0
		.amdhsa_exception_fp_ieee_invalid_op 0
		.amdhsa_exception_fp_denorm_src 0
		.amdhsa_exception_fp_ieee_div_zero 0
		.amdhsa_exception_fp_ieee_overflow 0
		.amdhsa_exception_fp_ieee_underflow 0
		.amdhsa_exception_fp_ieee_inexact 0
		.amdhsa_exception_int_div_zero 0
	.end_amdhsa_kernel
	.section	.text._ZN7rocprim17ROCPRIM_400000_NS6detail17trampoline_kernelINS0_14default_configENS1_21merge_config_selectorIsNS0_10empty_typeEEEZNS1_10merge_implIS3_N6thrust23THRUST_200600_302600_NS6detail15normal_iteratorINS9_10device_ptrIKsEEEESF_NSB_INSC_IsEEEEPS5_SI_SI_NS9_7greaterIsEEEE10hipError_tPvRmT0_T1_T2_T3_T4_T5_mmT6_P12ihipStream_tbEUlT_E_NS1_11comp_targetILNS1_3genE3ELNS1_11target_archE908ELNS1_3gpuE7ELNS1_3repE0EEENS1_30default_config_static_selectorELNS0_4arch9wavefront6targetE1EEEvSP_,"axG",@progbits,_ZN7rocprim17ROCPRIM_400000_NS6detail17trampoline_kernelINS0_14default_configENS1_21merge_config_selectorIsNS0_10empty_typeEEEZNS1_10merge_implIS3_N6thrust23THRUST_200600_302600_NS6detail15normal_iteratorINS9_10device_ptrIKsEEEESF_NSB_INSC_IsEEEEPS5_SI_SI_NS9_7greaterIsEEEE10hipError_tPvRmT0_T1_T2_T3_T4_T5_mmT6_P12ihipStream_tbEUlT_E_NS1_11comp_targetILNS1_3genE3ELNS1_11target_archE908ELNS1_3gpuE7ELNS1_3repE0EEENS1_30default_config_static_selectorELNS0_4arch9wavefront6targetE1EEEvSP_,comdat
.Lfunc_end590:
	.size	_ZN7rocprim17ROCPRIM_400000_NS6detail17trampoline_kernelINS0_14default_configENS1_21merge_config_selectorIsNS0_10empty_typeEEEZNS1_10merge_implIS3_N6thrust23THRUST_200600_302600_NS6detail15normal_iteratorINS9_10device_ptrIKsEEEESF_NSB_INSC_IsEEEEPS5_SI_SI_NS9_7greaterIsEEEE10hipError_tPvRmT0_T1_T2_T3_T4_T5_mmT6_P12ihipStream_tbEUlT_E_NS1_11comp_targetILNS1_3genE3ELNS1_11target_archE908ELNS1_3gpuE7ELNS1_3repE0EEENS1_30default_config_static_selectorELNS0_4arch9wavefront6targetE1EEEvSP_, .Lfunc_end590-_ZN7rocprim17ROCPRIM_400000_NS6detail17trampoline_kernelINS0_14default_configENS1_21merge_config_selectorIsNS0_10empty_typeEEEZNS1_10merge_implIS3_N6thrust23THRUST_200600_302600_NS6detail15normal_iteratorINS9_10device_ptrIKsEEEESF_NSB_INSC_IsEEEEPS5_SI_SI_NS9_7greaterIsEEEE10hipError_tPvRmT0_T1_T2_T3_T4_T5_mmT6_P12ihipStream_tbEUlT_E_NS1_11comp_targetILNS1_3genE3ELNS1_11target_archE908ELNS1_3gpuE7ELNS1_3repE0EEENS1_30default_config_static_selectorELNS0_4arch9wavefront6targetE1EEEvSP_
                                        ; -- End function
	.section	.AMDGPU.csdata,"",@progbits
; Kernel info:
; codeLenInByte = 0
; NumSgprs: 4
; NumVgprs: 0
; NumAgprs: 0
; TotalNumVgprs: 0
; ScratchSize: 0
; MemoryBound: 0
; FloatMode: 240
; IeeeMode: 1
; LDSByteSize: 0 bytes/workgroup (compile time only)
; SGPRBlocks: 0
; VGPRBlocks: 0
; NumSGPRsForWavesPerEU: 4
; NumVGPRsForWavesPerEU: 1
; AccumOffset: 4
; Occupancy: 8
; WaveLimiterHint : 0
; COMPUTE_PGM_RSRC2:SCRATCH_EN: 0
; COMPUTE_PGM_RSRC2:USER_SGPR: 6
; COMPUTE_PGM_RSRC2:TRAP_HANDLER: 0
; COMPUTE_PGM_RSRC2:TGID_X_EN: 1
; COMPUTE_PGM_RSRC2:TGID_Y_EN: 0
; COMPUTE_PGM_RSRC2:TGID_Z_EN: 0
; COMPUTE_PGM_RSRC2:TIDIG_COMP_CNT: 0
; COMPUTE_PGM_RSRC3_GFX90A:ACCUM_OFFSET: 0
; COMPUTE_PGM_RSRC3_GFX90A:TG_SPLIT: 0
	.section	.text._ZN7rocprim17ROCPRIM_400000_NS6detail17trampoline_kernelINS0_14default_configENS1_21merge_config_selectorIsNS0_10empty_typeEEEZNS1_10merge_implIS3_N6thrust23THRUST_200600_302600_NS6detail15normal_iteratorINS9_10device_ptrIKsEEEESF_NSB_INSC_IsEEEEPS5_SI_SI_NS9_7greaterIsEEEE10hipError_tPvRmT0_T1_T2_T3_T4_T5_mmT6_P12ihipStream_tbEUlT_E_NS1_11comp_targetILNS1_3genE2ELNS1_11target_archE906ELNS1_3gpuE6ELNS1_3repE0EEENS1_30default_config_static_selectorELNS0_4arch9wavefront6targetE1EEEvSP_,"axG",@progbits,_ZN7rocprim17ROCPRIM_400000_NS6detail17trampoline_kernelINS0_14default_configENS1_21merge_config_selectorIsNS0_10empty_typeEEEZNS1_10merge_implIS3_N6thrust23THRUST_200600_302600_NS6detail15normal_iteratorINS9_10device_ptrIKsEEEESF_NSB_INSC_IsEEEEPS5_SI_SI_NS9_7greaterIsEEEE10hipError_tPvRmT0_T1_T2_T3_T4_T5_mmT6_P12ihipStream_tbEUlT_E_NS1_11comp_targetILNS1_3genE2ELNS1_11target_archE906ELNS1_3gpuE6ELNS1_3repE0EEENS1_30default_config_static_selectorELNS0_4arch9wavefront6targetE1EEEvSP_,comdat
	.protected	_ZN7rocprim17ROCPRIM_400000_NS6detail17trampoline_kernelINS0_14default_configENS1_21merge_config_selectorIsNS0_10empty_typeEEEZNS1_10merge_implIS3_N6thrust23THRUST_200600_302600_NS6detail15normal_iteratorINS9_10device_ptrIKsEEEESF_NSB_INSC_IsEEEEPS5_SI_SI_NS9_7greaterIsEEEE10hipError_tPvRmT0_T1_T2_T3_T4_T5_mmT6_P12ihipStream_tbEUlT_E_NS1_11comp_targetILNS1_3genE2ELNS1_11target_archE906ELNS1_3gpuE6ELNS1_3repE0EEENS1_30default_config_static_selectorELNS0_4arch9wavefront6targetE1EEEvSP_ ; -- Begin function _ZN7rocprim17ROCPRIM_400000_NS6detail17trampoline_kernelINS0_14default_configENS1_21merge_config_selectorIsNS0_10empty_typeEEEZNS1_10merge_implIS3_N6thrust23THRUST_200600_302600_NS6detail15normal_iteratorINS9_10device_ptrIKsEEEESF_NSB_INSC_IsEEEEPS5_SI_SI_NS9_7greaterIsEEEE10hipError_tPvRmT0_T1_T2_T3_T4_T5_mmT6_P12ihipStream_tbEUlT_E_NS1_11comp_targetILNS1_3genE2ELNS1_11target_archE906ELNS1_3gpuE6ELNS1_3repE0EEENS1_30default_config_static_selectorELNS0_4arch9wavefront6targetE1EEEvSP_
	.globl	_ZN7rocprim17ROCPRIM_400000_NS6detail17trampoline_kernelINS0_14default_configENS1_21merge_config_selectorIsNS0_10empty_typeEEEZNS1_10merge_implIS3_N6thrust23THRUST_200600_302600_NS6detail15normal_iteratorINS9_10device_ptrIKsEEEESF_NSB_INSC_IsEEEEPS5_SI_SI_NS9_7greaterIsEEEE10hipError_tPvRmT0_T1_T2_T3_T4_T5_mmT6_P12ihipStream_tbEUlT_E_NS1_11comp_targetILNS1_3genE2ELNS1_11target_archE906ELNS1_3gpuE6ELNS1_3repE0EEENS1_30default_config_static_selectorELNS0_4arch9wavefront6targetE1EEEvSP_
	.p2align	8
	.type	_ZN7rocprim17ROCPRIM_400000_NS6detail17trampoline_kernelINS0_14default_configENS1_21merge_config_selectorIsNS0_10empty_typeEEEZNS1_10merge_implIS3_N6thrust23THRUST_200600_302600_NS6detail15normal_iteratorINS9_10device_ptrIKsEEEESF_NSB_INSC_IsEEEEPS5_SI_SI_NS9_7greaterIsEEEE10hipError_tPvRmT0_T1_T2_T3_T4_T5_mmT6_P12ihipStream_tbEUlT_E_NS1_11comp_targetILNS1_3genE2ELNS1_11target_archE906ELNS1_3gpuE6ELNS1_3repE0EEENS1_30default_config_static_selectorELNS0_4arch9wavefront6targetE1EEEvSP_,@function
_ZN7rocprim17ROCPRIM_400000_NS6detail17trampoline_kernelINS0_14default_configENS1_21merge_config_selectorIsNS0_10empty_typeEEEZNS1_10merge_implIS3_N6thrust23THRUST_200600_302600_NS6detail15normal_iteratorINS9_10device_ptrIKsEEEESF_NSB_INSC_IsEEEEPS5_SI_SI_NS9_7greaterIsEEEE10hipError_tPvRmT0_T1_T2_T3_T4_T5_mmT6_P12ihipStream_tbEUlT_E_NS1_11comp_targetILNS1_3genE2ELNS1_11target_archE906ELNS1_3gpuE6ELNS1_3repE0EEENS1_30default_config_static_selectorELNS0_4arch9wavefront6targetE1EEEvSP_: ; @_ZN7rocprim17ROCPRIM_400000_NS6detail17trampoline_kernelINS0_14default_configENS1_21merge_config_selectorIsNS0_10empty_typeEEEZNS1_10merge_implIS3_N6thrust23THRUST_200600_302600_NS6detail15normal_iteratorINS9_10device_ptrIKsEEEESF_NSB_INSC_IsEEEEPS5_SI_SI_NS9_7greaterIsEEEE10hipError_tPvRmT0_T1_T2_T3_T4_T5_mmT6_P12ihipStream_tbEUlT_E_NS1_11comp_targetILNS1_3genE2ELNS1_11target_archE906ELNS1_3gpuE6ELNS1_3repE0EEENS1_30default_config_static_selectorELNS0_4arch9wavefront6targetE1EEEvSP_
; %bb.0:
	.section	.rodata,"a",@progbits
	.p2align	6, 0x0
	.amdhsa_kernel _ZN7rocprim17ROCPRIM_400000_NS6detail17trampoline_kernelINS0_14default_configENS1_21merge_config_selectorIsNS0_10empty_typeEEEZNS1_10merge_implIS3_N6thrust23THRUST_200600_302600_NS6detail15normal_iteratorINS9_10device_ptrIKsEEEESF_NSB_INSC_IsEEEEPS5_SI_SI_NS9_7greaterIsEEEE10hipError_tPvRmT0_T1_T2_T3_T4_T5_mmT6_P12ihipStream_tbEUlT_E_NS1_11comp_targetILNS1_3genE2ELNS1_11target_archE906ELNS1_3gpuE6ELNS1_3repE0EEENS1_30default_config_static_selectorELNS0_4arch9wavefront6targetE1EEEvSP_
		.amdhsa_group_segment_fixed_size 0
		.amdhsa_private_segment_fixed_size 0
		.amdhsa_kernarg_size 48
		.amdhsa_user_sgpr_count 6
		.amdhsa_user_sgpr_private_segment_buffer 1
		.amdhsa_user_sgpr_dispatch_ptr 0
		.amdhsa_user_sgpr_queue_ptr 0
		.amdhsa_user_sgpr_kernarg_segment_ptr 1
		.amdhsa_user_sgpr_dispatch_id 0
		.amdhsa_user_sgpr_flat_scratch_init 0
		.amdhsa_user_sgpr_kernarg_preload_length 0
		.amdhsa_user_sgpr_kernarg_preload_offset 0
		.amdhsa_user_sgpr_private_segment_size 0
		.amdhsa_uses_dynamic_stack 0
		.amdhsa_system_sgpr_private_segment_wavefront_offset 0
		.amdhsa_system_sgpr_workgroup_id_x 1
		.amdhsa_system_sgpr_workgroup_id_y 0
		.amdhsa_system_sgpr_workgroup_id_z 0
		.amdhsa_system_sgpr_workgroup_info 0
		.amdhsa_system_vgpr_workitem_id 0
		.amdhsa_next_free_vgpr 1
		.amdhsa_next_free_sgpr 0
		.amdhsa_accum_offset 4
		.amdhsa_reserve_vcc 0
		.amdhsa_reserve_flat_scratch 0
		.amdhsa_float_round_mode_32 0
		.amdhsa_float_round_mode_16_64 0
		.amdhsa_float_denorm_mode_32 3
		.amdhsa_float_denorm_mode_16_64 3
		.amdhsa_dx10_clamp 1
		.amdhsa_ieee_mode 1
		.amdhsa_fp16_overflow 0
		.amdhsa_tg_split 0
		.amdhsa_exception_fp_ieee_invalid_op 0
		.amdhsa_exception_fp_denorm_src 0
		.amdhsa_exception_fp_ieee_div_zero 0
		.amdhsa_exception_fp_ieee_overflow 0
		.amdhsa_exception_fp_ieee_underflow 0
		.amdhsa_exception_fp_ieee_inexact 0
		.amdhsa_exception_int_div_zero 0
	.end_amdhsa_kernel
	.section	.text._ZN7rocprim17ROCPRIM_400000_NS6detail17trampoline_kernelINS0_14default_configENS1_21merge_config_selectorIsNS0_10empty_typeEEEZNS1_10merge_implIS3_N6thrust23THRUST_200600_302600_NS6detail15normal_iteratorINS9_10device_ptrIKsEEEESF_NSB_INSC_IsEEEEPS5_SI_SI_NS9_7greaterIsEEEE10hipError_tPvRmT0_T1_T2_T3_T4_T5_mmT6_P12ihipStream_tbEUlT_E_NS1_11comp_targetILNS1_3genE2ELNS1_11target_archE906ELNS1_3gpuE6ELNS1_3repE0EEENS1_30default_config_static_selectorELNS0_4arch9wavefront6targetE1EEEvSP_,"axG",@progbits,_ZN7rocprim17ROCPRIM_400000_NS6detail17trampoline_kernelINS0_14default_configENS1_21merge_config_selectorIsNS0_10empty_typeEEEZNS1_10merge_implIS3_N6thrust23THRUST_200600_302600_NS6detail15normal_iteratorINS9_10device_ptrIKsEEEESF_NSB_INSC_IsEEEEPS5_SI_SI_NS9_7greaterIsEEEE10hipError_tPvRmT0_T1_T2_T3_T4_T5_mmT6_P12ihipStream_tbEUlT_E_NS1_11comp_targetILNS1_3genE2ELNS1_11target_archE906ELNS1_3gpuE6ELNS1_3repE0EEENS1_30default_config_static_selectorELNS0_4arch9wavefront6targetE1EEEvSP_,comdat
.Lfunc_end591:
	.size	_ZN7rocprim17ROCPRIM_400000_NS6detail17trampoline_kernelINS0_14default_configENS1_21merge_config_selectorIsNS0_10empty_typeEEEZNS1_10merge_implIS3_N6thrust23THRUST_200600_302600_NS6detail15normal_iteratorINS9_10device_ptrIKsEEEESF_NSB_INSC_IsEEEEPS5_SI_SI_NS9_7greaterIsEEEE10hipError_tPvRmT0_T1_T2_T3_T4_T5_mmT6_P12ihipStream_tbEUlT_E_NS1_11comp_targetILNS1_3genE2ELNS1_11target_archE906ELNS1_3gpuE6ELNS1_3repE0EEENS1_30default_config_static_selectorELNS0_4arch9wavefront6targetE1EEEvSP_, .Lfunc_end591-_ZN7rocprim17ROCPRIM_400000_NS6detail17trampoline_kernelINS0_14default_configENS1_21merge_config_selectorIsNS0_10empty_typeEEEZNS1_10merge_implIS3_N6thrust23THRUST_200600_302600_NS6detail15normal_iteratorINS9_10device_ptrIKsEEEESF_NSB_INSC_IsEEEEPS5_SI_SI_NS9_7greaterIsEEEE10hipError_tPvRmT0_T1_T2_T3_T4_T5_mmT6_P12ihipStream_tbEUlT_E_NS1_11comp_targetILNS1_3genE2ELNS1_11target_archE906ELNS1_3gpuE6ELNS1_3repE0EEENS1_30default_config_static_selectorELNS0_4arch9wavefront6targetE1EEEvSP_
                                        ; -- End function
	.section	.AMDGPU.csdata,"",@progbits
; Kernel info:
; codeLenInByte = 0
; NumSgprs: 4
; NumVgprs: 0
; NumAgprs: 0
; TotalNumVgprs: 0
; ScratchSize: 0
; MemoryBound: 0
; FloatMode: 240
; IeeeMode: 1
; LDSByteSize: 0 bytes/workgroup (compile time only)
; SGPRBlocks: 0
; VGPRBlocks: 0
; NumSGPRsForWavesPerEU: 4
; NumVGPRsForWavesPerEU: 1
; AccumOffset: 4
; Occupancy: 8
; WaveLimiterHint : 0
; COMPUTE_PGM_RSRC2:SCRATCH_EN: 0
; COMPUTE_PGM_RSRC2:USER_SGPR: 6
; COMPUTE_PGM_RSRC2:TRAP_HANDLER: 0
; COMPUTE_PGM_RSRC2:TGID_X_EN: 1
; COMPUTE_PGM_RSRC2:TGID_Y_EN: 0
; COMPUTE_PGM_RSRC2:TGID_Z_EN: 0
; COMPUTE_PGM_RSRC2:TIDIG_COMP_CNT: 0
; COMPUTE_PGM_RSRC3_GFX90A:ACCUM_OFFSET: 0
; COMPUTE_PGM_RSRC3_GFX90A:TG_SPLIT: 0
	.section	.text._ZN7rocprim17ROCPRIM_400000_NS6detail17trampoline_kernelINS0_14default_configENS1_21merge_config_selectorIsNS0_10empty_typeEEEZNS1_10merge_implIS3_N6thrust23THRUST_200600_302600_NS6detail15normal_iteratorINS9_10device_ptrIKsEEEESF_NSB_INSC_IsEEEEPS5_SI_SI_NS9_7greaterIsEEEE10hipError_tPvRmT0_T1_T2_T3_T4_T5_mmT6_P12ihipStream_tbEUlT_E_NS1_11comp_targetILNS1_3genE10ELNS1_11target_archE1201ELNS1_3gpuE5ELNS1_3repE0EEENS1_30default_config_static_selectorELNS0_4arch9wavefront6targetE1EEEvSP_,"axG",@progbits,_ZN7rocprim17ROCPRIM_400000_NS6detail17trampoline_kernelINS0_14default_configENS1_21merge_config_selectorIsNS0_10empty_typeEEEZNS1_10merge_implIS3_N6thrust23THRUST_200600_302600_NS6detail15normal_iteratorINS9_10device_ptrIKsEEEESF_NSB_INSC_IsEEEEPS5_SI_SI_NS9_7greaterIsEEEE10hipError_tPvRmT0_T1_T2_T3_T4_T5_mmT6_P12ihipStream_tbEUlT_E_NS1_11comp_targetILNS1_3genE10ELNS1_11target_archE1201ELNS1_3gpuE5ELNS1_3repE0EEENS1_30default_config_static_selectorELNS0_4arch9wavefront6targetE1EEEvSP_,comdat
	.protected	_ZN7rocprim17ROCPRIM_400000_NS6detail17trampoline_kernelINS0_14default_configENS1_21merge_config_selectorIsNS0_10empty_typeEEEZNS1_10merge_implIS3_N6thrust23THRUST_200600_302600_NS6detail15normal_iteratorINS9_10device_ptrIKsEEEESF_NSB_INSC_IsEEEEPS5_SI_SI_NS9_7greaterIsEEEE10hipError_tPvRmT0_T1_T2_T3_T4_T5_mmT6_P12ihipStream_tbEUlT_E_NS1_11comp_targetILNS1_3genE10ELNS1_11target_archE1201ELNS1_3gpuE5ELNS1_3repE0EEENS1_30default_config_static_selectorELNS0_4arch9wavefront6targetE1EEEvSP_ ; -- Begin function _ZN7rocprim17ROCPRIM_400000_NS6detail17trampoline_kernelINS0_14default_configENS1_21merge_config_selectorIsNS0_10empty_typeEEEZNS1_10merge_implIS3_N6thrust23THRUST_200600_302600_NS6detail15normal_iteratorINS9_10device_ptrIKsEEEESF_NSB_INSC_IsEEEEPS5_SI_SI_NS9_7greaterIsEEEE10hipError_tPvRmT0_T1_T2_T3_T4_T5_mmT6_P12ihipStream_tbEUlT_E_NS1_11comp_targetILNS1_3genE10ELNS1_11target_archE1201ELNS1_3gpuE5ELNS1_3repE0EEENS1_30default_config_static_selectorELNS0_4arch9wavefront6targetE1EEEvSP_
	.globl	_ZN7rocprim17ROCPRIM_400000_NS6detail17trampoline_kernelINS0_14default_configENS1_21merge_config_selectorIsNS0_10empty_typeEEEZNS1_10merge_implIS3_N6thrust23THRUST_200600_302600_NS6detail15normal_iteratorINS9_10device_ptrIKsEEEESF_NSB_INSC_IsEEEEPS5_SI_SI_NS9_7greaterIsEEEE10hipError_tPvRmT0_T1_T2_T3_T4_T5_mmT6_P12ihipStream_tbEUlT_E_NS1_11comp_targetILNS1_3genE10ELNS1_11target_archE1201ELNS1_3gpuE5ELNS1_3repE0EEENS1_30default_config_static_selectorELNS0_4arch9wavefront6targetE1EEEvSP_
	.p2align	8
	.type	_ZN7rocprim17ROCPRIM_400000_NS6detail17trampoline_kernelINS0_14default_configENS1_21merge_config_selectorIsNS0_10empty_typeEEEZNS1_10merge_implIS3_N6thrust23THRUST_200600_302600_NS6detail15normal_iteratorINS9_10device_ptrIKsEEEESF_NSB_INSC_IsEEEEPS5_SI_SI_NS9_7greaterIsEEEE10hipError_tPvRmT0_T1_T2_T3_T4_T5_mmT6_P12ihipStream_tbEUlT_E_NS1_11comp_targetILNS1_3genE10ELNS1_11target_archE1201ELNS1_3gpuE5ELNS1_3repE0EEENS1_30default_config_static_selectorELNS0_4arch9wavefront6targetE1EEEvSP_,@function
_ZN7rocprim17ROCPRIM_400000_NS6detail17trampoline_kernelINS0_14default_configENS1_21merge_config_selectorIsNS0_10empty_typeEEEZNS1_10merge_implIS3_N6thrust23THRUST_200600_302600_NS6detail15normal_iteratorINS9_10device_ptrIKsEEEESF_NSB_INSC_IsEEEEPS5_SI_SI_NS9_7greaterIsEEEE10hipError_tPvRmT0_T1_T2_T3_T4_T5_mmT6_P12ihipStream_tbEUlT_E_NS1_11comp_targetILNS1_3genE10ELNS1_11target_archE1201ELNS1_3gpuE5ELNS1_3repE0EEENS1_30default_config_static_selectorELNS0_4arch9wavefront6targetE1EEEvSP_: ; @_ZN7rocprim17ROCPRIM_400000_NS6detail17trampoline_kernelINS0_14default_configENS1_21merge_config_selectorIsNS0_10empty_typeEEEZNS1_10merge_implIS3_N6thrust23THRUST_200600_302600_NS6detail15normal_iteratorINS9_10device_ptrIKsEEEESF_NSB_INSC_IsEEEEPS5_SI_SI_NS9_7greaterIsEEEE10hipError_tPvRmT0_T1_T2_T3_T4_T5_mmT6_P12ihipStream_tbEUlT_E_NS1_11comp_targetILNS1_3genE10ELNS1_11target_archE1201ELNS1_3gpuE5ELNS1_3repE0EEENS1_30default_config_static_selectorELNS0_4arch9wavefront6targetE1EEEvSP_
; %bb.0:
	.section	.rodata,"a",@progbits
	.p2align	6, 0x0
	.amdhsa_kernel _ZN7rocprim17ROCPRIM_400000_NS6detail17trampoline_kernelINS0_14default_configENS1_21merge_config_selectorIsNS0_10empty_typeEEEZNS1_10merge_implIS3_N6thrust23THRUST_200600_302600_NS6detail15normal_iteratorINS9_10device_ptrIKsEEEESF_NSB_INSC_IsEEEEPS5_SI_SI_NS9_7greaterIsEEEE10hipError_tPvRmT0_T1_T2_T3_T4_T5_mmT6_P12ihipStream_tbEUlT_E_NS1_11comp_targetILNS1_3genE10ELNS1_11target_archE1201ELNS1_3gpuE5ELNS1_3repE0EEENS1_30default_config_static_selectorELNS0_4arch9wavefront6targetE1EEEvSP_
		.amdhsa_group_segment_fixed_size 0
		.amdhsa_private_segment_fixed_size 0
		.amdhsa_kernarg_size 48
		.amdhsa_user_sgpr_count 6
		.amdhsa_user_sgpr_private_segment_buffer 1
		.amdhsa_user_sgpr_dispatch_ptr 0
		.amdhsa_user_sgpr_queue_ptr 0
		.amdhsa_user_sgpr_kernarg_segment_ptr 1
		.amdhsa_user_sgpr_dispatch_id 0
		.amdhsa_user_sgpr_flat_scratch_init 0
		.amdhsa_user_sgpr_kernarg_preload_length 0
		.amdhsa_user_sgpr_kernarg_preload_offset 0
		.amdhsa_user_sgpr_private_segment_size 0
		.amdhsa_uses_dynamic_stack 0
		.amdhsa_system_sgpr_private_segment_wavefront_offset 0
		.amdhsa_system_sgpr_workgroup_id_x 1
		.amdhsa_system_sgpr_workgroup_id_y 0
		.amdhsa_system_sgpr_workgroup_id_z 0
		.amdhsa_system_sgpr_workgroup_info 0
		.amdhsa_system_vgpr_workitem_id 0
		.amdhsa_next_free_vgpr 1
		.amdhsa_next_free_sgpr 0
		.amdhsa_accum_offset 4
		.amdhsa_reserve_vcc 0
		.amdhsa_reserve_flat_scratch 0
		.amdhsa_float_round_mode_32 0
		.amdhsa_float_round_mode_16_64 0
		.amdhsa_float_denorm_mode_32 3
		.amdhsa_float_denorm_mode_16_64 3
		.amdhsa_dx10_clamp 1
		.amdhsa_ieee_mode 1
		.amdhsa_fp16_overflow 0
		.amdhsa_tg_split 0
		.amdhsa_exception_fp_ieee_invalid_op 0
		.amdhsa_exception_fp_denorm_src 0
		.amdhsa_exception_fp_ieee_div_zero 0
		.amdhsa_exception_fp_ieee_overflow 0
		.amdhsa_exception_fp_ieee_underflow 0
		.amdhsa_exception_fp_ieee_inexact 0
		.amdhsa_exception_int_div_zero 0
	.end_amdhsa_kernel
	.section	.text._ZN7rocprim17ROCPRIM_400000_NS6detail17trampoline_kernelINS0_14default_configENS1_21merge_config_selectorIsNS0_10empty_typeEEEZNS1_10merge_implIS3_N6thrust23THRUST_200600_302600_NS6detail15normal_iteratorINS9_10device_ptrIKsEEEESF_NSB_INSC_IsEEEEPS5_SI_SI_NS9_7greaterIsEEEE10hipError_tPvRmT0_T1_T2_T3_T4_T5_mmT6_P12ihipStream_tbEUlT_E_NS1_11comp_targetILNS1_3genE10ELNS1_11target_archE1201ELNS1_3gpuE5ELNS1_3repE0EEENS1_30default_config_static_selectorELNS0_4arch9wavefront6targetE1EEEvSP_,"axG",@progbits,_ZN7rocprim17ROCPRIM_400000_NS6detail17trampoline_kernelINS0_14default_configENS1_21merge_config_selectorIsNS0_10empty_typeEEEZNS1_10merge_implIS3_N6thrust23THRUST_200600_302600_NS6detail15normal_iteratorINS9_10device_ptrIKsEEEESF_NSB_INSC_IsEEEEPS5_SI_SI_NS9_7greaterIsEEEE10hipError_tPvRmT0_T1_T2_T3_T4_T5_mmT6_P12ihipStream_tbEUlT_E_NS1_11comp_targetILNS1_3genE10ELNS1_11target_archE1201ELNS1_3gpuE5ELNS1_3repE0EEENS1_30default_config_static_selectorELNS0_4arch9wavefront6targetE1EEEvSP_,comdat
.Lfunc_end592:
	.size	_ZN7rocprim17ROCPRIM_400000_NS6detail17trampoline_kernelINS0_14default_configENS1_21merge_config_selectorIsNS0_10empty_typeEEEZNS1_10merge_implIS3_N6thrust23THRUST_200600_302600_NS6detail15normal_iteratorINS9_10device_ptrIKsEEEESF_NSB_INSC_IsEEEEPS5_SI_SI_NS9_7greaterIsEEEE10hipError_tPvRmT0_T1_T2_T3_T4_T5_mmT6_P12ihipStream_tbEUlT_E_NS1_11comp_targetILNS1_3genE10ELNS1_11target_archE1201ELNS1_3gpuE5ELNS1_3repE0EEENS1_30default_config_static_selectorELNS0_4arch9wavefront6targetE1EEEvSP_, .Lfunc_end592-_ZN7rocprim17ROCPRIM_400000_NS6detail17trampoline_kernelINS0_14default_configENS1_21merge_config_selectorIsNS0_10empty_typeEEEZNS1_10merge_implIS3_N6thrust23THRUST_200600_302600_NS6detail15normal_iteratorINS9_10device_ptrIKsEEEESF_NSB_INSC_IsEEEEPS5_SI_SI_NS9_7greaterIsEEEE10hipError_tPvRmT0_T1_T2_T3_T4_T5_mmT6_P12ihipStream_tbEUlT_E_NS1_11comp_targetILNS1_3genE10ELNS1_11target_archE1201ELNS1_3gpuE5ELNS1_3repE0EEENS1_30default_config_static_selectorELNS0_4arch9wavefront6targetE1EEEvSP_
                                        ; -- End function
	.section	.AMDGPU.csdata,"",@progbits
; Kernel info:
; codeLenInByte = 0
; NumSgprs: 4
; NumVgprs: 0
; NumAgprs: 0
; TotalNumVgprs: 0
; ScratchSize: 0
; MemoryBound: 0
; FloatMode: 240
; IeeeMode: 1
; LDSByteSize: 0 bytes/workgroup (compile time only)
; SGPRBlocks: 0
; VGPRBlocks: 0
; NumSGPRsForWavesPerEU: 4
; NumVGPRsForWavesPerEU: 1
; AccumOffset: 4
; Occupancy: 8
; WaveLimiterHint : 0
; COMPUTE_PGM_RSRC2:SCRATCH_EN: 0
; COMPUTE_PGM_RSRC2:USER_SGPR: 6
; COMPUTE_PGM_RSRC2:TRAP_HANDLER: 0
; COMPUTE_PGM_RSRC2:TGID_X_EN: 1
; COMPUTE_PGM_RSRC2:TGID_Y_EN: 0
; COMPUTE_PGM_RSRC2:TGID_Z_EN: 0
; COMPUTE_PGM_RSRC2:TIDIG_COMP_CNT: 0
; COMPUTE_PGM_RSRC3_GFX90A:ACCUM_OFFSET: 0
; COMPUTE_PGM_RSRC3_GFX90A:TG_SPLIT: 0
	.section	.text._ZN7rocprim17ROCPRIM_400000_NS6detail17trampoline_kernelINS0_14default_configENS1_21merge_config_selectorIsNS0_10empty_typeEEEZNS1_10merge_implIS3_N6thrust23THRUST_200600_302600_NS6detail15normal_iteratorINS9_10device_ptrIKsEEEESF_NSB_INSC_IsEEEEPS5_SI_SI_NS9_7greaterIsEEEE10hipError_tPvRmT0_T1_T2_T3_T4_T5_mmT6_P12ihipStream_tbEUlT_E_NS1_11comp_targetILNS1_3genE10ELNS1_11target_archE1200ELNS1_3gpuE4ELNS1_3repE0EEENS1_30default_config_static_selectorELNS0_4arch9wavefront6targetE1EEEvSP_,"axG",@progbits,_ZN7rocprim17ROCPRIM_400000_NS6detail17trampoline_kernelINS0_14default_configENS1_21merge_config_selectorIsNS0_10empty_typeEEEZNS1_10merge_implIS3_N6thrust23THRUST_200600_302600_NS6detail15normal_iteratorINS9_10device_ptrIKsEEEESF_NSB_INSC_IsEEEEPS5_SI_SI_NS9_7greaterIsEEEE10hipError_tPvRmT0_T1_T2_T3_T4_T5_mmT6_P12ihipStream_tbEUlT_E_NS1_11comp_targetILNS1_3genE10ELNS1_11target_archE1200ELNS1_3gpuE4ELNS1_3repE0EEENS1_30default_config_static_selectorELNS0_4arch9wavefront6targetE1EEEvSP_,comdat
	.protected	_ZN7rocprim17ROCPRIM_400000_NS6detail17trampoline_kernelINS0_14default_configENS1_21merge_config_selectorIsNS0_10empty_typeEEEZNS1_10merge_implIS3_N6thrust23THRUST_200600_302600_NS6detail15normal_iteratorINS9_10device_ptrIKsEEEESF_NSB_INSC_IsEEEEPS5_SI_SI_NS9_7greaterIsEEEE10hipError_tPvRmT0_T1_T2_T3_T4_T5_mmT6_P12ihipStream_tbEUlT_E_NS1_11comp_targetILNS1_3genE10ELNS1_11target_archE1200ELNS1_3gpuE4ELNS1_3repE0EEENS1_30default_config_static_selectorELNS0_4arch9wavefront6targetE1EEEvSP_ ; -- Begin function _ZN7rocprim17ROCPRIM_400000_NS6detail17trampoline_kernelINS0_14default_configENS1_21merge_config_selectorIsNS0_10empty_typeEEEZNS1_10merge_implIS3_N6thrust23THRUST_200600_302600_NS6detail15normal_iteratorINS9_10device_ptrIKsEEEESF_NSB_INSC_IsEEEEPS5_SI_SI_NS9_7greaterIsEEEE10hipError_tPvRmT0_T1_T2_T3_T4_T5_mmT6_P12ihipStream_tbEUlT_E_NS1_11comp_targetILNS1_3genE10ELNS1_11target_archE1200ELNS1_3gpuE4ELNS1_3repE0EEENS1_30default_config_static_selectorELNS0_4arch9wavefront6targetE1EEEvSP_
	.globl	_ZN7rocprim17ROCPRIM_400000_NS6detail17trampoline_kernelINS0_14default_configENS1_21merge_config_selectorIsNS0_10empty_typeEEEZNS1_10merge_implIS3_N6thrust23THRUST_200600_302600_NS6detail15normal_iteratorINS9_10device_ptrIKsEEEESF_NSB_INSC_IsEEEEPS5_SI_SI_NS9_7greaterIsEEEE10hipError_tPvRmT0_T1_T2_T3_T4_T5_mmT6_P12ihipStream_tbEUlT_E_NS1_11comp_targetILNS1_3genE10ELNS1_11target_archE1200ELNS1_3gpuE4ELNS1_3repE0EEENS1_30default_config_static_selectorELNS0_4arch9wavefront6targetE1EEEvSP_
	.p2align	8
	.type	_ZN7rocprim17ROCPRIM_400000_NS6detail17trampoline_kernelINS0_14default_configENS1_21merge_config_selectorIsNS0_10empty_typeEEEZNS1_10merge_implIS3_N6thrust23THRUST_200600_302600_NS6detail15normal_iteratorINS9_10device_ptrIKsEEEESF_NSB_INSC_IsEEEEPS5_SI_SI_NS9_7greaterIsEEEE10hipError_tPvRmT0_T1_T2_T3_T4_T5_mmT6_P12ihipStream_tbEUlT_E_NS1_11comp_targetILNS1_3genE10ELNS1_11target_archE1200ELNS1_3gpuE4ELNS1_3repE0EEENS1_30default_config_static_selectorELNS0_4arch9wavefront6targetE1EEEvSP_,@function
_ZN7rocprim17ROCPRIM_400000_NS6detail17trampoline_kernelINS0_14default_configENS1_21merge_config_selectorIsNS0_10empty_typeEEEZNS1_10merge_implIS3_N6thrust23THRUST_200600_302600_NS6detail15normal_iteratorINS9_10device_ptrIKsEEEESF_NSB_INSC_IsEEEEPS5_SI_SI_NS9_7greaterIsEEEE10hipError_tPvRmT0_T1_T2_T3_T4_T5_mmT6_P12ihipStream_tbEUlT_E_NS1_11comp_targetILNS1_3genE10ELNS1_11target_archE1200ELNS1_3gpuE4ELNS1_3repE0EEENS1_30default_config_static_selectorELNS0_4arch9wavefront6targetE1EEEvSP_: ; @_ZN7rocprim17ROCPRIM_400000_NS6detail17trampoline_kernelINS0_14default_configENS1_21merge_config_selectorIsNS0_10empty_typeEEEZNS1_10merge_implIS3_N6thrust23THRUST_200600_302600_NS6detail15normal_iteratorINS9_10device_ptrIKsEEEESF_NSB_INSC_IsEEEEPS5_SI_SI_NS9_7greaterIsEEEE10hipError_tPvRmT0_T1_T2_T3_T4_T5_mmT6_P12ihipStream_tbEUlT_E_NS1_11comp_targetILNS1_3genE10ELNS1_11target_archE1200ELNS1_3gpuE4ELNS1_3repE0EEENS1_30default_config_static_selectorELNS0_4arch9wavefront6targetE1EEEvSP_
; %bb.0:
	.section	.rodata,"a",@progbits
	.p2align	6, 0x0
	.amdhsa_kernel _ZN7rocprim17ROCPRIM_400000_NS6detail17trampoline_kernelINS0_14default_configENS1_21merge_config_selectorIsNS0_10empty_typeEEEZNS1_10merge_implIS3_N6thrust23THRUST_200600_302600_NS6detail15normal_iteratorINS9_10device_ptrIKsEEEESF_NSB_INSC_IsEEEEPS5_SI_SI_NS9_7greaterIsEEEE10hipError_tPvRmT0_T1_T2_T3_T4_T5_mmT6_P12ihipStream_tbEUlT_E_NS1_11comp_targetILNS1_3genE10ELNS1_11target_archE1200ELNS1_3gpuE4ELNS1_3repE0EEENS1_30default_config_static_selectorELNS0_4arch9wavefront6targetE1EEEvSP_
		.amdhsa_group_segment_fixed_size 0
		.amdhsa_private_segment_fixed_size 0
		.amdhsa_kernarg_size 48
		.amdhsa_user_sgpr_count 6
		.amdhsa_user_sgpr_private_segment_buffer 1
		.amdhsa_user_sgpr_dispatch_ptr 0
		.amdhsa_user_sgpr_queue_ptr 0
		.amdhsa_user_sgpr_kernarg_segment_ptr 1
		.amdhsa_user_sgpr_dispatch_id 0
		.amdhsa_user_sgpr_flat_scratch_init 0
		.amdhsa_user_sgpr_kernarg_preload_length 0
		.amdhsa_user_sgpr_kernarg_preload_offset 0
		.amdhsa_user_sgpr_private_segment_size 0
		.amdhsa_uses_dynamic_stack 0
		.amdhsa_system_sgpr_private_segment_wavefront_offset 0
		.amdhsa_system_sgpr_workgroup_id_x 1
		.amdhsa_system_sgpr_workgroup_id_y 0
		.amdhsa_system_sgpr_workgroup_id_z 0
		.amdhsa_system_sgpr_workgroup_info 0
		.amdhsa_system_vgpr_workitem_id 0
		.amdhsa_next_free_vgpr 1
		.amdhsa_next_free_sgpr 0
		.amdhsa_accum_offset 4
		.amdhsa_reserve_vcc 0
		.amdhsa_reserve_flat_scratch 0
		.amdhsa_float_round_mode_32 0
		.amdhsa_float_round_mode_16_64 0
		.amdhsa_float_denorm_mode_32 3
		.amdhsa_float_denorm_mode_16_64 3
		.amdhsa_dx10_clamp 1
		.amdhsa_ieee_mode 1
		.amdhsa_fp16_overflow 0
		.amdhsa_tg_split 0
		.amdhsa_exception_fp_ieee_invalid_op 0
		.amdhsa_exception_fp_denorm_src 0
		.amdhsa_exception_fp_ieee_div_zero 0
		.amdhsa_exception_fp_ieee_overflow 0
		.amdhsa_exception_fp_ieee_underflow 0
		.amdhsa_exception_fp_ieee_inexact 0
		.amdhsa_exception_int_div_zero 0
	.end_amdhsa_kernel
	.section	.text._ZN7rocprim17ROCPRIM_400000_NS6detail17trampoline_kernelINS0_14default_configENS1_21merge_config_selectorIsNS0_10empty_typeEEEZNS1_10merge_implIS3_N6thrust23THRUST_200600_302600_NS6detail15normal_iteratorINS9_10device_ptrIKsEEEESF_NSB_INSC_IsEEEEPS5_SI_SI_NS9_7greaterIsEEEE10hipError_tPvRmT0_T1_T2_T3_T4_T5_mmT6_P12ihipStream_tbEUlT_E_NS1_11comp_targetILNS1_3genE10ELNS1_11target_archE1200ELNS1_3gpuE4ELNS1_3repE0EEENS1_30default_config_static_selectorELNS0_4arch9wavefront6targetE1EEEvSP_,"axG",@progbits,_ZN7rocprim17ROCPRIM_400000_NS6detail17trampoline_kernelINS0_14default_configENS1_21merge_config_selectorIsNS0_10empty_typeEEEZNS1_10merge_implIS3_N6thrust23THRUST_200600_302600_NS6detail15normal_iteratorINS9_10device_ptrIKsEEEESF_NSB_INSC_IsEEEEPS5_SI_SI_NS9_7greaterIsEEEE10hipError_tPvRmT0_T1_T2_T3_T4_T5_mmT6_P12ihipStream_tbEUlT_E_NS1_11comp_targetILNS1_3genE10ELNS1_11target_archE1200ELNS1_3gpuE4ELNS1_3repE0EEENS1_30default_config_static_selectorELNS0_4arch9wavefront6targetE1EEEvSP_,comdat
.Lfunc_end593:
	.size	_ZN7rocprim17ROCPRIM_400000_NS6detail17trampoline_kernelINS0_14default_configENS1_21merge_config_selectorIsNS0_10empty_typeEEEZNS1_10merge_implIS3_N6thrust23THRUST_200600_302600_NS6detail15normal_iteratorINS9_10device_ptrIKsEEEESF_NSB_INSC_IsEEEEPS5_SI_SI_NS9_7greaterIsEEEE10hipError_tPvRmT0_T1_T2_T3_T4_T5_mmT6_P12ihipStream_tbEUlT_E_NS1_11comp_targetILNS1_3genE10ELNS1_11target_archE1200ELNS1_3gpuE4ELNS1_3repE0EEENS1_30default_config_static_selectorELNS0_4arch9wavefront6targetE1EEEvSP_, .Lfunc_end593-_ZN7rocprim17ROCPRIM_400000_NS6detail17trampoline_kernelINS0_14default_configENS1_21merge_config_selectorIsNS0_10empty_typeEEEZNS1_10merge_implIS3_N6thrust23THRUST_200600_302600_NS6detail15normal_iteratorINS9_10device_ptrIKsEEEESF_NSB_INSC_IsEEEEPS5_SI_SI_NS9_7greaterIsEEEE10hipError_tPvRmT0_T1_T2_T3_T4_T5_mmT6_P12ihipStream_tbEUlT_E_NS1_11comp_targetILNS1_3genE10ELNS1_11target_archE1200ELNS1_3gpuE4ELNS1_3repE0EEENS1_30default_config_static_selectorELNS0_4arch9wavefront6targetE1EEEvSP_
                                        ; -- End function
	.section	.AMDGPU.csdata,"",@progbits
; Kernel info:
; codeLenInByte = 0
; NumSgprs: 4
; NumVgprs: 0
; NumAgprs: 0
; TotalNumVgprs: 0
; ScratchSize: 0
; MemoryBound: 0
; FloatMode: 240
; IeeeMode: 1
; LDSByteSize: 0 bytes/workgroup (compile time only)
; SGPRBlocks: 0
; VGPRBlocks: 0
; NumSGPRsForWavesPerEU: 4
; NumVGPRsForWavesPerEU: 1
; AccumOffset: 4
; Occupancy: 8
; WaveLimiterHint : 0
; COMPUTE_PGM_RSRC2:SCRATCH_EN: 0
; COMPUTE_PGM_RSRC2:USER_SGPR: 6
; COMPUTE_PGM_RSRC2:TRAP_HANDLER: 0
; COMPUTE_PGM_RSRC2:TGID_X_EN: 1
; COMPUTE_PGM_RSRC2:TGID_Y_EN: 0
; COMPUTE_PGM_RSRC2:TGID_Z_EN: 0
; COMPUTE_PGM_RSRC2:TIDIG_COMP_CNT: 0
; COMPUTE_PGM_RSRC3_GFX90A:ACCUM_OFFSET: 0
; COMPUTE_PGM_RSRC3_GFX90A:TG_SPLIT: 0
	.section	.text._ZN7rocprim17ROCPRIM_400000_NS6detail17trampoline_kernelINS0_14default_configENS1_21merge_config_selectorIsNS0_10empty_typeEEEZNS1_10merge_implIS3_N6thrust23THRUST_200600_302600_NS6detail15normal_iteratorINS9_10device_ptrIKsEEEESF_NSB_INSC_IsEEEEPS5_SI_SI_NS9_7greaterIsEEEE10hipError_tPvRmT0_T1_T2_T3_T4_T5_mmT6_P12ihipStream_tbEUlT_E_NS1_11comp_targetILNS1_3genE9ELNS1_11target_archE1100ELNS1_3gpuE3ELNS1_3repE0EEENS1_30default_config_static_selectorELNS0_4arch9wavefront6targetE1EEEvSP_,"axG",@progbits,_ZN7rocprim17ROCPRIM_400000_NS6detail17trampoline_kernelINS0_14default_configENS1_21merge_config_selectorIsNS0_10empty_typeEEEZNS1_10merge_implIS3_N6thrust23THRUST_200600_302600_NS6detail15normal_iteratorINS9_10device_ptrIKsEEEESF_NSB_INSC_IsEEEEPS5_SI_SI_NS9_7greaterIsEEEE10hipError_tPvRmT0_T1_T2_T3_T4_T5_mmT6_P12ihipStream_tbEUlT_E_NS1_11comp_targetILNS1_3genE9ELNS1_11target_archE1100ELNS1_3gpuE3ELNS1_3repE0EEENS1_30default_config_static_selectorELNS0_4arch9wavefront6targetE1EEEvSP_,comdat
	.protected	_ZN7rocprim17ROCPRIM_400000_NS6detail17trampoline_kernelINS0_14default_configENS1_21merge_config_selectorIsNS0_10empty_typeEEEZNS1_10merge_implIS3_N6thrust23THRUST_200600_302600_NS6detail15normal_iteratorINS9_10device_ptrIKsEEEESF_NSB_INSC_IsEEEEPS5_SI_SI_NS9_7greaterIsEEEE10hipError_tPvRmT0_T1_T2_T3_T4_T5_mmT6_P12ihipStream_tbEUlT_E_NS1_11comp_targetILNS1_3genE9ELNS1_11target_archE1100ELNS1_3gpuE3ELNS1_3repE0EEENS1_30default_config_static_selectorELNS0_4arch9wavefront6targetE1EEEvSP_ ; -- Begin function _ZN7rocprim17ROCPRIM_400000_NS6detail17trampoline_kernelINS0_14default_configENS1_21merge_config_selectorIsNS0_10empty_typeEEEZNS1_10merge_implIS3_N6thrust23THRUST_200600_302600_NS6detail15normal_iteratorINS9_10device_ptrIKsEEEESF_NSB_INSC_IsEEEEPS5_SI_SI_NS9_7greaterIsEEEE10hipError_tPvRmT0_T1_T2_T3_T4_T5_mmT6_P12ihipStream_tbEUlT_E_NS1_11comp_targetILNS1_3genE9ELNS1_11target_archE1100ELNS1_3gpuE3ELNS1_3repE0EEENS1_30default_config_static_selectorELNS0_4arch9wavefront6targetE1EEEvSP_
	.globl	_ZN7rocprim17ROCPRIM_400000_NS6detail17trampoline_kernelINS0_14default_configENS1_21merge_config_selectorIsNS0_10empty_typeEEEZNS1_10merge_implIS3_N6thrust23THRUST_200600_302600_NS6detail15normal_iteratorINS9_10device_ptrIKsEEEESF_NSB_INSC_IsEEEEPS5_SI_SI_NS9_7greaterIsEEEE10hipError_tPvRmT0_T1_T2_T3_T4_T5_mmT6_P12ihipStream_tbEUlT_E_NS1_11comp_targetILNS1_3genE9ELNS1_11target_archE1100ELNS1_3gpuE3ELNS1_3repE0EEENS1_30default_config_static_selectorELNS0_4arch9wavefront6targetE1EEEvSP_
	.p2align	8
	.type	_ZN7rocprim17ROCPRIM_400000_NS6detail17trampoline_kernelINS0_14default_configENS1_21merge_config_selectorIsNS0_10empty_typeEEEZNS1_10merge_implIS3_N6thrust23THRUST_200600_302600_NS6detail15normal_iteratorINS9_10device_ptrIKsEEEESF_NSB_INSC_IsEEEEPS5_SI_SI_NS9_7greaterIsEEEE10hipError_tPvRmT0_T1_T2_T3_T4_T5_mmT6_P12ihipStream_tbEUlT_E_NS1_11comp_targetILNS1_3genE9ELNS1_11target_archE1100ELNS1_3gpuE3ELNS1_3repE0EEENS1_30default_config_static_selectorELNS0_4arch9wavefront6targetE1EEEvSP_,@function
_ZN7rocprim17ROCPRIM_400000_NS6detail17trampoline_kernelINS0_14default_configENS1_21merge_config_selectorIsNS0_10empty_typeEEEZNS1_10merge_implIS3_N6thrust23THRUST_200600_302600_NS6detail15normal_iteratorINS9_10device_ptrIKsEEEESF_NSB_INSC_IsEEEEPS5_SI_SI_NS9_7greaterIsEEEE10hipError_tPvRmT0_T1_T2_T3_T4_T5_mmT6_P12ihipStream_tbEUlT_E_NS1_11comp_targetILNS1_3genE9ELNS1_11target_archE1100ELNS1_3gpuE3ELNS1_3repE0EEENS1_30default_config_static_selectorELNS0_4arch9wavefront6targetE1EEEvSP_: ; @_ZN7rocprim17ROCPRIM_400000_NS6detail17trampoline_kernelINS0_14default_configENS1_21merge_config_selectorIsNS0_10empty_typeEEEZNS1_10merge_implIS3_N6thrust23THRUST_200600_302600_NS6detail15normal_iteratorINS9_10device_ptrIKsEEEESF_NSB_INSC_IsEEEEPS5_SI_SI_NS9_7greaterIsEEEE10hipError_tPvRmT0_T1_T2_T3_T4_T5_mmT6_P12ihipStream_tbEUlT_E_NS1_11comp_targetILNS1_3genE9ELNS1_11target_archE1100ELNS1_3gpuE3ELNS1_3repE0EEENS1_30default_config_static_selectorELNS0_4arch9wavefront6targetE1EEEvSP_
; %bb.0:
	.section	.rodata,"a",@progbits
	.p2align	6, 0x0
	.amdhsa_kernel _ZN7rocprim17ROCPRIM_400000_NS6detail17trampoline_kernelINS0_14default_configENS1_21merge_config_selectorIsNS0_10empty_typeEEEZNS1_10merge_implIS3_N6thrust23THRUST_200600_302600_NS6detail15normal_iteratorINS9_10device_ptrIKsEEEESF_NSB_INSC_IsEEEEPS5_SI_SI_NS9_7greaterIsEEEE10hipError_tPvRmT0_T1_T2_T3_T4_T5_mmT6_P12ihipStream_tbEUlT_E_NS1_11comp_targetILNS1_3genE9ELNS1_11target_archE1100ELNS1_3gpuE3ELNS1_3repE0EEENS1_30default_config_static_selectorELNS0_4arch9wavefront6targetE1EEEvSP_
		.amdhsa_group_segment_fixed_size 0
		.amdhsa_private_segment_fixed_size 0
		.amdhsa_kernarg_size 48
		.amdhsa_user_sgpr_count 6
		.amdhsa_user_sgpr_private_segment_buffer 1
		.amdhsa_user_sgpr_dispatch_ptr 0
		.amdhsa_user_sgpr_queue_ptr 0
		.amdhsa_user_sgpr_kernarg_segment_ptr 1
		.amdhsa_user_sgpr_dispatch_id 0
		.amdhsa_user_sgpr_flat_scratch_init 0
		.amdhsa_user_sgpr_kernarg_preload_length 0
		.amdhsa_user_sgpr_kernarg_preload_offset 0
		.amdhsa_user_sgpr_private_segment_size 0
		.amdhsa_uses_dynamic_stack 0
		.amdhsa_system_sgpr_private_segment_wavefront_offset 0
		.amdhsa_system_sgpr_workgroup_id_x 1
		.amdhsa_system_sgpr_workgroup_id_y 0
		.amdhsa_system_sgpr_workgroup_id_z 0
		.amdhsa_system_sgpr_workgroup_info 0
		.amdhsa_system_vgpr_workitem_id 0
		.amdhsa_next_free_vgpr 1
		.amdhsa_next_free_sgpr 0
		.amdhsa_accum_offset 4
		.amdhsa_reserve_vcc 0
		.amdhsa_reserve_flat_scratch 0
		.amdhsa_float_round_mode_32 0
		.amdhsa_float_round_mode_16_64 0
		.amdhsa_float_denorm_mode_32 3
		.amdhsa_float_denorm_mode_16_64 3
		.amdhsa_dx10_clamp 1
		.amdhsa_ieee_mode 1
		.amdhsa_fp16_overflow 0
		.amdhsa_tg_split 0
		.amdhsa_exception_fp_ieee_invalid_op 0
		.amdhsa_exception_fp_denorm_src 0
		.amdhsa_exception_fp_ieee_div_zero 0
		.amdhsa_exception_fp_ieee_overflow 0
		.amdhsa_exception_fp_ieee_underflow 0
		.amdhsa_exception_fp_ieee_inexact 0
		.amdhsa_exception_int_div_zero 0
	.end_amdhsa_kernel
	.section	.text._ZN7rocprim17ROCPRIM_400000_NS6detail17trampoline_kernelINS0_14default_configENS1_21merge_config_selectorIsNS0_10empty_typeEEEZNS1_10merge_implIS3_N6thrust23THRUST_200600_302600_NS6detail15normal_iteratorINS9_10device_ptrIKsEEEESF_NSB_INSC_IsEEEEPS5_SI_SI_NS9_7greaterIsEEEE10hipError_tPvRmT0_T1_T2_T3_T4_T5_mmT6_P12ihipStream_tbEUlT_E_NS1_11comp_targetILNS1_3genE9ELNS1_11target_archE1100ELNS1_3gpuE3ELNS1_3repE0EEENS1_30default_config_static_selectorELNS0_4arch9wavefront6targetE1EEEvSP_,"axG",@progbits,_ZN7rocprim17ROCPRIM_400000_NS6detail17trampoline_kernelINS0_14default_configENS1_21merge_config_selectorIsNS0_10empty_typeEEEZNS1_10merge_implIS3_N6thrust23THRUST_200600_302600_NS6detail15normal_iteratorINS9_10device_ptrIKsEEEESF_NSB_INSC_IsEEEEPS5_SI_SI_NS9_7greaterIsEEEE10hipError_tPvRmT0_T1_T2_T3_T4_T5_mmT6_P12ihipStream_tbEUlT_E_NS1_11comp_targetILNS1_3genE9ELNS1_11target_archE1100ELNS1_3gpuE3ELNS1_3repE0EEENS1_30default_config_static_selectorELNS0_4arch9wavefront6targetE1EEEvSP_,comdat
.Lfunc_end594:
	.size	_ZN7rocprim17ROCPRIM_400000_NS6detail17trampoline_kernelINS0_14default_configENS1_21merge_config_selectorIsNS0_10empty_typeEEEZNS1_10merge_implIS3_N6thrust23THRUST_200600_302600_NS6detail15normal_iteratorINS9_10device_ptrIKsEEEESF_NSB_INSC_IsEEEEPS5_SI_SI_NS9_7greaterIsEEEE10hipError_tPvRmT0_T1_T2_T3_T4_T5_mmT6_P12ihipStream_tbEUlT_E_NS1_11comp_targetILNS1_3genE9ELNS1_11target_archE1100ELNS1_3gpuE3ELNS1_3repE0EEENS1_30default_config_static_selectorELNS0_4arch9wavefront6targetE1EEEvSP_, .Lfunc_end594-_ZN7rocprim17ROCPRIM_400000_NS6detail17trampoline_kernelINS0_14default_configENS1_21merge_config_selectorIsNS0_10empty_typeEEEZNS1_10merge_implIS3_N6thrust23THRUST_200600_302600_NS6detail15normal_iteratorINS9_10device_ptrIKsEEEESF_NSB_INSC_IsEEEEPS5_SI_SI_NS9_7greaterIsEEEE10hipError_tPvRmT0_T1_T2_T3_T4_T5_mmT6_P12ihipStream_tbEUlT_E_NS1_11comp_targetILNS1_3genE9ELNS1_11target_archE1100ELNS1_3gpuE3ELNS1_3repE0EEENS1_30default_config_static_selectorELNS0_4arch9wavefront6targetE1EEEvSP_
                                        ; -- End function
	.section	.AMDGPU.csdata,"",@progbits
; Kernel info:
; codeLenInByte = 0
; NumSgprs: 4
; NumVgprs: 0
; NumAgprs: 0
; TotalNumVgprs: 0
; ScratchSize: 0
; MemoryBound: 0
; FloatMode: 240
; IeeeMode: 1
; LDSByteSize: 0 bytes/workgroup (compile time only)
; SGPRBlocks: 0
; VGPRBlocks: 0
; NumSGPRsForWavesPerEU: 4
; NumVGPRsForWavesPerEU: 1
; AccumOffset: 4
; Occupancy: 8
; WaveLimiterHint : 0
; COMPUTE_PGM_RSRC2:SCRATCH_EN: 0
; COMPUTE_PGM_RSRC2:USER_SGPR: 6
; COMPUTE_PGM_RSRC2:TRAP_HANDLER: 0
; COMPUTE_PGM_RSRC2:TGID_X_EN: 1
; COMPUTE_PGM_RSRC2:TGID_Y_EN: 0
; COMPUTE_PGM_RSRC2:TGID_Z_EN: 0
; COMPUTE_PGM_RSRC2:TIDIG_COMP_CNT: 0
; COMPUTE_PGM_RSRC3_GFX90A:ACCUM_OFFSET: 0
; COMPUTE_PGM_RSRC3_GFX90A:TG_SPLIT: 0
	.section	.text._ZN7rocprim17ROCPRIM_400000_NS6detail17trampoline_kernelINS0_14default_configENS1_21merge_config_selectorIsNS0_10empty_typeEEEZNS1_10merge_implIS3_N6thrust23THRUST_200600_302600_NS6detail15normal_iteratorINS9_10device_ptrIKsEEEESF_NSB_INSC_IsEEEEPS5_SI_SI_NS9_7greaterIsEEEE10hipError_tPvRmT0_T1_T2_T3_T4_T5_mmT6_P12ihipStream_tbEUlT_E_NS1_11comp_targetILNS1_3genE8ELNS1_11target_archE1030ELNS1_3gpuE2ELNS1_3repE0EEENS1_30default_config_static_selectorELNS0_4arch9wavefront6targetE1EEEvSP_,"axG",@progbits,_ZN7rocprim17ROCPRIM_400000_NS6detail17trampoline_kernelINS0_14default_configENS1_21merge_config_selectorIsNS0_10empty_typeEEEZNS1_10merge_implIS3_N6thrust23THRUST_200600_302600_NS6detail15normal_iteratorINS9_10device_ptrIKsEEEESF_NSB_INSC_IsEEEEPS5_SI_SI_NS9_7greaterIsEEEE10hipError_tPvRmT0_T1_T2_T3_T4_T5_mmT6_P12ihipStream_tbEUlT_E_NS1_11comp_targetILNS1_3genE8ELNS1_11target_archE1030ELNS1_3gpuE2ELNS1_3repE0EEENS1_30default_config_static_selectorELNS0_4arch9wavefront6targetE1EEEvSP_,comdat
	.protected	_ZN7rocprim17ROCPRIM_400000_NS6detail17trampoline_kernelINS0_14default_configENS1_21merge_config_selectorIsNS0_10empty_typeEEEZNS1_10merge_implIS3_N6thrust23THRUST_200600_302600_NS6detail15normal_iteratorINS9_10device_ptrIKsEEEESF_NSB_INSC_IsEEEEPS5_SI_SI_NS9_7greaterIsEEEE10hipError_tPvRmT0_T1_T2_T3_T4_T5_mmT6_P12ihipStream_tbEUlT_E_NS1_11comp_targetILNS1_3genE8ELNS1_11target_archE1030ELNS1_3gpuE2ELNS1_3repE0EEENS1_30default_config_static_selectorELNS0_4arch9wavefront6targetE1EEEvSP_ ; -- Begin function _ZN7rocprim17ROCPRIM_400000_NS6detail17trampoline_kernelINS0_14default_configENS1_21merge_config_selectorIsNS0_10empty_typeEEEZNS1_10merge_implIS3_N6thrust23THRUST_200600_302600_NS6detail15normal_iteratorINS9_10device_ptrIKsEEEESF_NSB_INSC_IsEEEEPS5_SI_SI_NS9_7greaterIsEEEE10hipError_tPvRmT0_T1_T2_T3_T4_T5_mmT6_P12ihipStream_tbEUlT_E_NS1_11comp_targetILNS1_3genE8ELNS1_11target_archE1030ELNS1_3gpuE2ELNS1_3repE0EEENS1_30default_config_static_selectorELNS0_4arch9wavefront6targetE1EEEvSP_
	.globl	_ZN7rocprim17ROCPRIM_400000_NS6detail17trampoline_kernelINS0_14default_configENS1_21merge_config_selectorIsNS0_10empty_typeEEEZNS1_10merge_implIS3_N6thrust23THRUST_200600_302600_NS6detail15normal_iteratorINS9_10device_ptrIKsEEEESF_NSB_INSC_IsEEEEPS5_SI_SI_NS9_7greaterIsEEEE10hipError_tPvRmT0_T1_T2_T3_T4_T5_mmT6_P12ihipStream_tbEUlT_E_NS1_11comp_targetILNS1_3genE8ELNS1_11target_archE1030ELNS1_3gpuE2ELNS1_3repE0EEENS1_30default_config_static_selectorELNS0_4arch9wavefront6targetE1EEEvSP_
	.p2align	8
	.type	_ZN7rocprim17ROCPRIM_400000_NS6detail17trampoline_kernelINS0_14default_configENS1_21merge_config_selectorIsNS0_10empty_typeEEEZNS1_10merge_implIS3_N6thrust23THRUST_200600_302600_NS6detail15normal_iteratorINS9_10device_ptrIKsEEEESF_NSB_INSC_IsEEEEPS5_SI_SI_NS9_7greaterIsEEEE10hipError_tPvRmT0_T1_T2_T3_T4_T5_mmT6_P12ihipStream_tbEUlT_E_NS1_11comp_targetILNS1_3genE8ELNS1_11target_archE1030ELNS1_3gpuE2ELNS1_3repE0EEENS1_30default_config_static_selectorELNS0_4arch9wavefront6targetE1EEEvSP_,@function
_ZN7rocprim17ROCPRIM_400000_NS6detail17trampoline_kernelINS0_14default_configENS1_21merge_config_selectorIsNS0_10empty_typeEEEZNS1_10merge_implIS3_N6thrust23THRUST_200600_302600_NS6detail15normal_iteratorINS9_10device_ptrIKsEEEESF_NSB_INSC_IsEEEEPS5_SI_SI_NS9_7greaterIsEEEE10hipError_tPvRmT0_T1_T2_T3_T4_T5_mmT6_P12ihipStream_tbEUlT_E_NS1_11comp_targetILNS1_3genE8ELNS1_11target_archE1030ELNS1_3gpuE2ELNS1_3repE0EEENS1_30default_config_static_selectorELNS0_4arch9wavefront6targetE1EEEvSP_: ; @_ZN7rocprim17ROCPRIM_400000_NS6detail17trampoline_kernelINS0_14default_configENS1_21merge_config_selectorIsNS0_10empty_typeEEEZNS1_10merge_implIS3_N6thrust23THRUST_200600_302600_NS6detail15normal_iteratorINS9_10device_ptrIKsEEEESF_NSB_INSC_IsEEEEPS5_SI_SI_NS9_7greaterIsEEEE10hipError_tPvRmT0_T1_T2_T3_T4_T5_mmT6_P12ihipStream_tbEUlT_E_NS1_11comp_targetILNS1_3genE8ELNS1_11target_archE1030ELNS1_3gpuE2ELNS1_3repE0EEENS1_30default_config_static_selectorELNS0_4arch9wavefront6targetE1EEEvSP_
; %bb.0:
	.section	.rodata,"a",@progbits
	.p2align	6, 0x0
	.amdhsa_kernel _ZN7rocprim17ROCPRIM_400000_NS6detail17trampoline_kernelINS0_14default_configENS1_21merge_config_selectorIsNS0_10empty_typeEEEZNS1_10merge_implIS3_N6thrust23THRUST_200600_302600_NS6detail15normal_iteratorINS9_10device_ptrIKsEEEESF_NSB_INSC_IsEEEEPS5_SI_SI_NS9_7greaterIsEEEE10hipError_tPvRmT0_T1_T2_T3_T4_T5_mmT6_P12ihipStream_tbEUlT_E_NS1_11comp_targetILNS1_3genE8ELNS1_11target_archE1030ELNS1_3gpuE2ELNS1_3repE0EEENS1_30default_config_static_selectorELNS0_4arch9wavefront6targetE1EEEvSP_
		.amdhsa_group_segment_fixed_size 0
		.amdhsa_private_segment_fixed_size 0
		.amdhsa_kernarg_size 48
		.amdhsa_user_sgpr_count 6
		.amdhsa_user_sgpr_private_segment_buffer 1
		.amdhsa_user_sgpr_dispatch_ptr 0
		.amdhsa_user_sgpr_queue_ptr 0
		.amdhsa_user_sgpr_kernarg_segment_ptr 1
		.amdhsa_user_sgpr_dispatch_id 0
		.amdhsa_user_sgpr_flat_scratch_init 0
		.amdhsa_user_sgpr_kernarg_preload_length 0
		.amdhsa_user_sgpr_kernarg_preload_offset 0
		.amdhsa_user_sgpr_private_segment_size 0
		.amdhsa_uses_dynamic_stack 0
		.amdhsa_system_sgpr_private_segment_wavefront_offset 0
		.amdhsa_system_sgpr_workgroup_id_x 1
		.amdhsa_system_sgpr_workgroup_id_y 0
		.amdhsa_system_sgpr_workgroup_id_z 0
		.amdhsa_system_sgpr_workgroup_info 0
		.amdhsa_system_vgpr_workitem_id 0
		.amdhsa_next_free_vgpr 1
		.amdhsa_next_free_sgpr 0
		.amdhsa_accum_offset 4
		.amdhsa_reserve_vcc 0
		.amdhsa_reserve_flat_scratch 0
		.amdhsa_float_round_mode_32 0
		.amdhsa_float_round_mode_16_64 0
		.amdhsa_float_denorm_mode_32 3
		.amdhsa_float_denorm_mode_16_64 3
		.amdhsa_dx10_clamp 1
		.amdhsa_ieee_mode 1
		.amdhsa_fp16_overflow 0
		.amdhsa_tg_split 0
		.amdhsa_exception_fp_ieee_invalid_op 0
		.amdhsa_exception_fp_denorm_src 0
		.amdhsa_exception_fp_ieee_div_zero 0
		.amdhsa_exception_fp_ieee_overflow 0
		.amdhsa_exception_fp_ieee_underflow 0
		.amdhsa_exception_fp_ieee_inexact 0
		.amdhsa_exception_int_div_zero 0
	.end_amdhsa_kernel
	.section	.text._ZN7rocprim17ROCPRIM_400000_NS6detail17trampoline_kernelINS0_14default_configENS1_21merge_config_selectorIsNS0_10empty_typeEEEZNS1_10merge_implIS3_N6thrust23THRUST_200600_302600_NS6detail15normal_iteratorINS9_10device_ptrIKsEEEESF_NSB_INSC_IsEEEEPS5_SI_SI_NS9_7greaterIsEEEE10hipError_tPvRmT0_T1_T2_T3_T4_T5_mmT6_P12ihipStream_tbEUlT_E_NS1_11comp_targetILNS1_3genE8ELNS1_11target_archE1030ELNS1_3gpuE2ELNS1_3repE0EEENS1_30default_config_static_selectorELNS0_4arch9wavefront6targetE1EEEvSP_,"axG",@progbits,_ZN7rocprim17ROCPRIM_400000_NS6detail17trampoline_kernelINS0_14default_configENS1_21merge_config_selectorIsNS0_10empty_typeEEEZNS1_10merge_implIS3_N6thrust23THRUST_200600_302600_NS6detail15normal_iteratorINS9_10device_ptrIKsEEEESF_NSB_INSC_IsEEEEPS5_SI_SI_NS9_7greaterIsEEEE10hipError_tPvRmT0_T1_T2_T3_T4_T5_mmT6_P12ihipStream_tbEUlT_E_NS1_11comp_targetILNS1_3genE8ELNS1_11target_archE1030ELNS1_3gpuE2ELNS1_3repE0EEENS1_30default_config_static_selectorELNS0_4arch9wavefront6targetE1EEEvSP_,comdat
.Lfunc_end595:
	.size	_ZN7rocprim17ROCPRIM_400000_NS6detail17trampoline_kernelINS0_14default_configENS1_21merge_config_selectorIsNS0_10empty_typeEEEZNS1_10merge_implIS3_N6thrust23THRUST_200600_302600_NS6detail15normal_iteratorINS9_10device_ptrIKsEEEESF_NSB_INSC_IsEEEEPS5_SI_SI_NS9_7greaterIsEEEE10hipError_tPvRmT0_T1_T2_T3_T4_T5_mmT6_P12ihipStream_tbEUlT_E_NS1_11comp_targetILNS1_3genE8ELNS1_11target_archE1030ELNS1_3gpuE2ELNS1_3repE0EEENS1_30default_config_static_selectorELNS0_4arch9wavefront6targetE1EEEvSP_, .Lfunc_end595-_ZN7rocprim17ROCPRIM_400000_NS6detail17trampoline_kernelINS0_14default_configENS1_21merge_config_selectorIsNS0_10empty_typeEEEZNS1_10merge_implIS3_N6thrust23THRUST_200600_302600_NS6detail15normal_iteratorINS9_10device_ptrIKsEEEESF_NSB_INSC_IsEEEEPS5_SI_SI_NS9_7greaterIsEEEE10hipError_tPvRmT0_T1_T2_T3_T4_T5_mmT6_P12ihipStream_tbEUlT_E_NS1_11comp_targetILNS1_3genE8ELNS1_11target_archE1030ELNS1_3gpuE2ELNS1_3repE0EEENS1_30default_config_static_selectorELNS0_4arch9wavefront6targetE1EEEvSP_
                                        ; -- End function
	.section	.AMDGPU.csdata,"",@progbits
; Kernel info:
; codeLenInByte = 0
; NumSgprs: 4
; NumVgprs: 0
; NumAgprs: 0
; TotalNumVgprs: 0
; ScratchSize: 0
; MemoryBound: 0
; FloatMode: 240
; IeeeMode: 1
; LDSByteSize: 0 bytes/workgroup (compile time only)
; SGPRBlocks: 0
; VGPRBlocks: 0
; NumSGPRsForWavesPerEU: 4
; NumVGPRsForWavesPerEU: 1
; AccumOffset: 4
; Occupancy: 8
; WaveLimiterHint : 0
; COMPUTE_PGM_RSRC2:SCRATCH_EN: 0
; COMPUTE_PGM_RSRC2:USER_SGPR: 6
; COMPUTE_PGM_RSRC2:TRAP_HANDLER: 0
; COMPUTE_PGM_RSRC2:TGID_X_EN: 1
; COMPUTE_PGM_RSRC2:TGID_Y_EN: 0
; COMPUTE_PGM_RSRC2:TGID_Z_EN: 0
; COMPUTE_PGM_RSRC2:TIDIG_COMP_CNT: 0
; COMPUTE_PGM_RSRC3_GFX90A:ACCUM_OFFSET: 0
; COMPUTE_PGM_RSRC3_GFX90A:TG_SPLIT: 0
	.section	.text._ZN7rocprim17ROCPRIM_400000_NS6detail17trampoline_kernelINS0_14default_configENS1_21merge_config_selectorIsNS0_10empty_typeEEEZNS1_10merge_implIS3_N6thrust23THRUST_200600_302600_NS6detail15normal_iteratorINS9_10device_ptrIKsEEEESF_NSB_INSC_IsEEEEPS5_SI_SI_NS9_7greaterIsEEEE10hipError_tPvRmT0_T1_T2_T3_T4_T5_mmT6_P12ihipStream_tbEUlT_E0_NS1_11comp_targetILNS1_3genE0ELNS1_11target_archE4294967295ELNS1_3gpuE0ELNS1_3repE0EEENS1_30default_config_static_selectorELNS0_4arch9wavefront6targetE1EEEvSP_,"axG",@progbits,_ZN7rocprim17ROCPRIM_400000_NS6detail17trampoline_kernelINS0_14default_configENS1_21merge_config_selectorIsNS0_10empty_typeEEEZNS1_10merge_implIS3_N6thrust23THRUST_200600_302600_NS6detail15normal_iteratorINS9_10device_ptrIKsEEEESF_NSB_INSC_IsEEEEPS5_SI_SI_NS9_7greaterIsEEEE10hipError_tPvRmT0_T1_T2_T3_T4_T5_mmT6_P12ihipStream_tbEUlT_E0_NS1_11comp_targetILNS1_3genE0ELNS1_11target_archE4294967295ELNS1_3gpuE0ELNS1_3repE0EEENS1_30default_config_static_selectorELNS0_4arch9wavefront6targetE1EEEvSP_,comdat
	.protected	_ZN7rocprim17ROCPRIM_400000_NS6detail17trampoline_kernelINS0_14default_configENS1_21merge_config_selectorIsNS0_10empty_typeEEEZNS1_10merge_implIS3_N6thrust23THRUST_200600_302600_NS6detail15normal_iteratorINS9_10device_ptrIKsEEEESF_NSB_INSC_IsEEEEPS5_SI_SI_NS9_7greaterIsEEEE10hipError_tPvRmT0_T1_T2_T3_T4_T5_mmT6_P12ihipStream_tbEUlT_E0_NS1_11comp_targetILNS1_3genE0ELNS1_11target_archE4294967295ELNS1_3gpuE0ELNS1_3repE0EEENS1_30default_config_static_selectorELNS0_4arch9wavefront6targetE1EEEvSP_ ; -- Begin function _ZN7rocprim17ROCPRIM_400000_NS6detail17trampoline_kernelINS0_14default_configENS1_21merge_config_selectorIsNS0_10empty_typeEEEZNS1_10merge_implIS3_N6thrust23THRUST_200600_302600_NS6detail15normal_iteratorINS9_10device_ptrIKsEEEESF_NSB_INSC_IsEEEEPS5_SI_SI_NS9_7greaterIsEEEE10hipError_tPvRmT0_T1_T2_T3_T4_T5_mmT6_P12ihipStream_tbEUlT_E0_NS1_11comp_targetILNS1_3genE0ELNS1_11target_archE4294967295ELNS1_3gpuE0ELNS1_3repE0EEENS1_30default_config_static_selectorELNS0_4arch9wavefront6targetE1EEEvSP_
	.globl	_ZN7rocprim17ROCPRIM_400000_NS6detail17trampoline_kernelINS0_14default_configENS1_21merge_config_selectorIsNS0_10empty_typeEEEZNS1_10merge_implIS3_N6thrust23THRUST_200600_302600_NS6detail15normal_iteratorINS9_10device_ptrIKsEEEESF_NSB_INSC_IsEEEEPS5_SI_SI_NS9_7greaterIsEEEE10hipError_tPvRmT0_T1_T2_T3_T4_T5_mmT6_P12ihipStream_tbEUlT_E0_NS1_11comp_targetILNS1_3genE0ELNS1_11target_archE4294967295ELNS1_3gpuE0ELNS1_3repE0EEENS1_30default_config_static_selectorELNS0_4arch9wavefront6targetE1EEEvSP_
	.p2align	8
	.type	_ZN7rocprim17ROCPRIM_400000_NS6detail17trampoline_kernelINS0_14default_configENS1_21merge_config_selectorIsNS0_10empty_typeEEEZNS1_10merge_implIS3_N6thrust23THRUST_200600_302600_NS6detail15normal_iteratorINS9_10device_ptrIKsEEEESF_NSB_INSC_IsEEEEPS5_SI_SI_NS9_7greaterIsEEEE10hipError_tPvRmT0_T1_T2_T3_T4_T5_mmT6_P12ihipStream_tbEUlT_E0_NS1_11comp_targetILNS1_3genE0ELNS1_11target_archE4294967295ELNS1_3gpuE0ELNS1_3repE0EEENS1_30default_config_static_selectorELNS0_4arch9wavefront6targetE1EEEvSP_,@function
_ZN7rocprim17ROCPRIM_400000_NS6detail17trampoline_kernelINS0_14default_configENS1_21merge_config_selectorIsNS0_10empty_typeEEEZNS1_10merge_implIS3_N6thrust23THRUST_200600_302600_NS6detail15normal_iteratorINS9_10device_ptrIKsEEEESF_NSB_INSC_IsEEEEPS5_SI_SI_NS9_7greaterIsEEEE10hipError_tPvRmT0_T1_T2_T3_T4_T5_mmT6_P12ihipStream_tbEUlT_E0_NS1_11comp_targetILNS1_3genE0ELNS1_11target_archE4294967295ELNS1_3gpuE0ELNS1_3repE0EEENS1_30default_config_static_selectorELNS0_4arch9wavefront6targetE1EEEvSP_: ; @_ZN7rocprim17ROCPRIM_400000_NS6detail17trampoline_kernelINS0_14default_configENS1_21merge_config_selectorIsNS0_10empty_typeEEEZNS1_10merge_implIS3_N6thrust23THRUST_200600_302600_NS6detail15normal_iteratorINS9_10device_ptrIKsEEEESF_NSB_INSC_IsEEEEPS5_SI_SI_NS9_7greaterIsEEEE10hipError_tPvRmT0_T1_T2_T3_T4_T5_mmT6_P12ihipStream_tbEUlT_E0_NS1_11comp_targetILNS1_3genE0ELNS1_11target_archE4294967295ELNS1_3gpuE0ELNS1_3repE0EEENS1_30default_config_static_selectorELNS0_4arch9wavefront6targetE1EEEvSP_
; %bb.0:
	.section	.rodata,"a",@progbits
	.p2align	6, 0x0
	.amdhsa_kernel _ZN7rocprim17ROCPRIM_400000_NS6detail17trampoline_kernelINS0_14default_configENS1_21merge_config_selectorIsNS0_10empty_typeEEEZNS1_10merge_implIS3_N6thrust23THRUST_200600_302600_NS6detail15normal_iteratorINS9_10device_ptrIKsEEEESF_NSB_INSC_IsEEEEPS5_SI_SI_NS9_7greaterIsEEEE10hipError_tPvRmT0_T1_T2_T3_T4_T5_mmT6_P12ihipStream_tbEUlT_E0_NS1_11comp_targetILNS1_3genE0ELNS1_11target_archE4294967295ELNS1_3gpuE0ELNS1_3repE0EEENS1_30default_config_static_selectorELNS0_4arch9wavefront6targetE1EEEvSP_
		.amdhsa_group_segment_fixed_size 0
		.amdhsa_private_segment_fixed_size 0
		.amdhsa_kernarg_size 88
		.amdhsa_user_sgpr_count 6
		.amdhsa_user_sgpr_private_segment_buffer 1
		.amdhsa_user_sgpr_dispatch_ptr 0
		.amdhsa_user_sgpr_queue_ptr 0
		.amdhsa_user_sgpr_kernarg_segment_ptr 1
		.amdhsa_user_sgpr_dispatch_id 0
		.amdhsa_user_sgpr_flat_scratch_init 0
		.amdhsa_user_sgpr_kernarg_preload_length 0
		.amdhsa_user_sgpr_kernarg_preload_offset 0
		.amdhsa_user_sgpr_private_segment_size 0
		.amdhsa_uses_dynamic_stack 0
		.amdhsa_system_sgpr_private_segment_wavefront_offset 0
		.amdhsa_system_sgpr_workgroup_id_x 1
		.amdhsa_system_sgpr_workgroup_id_y 0
		.amdhsa_system_sgpr_workgroup_id_z 0
		.amdhsa_system_sgpr_workgroup_info 0
		.amdhsa_system_vgpr_workitem_id 0
		.amdhsa_next_free_vgpr 1
		.amdhsa_next_free_sgpr 0
		.amdhsa_accum_offset 4
		.amdhsa_reserve_vcc 0
		.amdhsa_reserve_flat_scratch 0
		.amdhsa_float_round_mode_32 0
		.amdhsa_float_round_mode_16_64 0
		.amdhsa_float_denorm_mode_32 3
		.amdhsa_float_denorm_mode_16_64 3
		.amdhsa_dx10_clamp 1
		.amdhsa_ieee_mode 1
		.amdhsa_fp16_overflow 0
		.amdhsa_tg_split 0
		.amdhsa_exception_fp_ieee_invalid_op 0
		.amdhsa_exception_fp_denorm_src 0
		.amdhsa_exception_fp_ieee_div_zero 0
		.amdhsa_exception_fp_ieee_overflow 0
		.amdhsa_exception_fp_ieee_underflow 0
		.amdhsa_exception_fp_ieee_inexact 0
		.amdhsa_exception_int_div_zero 0
	.end_amdhsa_kernel
	.section	.text._ZN7rocprim17ROCPRIM_400000_NS6detail17trampoline_kernelINS0_14default_configENS1_21merge_config_selectorIsNS0_10empty_typeEEEZNS1_10merge_implIS3_N6thrust23THRUST_200600_302600_NS6detail15normal_iteratorINS9_10device_ptrIKsEEEESF_NSB_INSC_IsEEEEPS5_SI_SI_NS9_7greaterIsEEEE10hipError_tPvRmT0_T1_T2_T3_T4_T5_mmT6_P12ihipStream_tbEUlT_E0_NS1_11comp_targetILNS1_3genE0ELNS1_11target_archE4294967295ELNS1_3gpuE0ELNS1_3repE0EEENS1_30default_config_static_selectorELNS0_4arch9wavefront6targetE1EEEvSP_,"axG",@progbits,_ZN7rocprim17ROCPRIM_400000_NS6detail17trampoline_kernelINS0_14default_configENS1_21merge_config_selectorIsNS0_10empty_typeEEEZNS1_10merge_implIS3_N6thrust23THRUST_200600_302600_NS6detail15normal_iteratorINS9_10device_ptrIKsEEEESF_NSB_INSC_IsEEEEPS5_SI_SI_NS9_7greaterIsEEEE10hipError_tPvRmT0_T1_T2_T3_T4_T5_mmT6_P12ihipStream_tbEUlT_E0_NS1_11comp_targetILNS1_3genE0ELNS1_11target_archE4294967295ELNS1_3gpuE0ELNS1_3repE0EEENS1_30default_config_static_selectorELNS0_4arch9wavefront6targetE1EEEvSP_,comdat
.Lfunc_end596:
	.size	_ZN7rocprim17ROCPRIM_400000_NS6detail17trampoline_kernelINS0_14default_configENS1_21merge_config_selectorIsNS0_10empty_typeEEEZNS1_10merge_implIS3_N6thrust23THRUST_200600_302600_NS6detail15normal_iteratorINS9_10device_ptrIKsEEEESF_NSB_INSC_IsEEEEPS5_SI_SI_NS9_7greaterIsEEEE10hipError_tPvRmT0_T1_T2_T3_T4_T5_mmT6_P12ihipStream_tbEUlT_E0_NS1_11comp_targetILNS1_3genE0ELNS1_11target_archE4294967295ELNS1_3gpuE0ELNS1_3repE0EEENS1_30default_config_static_selectorELNS0_4arch9wavefront6targetE1EEEvSP_, .Lfunc_end596-_ZN7rocprim17ROCPRIM_400000_NS6detail17trampoline_kernelINS0_14default_configENS1_21merge_config_selectorIsNS0_10empty_typeEEEZNS1_10merge_implIS3_N6thrust23THRUST_200600_302600_NS6detail15normal_iteratorINS9_10device_ptrIKsEEEESF_NSB_INSC_IsEEEEPS5_SI_SI_NS9_7greaterIsEEEE10hipError_tPvRmT0_T1_T2_T3_T4_T5_mmT6_P12ihipStream_tbEUlT_E0_NS1_11comp_targetILNS1_3genE0ELNS1_11target_archE4294967295ELNS1_3gpuE0ELNS1_3repE0EEENS1_30default_config_static_selectorELNS0_4arch9wavefront6targetE1EEEvSP_
                                        ; -- End function
	.section	.AMDGPU.csdata,"",@progbits
; Kernel info:
; codeLenInByte = 0
; NumSgprs: 4
; NumVgprs: 0
; NumAgprs: 0
; TotalNumVgprs: 0
; ScratchSize: 0
; MemoryBound: 0
; FloatMode: 240
; IeeeMode: 1
; LDSByteSize: 0 bytes/workgroup (compile time only)
; SGPRBlocks: 0
; VGPRBlocks: 0
; NumSGPRsForWavesPerEU: 4
; NumVGPRsForWavesPerEU: 1
; AccumOffset: 4
; Occupancy: 8
; WaveLimiterHint : 0
; COMPUTE_PGM_RSRC2:SCRATCH_EN: 0
; COMPUTE_PGM_RSRC2:USER_SGPR: 6
; COMPUTE_PGM_RSRC2:TRAP_HANDLER: 0
; COMPUTE_PGM_RSRC2:TGID_X_EN: 1
; COMPUTE_PGM_RSRC2:TGID_Y_EN: 0
; COMPUTE_PGM_RSRC2:TGID_Z_EN: 0
; COMPUTE_PGM_RSRC2:TIDIG_COMP_CNT: 0
; COMPUTE_PGM_RSRC3_GFX90A:ACCUM_OFFSET: 0
; COMPUTE_PGM_RSRC3_GFX90A:TG_SPLIT: 0
	.section	.text._ZN7rocprim17ROCPRIM_400000_NS6detail17trampoline_kernelINS0_14default_configENS1_21merge_config_selectorIsNS0_10empty_typeEEEZNS1_10merge_implIS3_N6thrust23THRUST_200600_302600_NS6detail15normal_iteratorINS9_10device_ptrIKsEEEESF_NSB_INSC_IsEEEEPS5_SI_SI_NS9_7greaterIsEEEE10hipError_tPvRmT0_T1_T2_T3_T4_T5_mmT6_P12ihipStream_tbEUlT_E0_NS1_11comp_targetILNS1_3genE5ELNS1_11target_archE942ELNS1_3gpuE9ELNS1_3repE0EEENS1_30default_config_static_selectorELNS0_4arch9wavefront6targetE1EEEvSP_,"axG",@progbits,_ZN7rocprim17ROCPRIM_400000_NS6detail17trampoline_kernelINS0_14default_configENS1_21merge_config_selectorIsNS0_10empty_typeEEEZNS1_10merge_implIS3_N6thrust23THRUST_200600_302600_NS6detail15normal_iteratorINS9_10device_ptrIKsEEEESF_NSB_INSC_IsEEEEPS5_SI_SI_NS9_7greaterIsEEEE10hipError_tPvRmT0_T1_T2_T3_T4_T5_mmT6_P12ihipStream_tbEUlT_E0_NS1_11comp_targetILNS1_3genE5ELNS1_11target_archE942ELNS1_3gpuE9ELNS1_3repE0EEENS1_30default_config_static_selectorELNS0_4arch9wavefront6targetE1EEEvSP_,comdat
	.protected	_ZN7rocprim17ROCPRIM_400000_NS6detail17trampoline_kernelINS0_14default_configENS1_21merge_config_selectorIsNS0_10empty_typeEEEZNS1_10merge_implIS3_N6thrust23THRUST_200600_302600_NS6detail15normal_iteratorINS9_10device_ptrIKsEEEESF_NSB_INSC_IsEEEEPS5_SI_SI_NS9_7greaterIsEEEE10hipError_tPvRmT0_T1_T2_T3_T4_T5_mmT6_P12ihipStream_tbEUlT_E0_NS1_11comp_targetILNS1_3genE5ELNS1_11target_archE942ELNS1_3gpuE9ELNS1_3repE0EEENS1_30default_config_static_selectorELNS0_4arch9wavefront6targetE1EEEvSP_ ; -- Begin function _ZN7rocprim17ROCPRIM_400000_NS6detail17trampoline_kernelINS0_14default_configENS1_21merge_config_selectorIsNS0_10empty_typeEEEZNS1_10merge_implIS3_N6thrust23THRUST_200600_302600_NS6detail15normal_iteratorINS9_10device_ptrIKsEEEESF_NSB_INSC_IsEEEEPS5_SI_SI_NS9_7greaterIsEEEE10hipError_tPvRmT0_T1_T2_T3_T4_T5_mmT6_P12ihipStream_tbEUlT_E0_NS1_11comp_targetILNS1_3genE5ELNS1_11target_archE942ELNS1_3gpuE9ELNS1_3repE0EEENS1_30default_config_static_selectorELNS0_4arch9wavefront6targetE1EEEvSP_
	.globl	_ZN7rocprim17ROCPRIM_400000_NS6detail17trampoline_kernelINS0_14default_configENS1_21merge_config_selectorIsNS0_10empty_typeEEEZNS1_10merge_implIS3_N6thrust23THRUST_200600_302600_NS6detail15normal_iteratorINS9_10device_ptrIKsEEEESF_NSB_INSC_IsEEEEPS5_SI_SI_NS9_7greaterIsEEEE10hipError_tPvRmT0_T1_T2_T3_T4_T5_mmT6_P12ihipStream_tbEUlT_E0_NS1_11comp_targetILNS1_3genE5ELNS1_11target_archE942ELNS1_3gpuE9ELNS1_3repE0EEENS1_30default_config_static_selectorELNS0_4arch9wavefront6targetE1EEEvSP_
	.p2align	8
	.type	_ZN7rocprim17ROCPRIM_400000_NS6detail17trampoline_kernelINS0_14default_configENS1_21merge_config_selectorIsNS0_10empty_typeEEEZNS1_10merge_implIS3_N6thrust23THRUST_200600_302600_NS6detail15normal_iteratorINS9_10device_ptrIKsEEEESF_NSB_INSC_IsEEEEPS5_SI_SI_NS9_7greaterIsEEEE10hipError_tPvRmT0_T1_T2_T3_T4_T5_mmT6_P12ihipStream_tbEUlT_E0_NS1_11comp_targetILNS1_3genE5ELNS1_11target_archE942ELNS1_3gpuE9ELNS1_3repE0EEENS1_30default_config_static_selectorELNS0_4arch9wavefront6targetE1EEEvSP_,@function
_ZN7rocprim17ROCPRIM_400000_NS6detail17trampoline_kernelINS0_14default_configENS1_21merge_config_selectorIsNS0_10empty_typeEEEZNS1_10merge_implIS3_N6thrust23THRUST_200600_302600_NS6detail15normal_iteratorINS9_10device_ptrIKsEEEESF_NSB_INSC_IsEEEEPS5_SI_SI_NS9_7greaterIsEEEE10hipError_tPvRmT0_T1_T2_T3_T4_T5_mmT6_P12ihipStream_tbEUlT_E0_NS1_11comp_targetILNS1_3genE5ELNS1_11target_archE942ELNS1_3gpuE9ELNS1_3repE0EEENS1_30default_config_static_selectorELNS0_4arch9wavefront6targetE1EEEvSP_: ; @_ZN7rocprim17ROCPRIM_400000_NS6detail17trampoline_kernelINS0_14default_configENS1_21merge_config_selectorIsNS0_10empty_typeEEEZNS1_10merge_implIS3_N6thrust23THRUST_200600_302600_NS6detail15normal_iteratorINS9_10device_ptrIKsEEEESF_NSB_INSC_IsEEEEPS5_SI_SI_NS9_7greaterIsEEEE10hipError_tPvRmT0_T1_T2_T3_T4_T5_mmT6_P12ihipStream_tbEUlT_E0_NS1_11comp_targetILNS1_3genE5ELNS1_11target_archE942ELNS1_3gpuE9ELNS1_3repE0EEENS1_30default_config_static_selectorELNS0_4arch9wavefront6targetE1EEEvSP_
; %bb.0:
	.section	.rodata,"a",@progbits
	.p2align	6, 0x0
	.amdhsa_kernel _ZN7rocprim17ROCPRIM_400000_NS6detail17trampoline_kernelINS0_14default_configENS1_21merge_config_selectorIsNS0_10empty_typeEEEZNS1_10merge_implIS3_N6thrust23THRUST_200600_302600_NS6detail15normal_iteratorINS9_10device_ptrIKsEEEESF_NSB_INSC_IsEEEEPS5_SI_SI_NS9_7greaterIsEEEE10hipError_tPvRmT0_T1_T2_T3_T4_T5_mmT6_P12ihipStream_tbEUlT_E0_NS1_11comp_targetILNS1_3genE5ELNS1_11target_archE942ELNS1_3gpuE9ELNS1_3repE0EEENS1_30default_config_static_selectorELNS0_4arch9wavefront6targetE1EEEvSP_
		.amdhsa_group_segment_fixed_size 0
		.amdhsa_private_segment_fixed_size 0
		.amdhsa_kernarg_size 88
		.amdhsa_user_sgpr_count 6
		.amdhsa_user_sgpr_private_segment_buffer 1
		.amdhsa_user_sgpr_dispatch_ptr 0
		.amdhsa_user_sgpr_queue_ptr 0
		.amdhsa_user_sgpr_kernarg_segment_ptr 1
		.amdhsa_user_sgpr_dispatch_id 0
		.amdhsa_user_sgpr_flat_scratch_init 0
		.amdhsa_user_sgpr_kernarg_preload_length 0
		.amdhsa_user_sgpr_kernarg_preload_offset 0
		.amdhsa_user_sgpr_private_segment_size 0
		.amdhsa_uses_dynamic_stack 0
		.amdhsa_system_sgpr_private_segment_wavefront_offset 0
		.amdhsa_system_sgpr_workgroup_id_x 1
		.amdhsa_system_sgpr_workgroup_id_y 0
		.amdhsa_system_sgpr_workgroup_id_z 0
		.amdhsa_system_sgpr_workgroup_info 0
		.amdhsa_system_vgpr_workitem_id 0
		.amdhsa_next_free_vgpr 1
		.amdhsa_next_free_sgpr 0
		.amdhsa_accum_offset 4
		.amdhsa_reserve_vcc 0
		.amdhsa_reserve_flat_scratch 0
		.amdhsa_float_round_mode_32 0
		.amdhsa_float_round_mode_16_64 0
		.amdhsa_float_denorm_mode_32 3
		.amdhsa_float_denorm_mode_16_64 3
		.amdhsa_dx10_clamp 1
		.amdhsa_ieee_mode 1
		.amdhsa_fp16_overflow 0
		.amdhsa_tg_split 0
		.amdhsa_exception_fp_ieee_invalid_op 0
		.amdhsa_exception_fp_denorm_src 0
		.amdhsa_exception_fp_ieee_div_zero 0
		.amdhsa_exception_fp_ieee_overflow 0
		.amdhsa_exception_fp_ieee_underflow 0
		.amdhsa_exception_fp_ieee_inexact 0
		.amdhsa_exception_int_div_zero 0
	.end_amdhsa_kernel
	.section	.text._ZN7rocprim17ROCPRIM_400000_NS6detail17trampoline_kernelINS0_14default_configENS1_21merge_config_selectorIsNS0_10empty_typeEEEZNS1_10merge_implIS3_N6thrust23THRUST_200600_302600_NS6detail15normal_iteratorINS9_10device_ptrIKsEEEESF_NSB_INSC_IsEEEEPS5_SI_SI_NS9_7greaterIsEEEE10hipError_tPvRmT0_T1_T2_T3_T4_T5_mmT6_P12ihipStream_tbEUlT_E0_NS1_11comp_targetILNS1_3genE5ELNS1_11target_archE942ELNS1_3gpuE9ELNS1_3repE0EEENS1_30default_config_static_selectorELNS0_4arch9wavefront6targetE1EEEvSP_,"axG",@progbits,_ZN7rocprim17ROCPRIM_400000_NS6detail17trampoline_kernelINS0_14default_configENS1_21merge_config_selectorIsNS0_10empty_typeEEEZNS1_10merge_implIS3_N6thrust23THRUST_200600_302600_NS6detail15normal_iteratorINS9_10device_ptrIKsEEEESF_NSB_INSC_IsEEEEPS5_SI_SI_NS9_7greaterIsEEEE10hipError_tPvRmT0_T1_T2_T3_T4_T5_mmT6_P12ihipStream_tbEUlT_E0_NS1_11comp_targetILNS1_3genE5ELNS1_11target_archE942ELNS1_3gpuE9ELNS1_3repE0EEENS1_30default_config_static_selectorELNS0_4arch9wavefront6targetE1EEEvSP_,comdat
.Lfunc_end597:
	.size	_ZN7rocprim17ROCPRIM_400000_NS6detail17trampoline_kernelINS0_14default_configENS1_21merge_config_selectorIsNS0_10empty_typeEEEZNS1_10merge_implIS3_N6thrust23THRUST_200600_302600_NS6detail15normal_iteratorINS9_10device_ptrIKsEEEESF_NSB_INSC_IsEEEEPS5_SI_SI_NS9_7greaterIsEEEE10hipError_tPvRmT0_T1_T2_T3_T4_T5_mmT6_P12ihipStream_tbEUlT_E0_NS1_11comp_targetILNS1_3genE5ELNS1_11target_archE942ELNS1_3gpuE9ELNS1_3repE0EEENS1_30default_config_static_selectorELNS0_4arch9wavefront6targetE1EEEvSP_, .Lfunc_end597-_ZN7rocprim17ROCPRIM_400000_NS6detail17trampoline_kernelINS0_14default_configENS1_21merge_config_selectorIsNS0_10empty_typeEEEZNS1_10merge_implIS3_N6thrust23THRUST_200600_302600_NS6detail15normal_iteratorINS9_10device_ptrIKsEEEESF_NSB_INSC_IsEEEEPS5_SI_SI_NS9_7greaterIsEEEE10hipError_tPvRmT0_T1_T2_T3_T4_T5_mmT6_P12ihipStream_tbEUlT_E0_NS1_11comp_targetILNS1_3genE5ELNS1_11target_archE942ELNS1_3gpuE9ELNS1_3repE0EEENS1_30default_config_static_selectorELNS0_4arch9wavefront6targetE1EEEvSP_
                                        ; -- End function
	.section	.AMDGPU.csdata,"",@progbits
; Kernel info:
; codeLenInByte = 0
; NumSgprs: 4
; NumVgprs: 0
; NumAgprs: 0
; TotalNumVgprs: 0
; ScratchSize: 0
; MemoryBound: 0
; FloatMode: 240
; IeeeMode: 1
; LDSByteSize: 0 bytes/workgroup (compile time only)
; SGPRBlocks: 0
; VGPRBlocks: 0
; NumSGPRsForWavesPerEU: 4
; NumVGPRsForWavesPerEU: 1
; AccumOffset: 4
; Occupancy: 8
; WaveLimiterHint : 0
; COMPUTE_PGM_RSRC2:SCRATCH_EN: 0
; COMPUTE_PGM_RSRC2:USER_SGPR: 6
; COMPUTE_PGM_RSRC2:TRAP_HANDLER: 0
; COMPUTE_PGM_RSRC2:TGID_X_EN: 1
; COMPUTE_PGM_RSRC2:TGID_Y_EN: 0
; COMPUTE_PGM_RSRC2:TGID_Z_EN: 0
; COMPUTE_PGM_RSRC2:TIDIG_COMP_CNT: 0
; COMPUTE_PGM_RSRC3_GFX90A:ACCUM_OFFSET: 0
; COMPUTE_PGM_RSRC3_GFX90A:TG_SPLIT: 0
	.section	.text._ZN7rocprim17ROCPRIM_400000_NS6detail17trampoline_kernelINS0_14default_configENS1_21merge_config_selectorIsNS0_10empty_typeEEEZNS1_10merge_implIS3_N6thrust23THRUST_200600_302600_NS6detail15normal_iteratorINS9_10device_ptrIKsEEEESF_NSB_INSC_IsEEEEPS5_SI_SI_NS9_7greaterIsEEEE10hipError_tPvRmT0_T1_T2_T3_T4_T5_mmT6_P12ihipStream_tbEUlT_E0_NS1_11comp_targetILNS1_3genE4ELNS1_11target_archE910ELNS1_3gpuE8ELNS1_3repE0EEENS1_30default_config_static_selectorELNS0_4arch9wavefront6targetE1EEEvSP_,"axG",@progbits,_ZN7rocprim17ROCPRIM_400000_NS6detail17trampoline_kernelINS0_14default_configENS1_21merge_config_selectorIsNS0_10empty_typeEEEZNS1_10merge_implIS3_N6thrust23THRUST_200600_302600_NS6detail15normal_iteratorINS9_10device_ptrIKsEEEESF_NSB_INSC_IsEEEEPS5_SI_SI_NS9_7greaterIsEEEE10hipError_tPvRmT0_T1_T2_T3_T4_T5_mmT6_P12ihipStream_tbEUlT_E0_NS1_11comp_targetILNS1_3genE4ELNS1_11target_archE910ELNS1_3gpuE8ELNS1_3repE0EEENS1_30default_config_static_selectorELNS0_4arch9wavefront6targetE1EEEvSP_,comdat
	.protected	_ZN7rocprim17ROCPRIM_400000_NS6detail17trampoline_kernelINS0_14default_configENS1_21merge_config_selectorIsNS0_10empty_typeEEEZNS1_10merge_implIS3_N6thrust23THRUST_200600_302600_NS6detail15normal_iteratorINS9_10device_ptrIKsEEEESF_NSB_INSC_IsEEEEPS5_SI_SI_NS9_7greaterIsEEEE10hipError_tPvRmT0_T1_T2_T3_T4_T5_mmT6_P12ihipStream_tbEUlT_E0_NS1_11comp_targetILNS1_3genE4ELNS1_11target_archE910ELNS1_3gpuE8ELNS1_3repE0EEENS1_30default_config_static_selectorELNS0_4arch9wavefront6targetE1EEEvSP_ ; -- Begin function _ZN7rocprim17ROCPRIM_400000_NS6detail17trampoline_kernelINS0_14default_configENS1_21merge_config_selectorIsNS0_10empty_typeEEEZNS1_10merge_implIS3_N6thrust23THRUST_200600_302600_NS6detail15normal_iteratorINS9_10device_ptrIKsEEEESF_NSB_INSC_IsEEEEPS5_SI_SI_NS9_7greaterIsEEEE10hipError_tPvRmT0_T1_T2_T3_T4_T5_mmT6_P12ihipStream_tbEUlT_E0_NS1_11comp_targetILNS1_3genE4ELNS1_11target_archE910ELNS1_3gpuE8ELNS1_3repE0EEENS1_30default_config_static_selectorELNS0_4arch9wavefront6targetE1EEEvSP_
	.globl	_ZN7rocprim17ROCPRIM_400000_NS6detail17trampoline_kernelINS0_14default_configENS1_21merge_config_selectorIsNS0_10empty_typeEEEZNS1_10merge_implIS3_N6thrust23THRUST_200600_302600_NS6detail15normal_iteratorINS9_10device_ptrIKsEEEESF_NSB_INSC_IsEEEEPS5_SI_SI_NS9_7greaterIsEEEE10hipError_tPvRmT0_T1_T2_T3_T4_T5_mmT6_P12ihipStream_tbEUlT_E0_NS1_11comp_targetILNS1_3genE4ELNS1_11target_archE910ELNS1_3gpuE8ELNS1_3repE0EEENS1_30default_config_static_selectorELNS0_4arch9wavefront6targetE1EEEvSP_
	.p2align	8
	.type	_ZN7rocprim17ROCPRIM_400000_NS6detail17trampoline_kernelINS0_14default_configENS1_21merge_config_selectorIsNS0_10empty_typeEEEZNS1_10merge_implIS3_N6thrust23THRUST_200600_302600_NS6detail15normal_iteratorINS9_10device_ptrIKsEEEESF_NSB_INSC_IsEEEEPS5_SI_SI_NS9_7greaterIsEEEE10hipError_tPvRmT0_T1_T2_T3_T4_T5_mmT6_P12ihipStream_tbEUlT_E0_NS1_11comp_targetILNS1_3genE4ELNS1_11target_archE910ELNS1_3gpuE8ELNS1_3repE0EEENS1_30default_config_static_selectorELNS0_4arch9wavefront6targetE1EEEvSP_,@function
_ZN7rocprim17ROCPRIM_400000_NS6detail17trampoline_kernelINS0_14default_configENS1_21merge_config_selectorIsNS0_10empty_typeEEEZNS1_10merge_implIS3_N6thrust23THRUST_200600_302600_NS6detail15normal_iteratorINS9_10device_ptrIKsEEEESF_NSB_INSC_IsEEEEPS5_SI_SI_NS9_7greaterIsEEEE10hipError_tPvRmT0_T1_T2_T3_T4_T5_mmT6_P12ihipStream_tbEUlT_E0_NS1_11comp_targetILNS1_3genE4ELNS1_11target_archE910ELNS1_3gpuE8ELNS1_3repE0EEENS1_30default_config_static_selectorELNS0_4arch9wavefront6targetE1EEEvSP_: ; @_ZN7rocprim17ROCPRIM_400000_NS6detail17trampoline_kernelINS0_14default_configENS1_21merge_config_selectorIsNS0_10empty_typeEEEZNS1_10merge_implIS3_N6thrust23THRUST_200600_302600_NS6detail15normal_iteratorINS9_10device_ptrIKsEEEESF_NSB_INSC_IsEEEEPS5_SI_SI_NS9_7greaterIsEEEE10hipError_tPvRmT0_T1_T2_T3_T4_T5_mmT6_P12ihipStream_tbEUlT_E0_NS1_11comp_targetILNS1_3genE4ELNS1_11target_archE910ELNS1_3gpuE8ELNS1_3repE0EEENS1_30default_config_static_selectorELNS0_4arch9wavefront6targetE1EEEvSP_
; %bb.0:
	s_load_dwordx4 s[0:3], s[4:5], 0x40
	s_load_dwordx8 s[20:27], s[4:5], 0x8
	s_lshl_b32 s28, s6, 12
	s_mov_b32 s31, 0
	s_waitcnt lgkmcnt(0)
	s_mov_b32 s3, s31
	s_add_i32 s29, s2, s0
	s_add_i32 s0, s29, 0xfff
	s_lshr_b32 s0, s0, 12
	s_min_u32 s1, s6, s0
	s_lshl_b32 s1, s1, 2
	s_load_dword s30, s[20:21], s1 offset:0x0
	s_add_i32 s6, s6, 1
	s_min_u32 s0, s6, s0
	s_lshl_b32 s0, s0, 2
	s_load_dword s6, s[20:21], s0 offset:0x0
	s_add_i32 s0, s28, 0x1000
	s_min_u32 s7, s29, s0
	s_waitcnt lgkmcnt(0)
	s_sub_i32 s2, s28, s30
	s_lshl_b64 s[0:1], s[30:31], 1
	s_add_u32 s0, s22, s0
	s_addc_u32 s1, s23, s1
	s_lshl_b64 s[4:5], s[2:3], 1
	s_add_u32 s9, s24, s4
	s_addc_u32 s10, s25, s5
	s_add_i32 s2, s2, s6
	s_sub_i32 s30, s6, s30
	s_sub_i32 s8, s7, s2
	s_add_u32 s2, s8, s30
	s_addc_u32 s3, 0, 0
	v_mov_b32_e32 v1, 0
	v_cmp_le_u32_e32 vcc, s30, v0
	s_and_saveexec_b64 s[4:5], vcc
	s_xor_b64 s[4:5], exec, s[4:5]
	s_cbranch_execz .LBB598_4
; %bb.1:
	v_cmp_gt_u64_e32 vcc, s[2:3], v[0:1]
	s_and_saveexec_b64 s[6:7], vcc
	s_cbranch_execz .LBB598_3
; %bb.2:
	v_mov_b32_e32 v1, s31
	v_subrev_co_u32_e32 v2, vcc, s30, v0
	v_subb_co_u32_e32 v3, vcc, 0, v1, vcc
	v_lshlrev_b64 v[2:3], 1, v[2:3]
	v_mov_b32_e32 v1, s10
	v_add_co_u32_e32 v2, vcc, s9, v2
	v_addc_co_u32_e32 v3, vcc, v1, v3, vcc
	global_load_ushort v1, v[2:3], off
	v_lshlrev_b32_e32 v2, 1, v0
	s_waitcnt vmcnt(0)
	ds_write_b16 v2, v1
.LBB598_3:
	s_or_b64 exec, exec, s[6:7]
.LBB598_4:
	s_or_saveexec_b64 s[4:5], s[4:5]
	v_lshlrev_b32_e32 v1, 1, v0
	s_xor_b64 exec, exec, s[4:5]
	s_cbranch_execz .LBB598_6
; %bb.5:
	global_load_ushort v2, v1, s[0:1]
	s_waitcnt vmcnt(0)
	ds_write_b16 v1, v2
.LBB598_6:
	s_or_b64 exec, exec, s[4:5]
	v_or_b32_e32 v2, 0x100, v0
	v_mov_b32_e32 v3, 0
	v_cmp_le_u32_e32 vcc, s30, v2
	s_and_saveexec_b64 s[4:5], vcc
	s_xor_b64 s[4:5], exec, s[4:5]
	s_cbranch_execz .LBB598_10
; %bb.7:
	v_cmp_gt_u64_e32 vcc, s[2:3], v[2:3]
	s_and_saveexec_b64 s[6:7], vcc
	s_cbranch_execz .LBB598_9
; %bb.8:
	v_mov_b32_e32 v3, s31
	v_subrev_co_u32_e32 v4, vcc, s30, v0
	v_subb_co_u32_e32 v5, vcc, 0, v3, vcc
	v_lshlrev_b64 v[4:5], 1, v[4:5]
	v_mov_b32_e32 v3, s10
	v_add_co_u32_e32 v4, vcc, s9, v4
	v_addc_co_u32_e32 v5, vcc, v3, v5, vcc
	global_load_ushort v3, v[4:5], off offset:512
	s_waitcnt vmcnt(0)
	ds_write_b16 v1, v3 offset:512
.LBB598_9:
	s_or_b64 exec, exec, s[6:7]
.LBB598_10:
	s_andn2_saveexec_b64 s[4:5], s[4:5]
	s_cbranch_execz .LBB598_12
; %bb.11:
	global_load_ushort v3, v1, s[0:1] offset:512
	s_waitcnt vmcnt(0)
	ds_write_b16 v1, v3 offset:512
.LBB598_12:
	s_or_b64 exec, exec, s[4:5]
	v_or_b32_e32 v4, 0x200, v0
	v_mov_b32_e32 v5, 0
	v_cmp_le_u32_e32 vcc, s30, v4
	s_and_saveexec_b64 s[4:5], vcc
	s_xor_b64 s[4:5], exec, s[4:5]
	s_cbranch_execz .LBB598_16
; %bb.13:
	v_cmp_gt_u64_e32 vcc, s[2:3], v[4:5]
	s_and_saveexec_b64 s[6:7], vcc
	s_cbranch_execz .LBB598_15
; %bb.14:
	v_mov_b32_e32 v3, s31
	v_subrev_co_u32_e32 v6, vcc, s30, v0
	v_subb_co_u32_e32 v7, vcc, 0, v3, vcc
	v_lshlrev_b64 v[6:7], 1, v[6:7]
	v_mov_b32_e32 v3, s10
	v_add_co_u32_e32 v6, vcc, s9, v6
	v_addc_co_u32_e32 v7, vcc, v3, v7, vcc
	global_load_ushort v3, v[6:7], off offset:1024
	s_waitcnt vmcnt(0)
	ds_write_b16 v1, v3 offset:1024
.LBB598_15:
	s_or_b64 exec, exec, s[6:7]
.LBB598_16:
	s_andn2_saveexec_b64 s[4:5], s[4:5]
	s_cbranch_execz .LBB598_18
; %bb.17:
	global_load_ushort v3, v1, s[0:1] offset:1024
	s_waitcnt vmcnt(0)
	ds_write_b16 v1, v3 offset:1024
.LBB598_18:
	;; [unrolled: 32-line block ×7, first 2 shown]
	s_or_b64 exec, exec, s[4:5]
	v_or_b32_e32 v16, 0x800, v0
	v_mov_b32_e32 v17, 0
	v_cmp_le_u32_e32 vcc, s30, v16
	s_and_saveexec_b64 s[4:5], vcc
	s_xor_b64 s[4:5], exec, s[4:5]
	s_cbranch_execz .LBB598_52
; %bb.49:
	v_cmp_gt_u64_e32 vcc, s[2:3], v[16:17]
	s_and_saveexec_b64 s[6:7], vcc
	s_cbranch_execz .LBB598_51
; %bb.50:
	v_mov_b32_e32 v3, s31
	v_subrev_co_u32_e32 v18, vcc, s30, v16
	v_subb_co_u32_e32 v19, vcc, 0, v3, vcc
	v_lshlrev_b64 v[18:19], 1, v[18:19]
	v_mov_b32_e32 v3, s10
	v_add_co_u32_e32 v18, vcc, s9, v18
	v_addc_co_u32_e32 v19, vcc, v3, v19, vcc
	global_load_ushort v3, v[18:19], off
	s_waitcnt vmcnt(0)
	ds_write_b16 v1, v3 offset:4096
.LBB598_51:
	s_or_b64 exec, exec, s[6:7]
.LBB598_52:
	s_andn2_saveexec_b64 s[4:5], s[4:5]
	s_cbranch_execz .LBB598_54
; %bb.53:
	v_lshlrev_b32_e32 v3, 1, v16
	global_load_ushort v3, v3, s[0:1]
	s_waitcnt vmcnt(0)
	ds_write_b16 v1, v3 offset:4096
.LBB598_54:
	s_or_b64 exec, exec, s[4:5]
	v_or_b32_e32 v18, 0x900, v0
	v_mov_b32_e32 v19, 0
	v_cmp_le_u32_e32 vcc, s30, v18
	s_and_saveexec_b64 s[4:5], vcc
	s_xor_b64 s[4:5], exec, s[4:5]
	s_cbranch_execz .LBB598_58
; %bb.55:
	v_cmp_gt_u64_e32 vcc, s[2:3], v[18:19]
	s_and_saveexec_b64 s[6:7], vcc
	s_cbranch_execz .LBB598_57
; %bb.56:
	v_mov_b32_e32 v3, s31
	v_subrev_co_u32_e32 v20, vcc, s30, v18
	v_subb_co_u32_e32 v21, vcc, 0, v3, vcc
	v_lshlrev_b64 v[20:21], 1, v[20:21]
	v_mov_b32_e32 v3, s10
	v_add_co_u32_e32 v20, vcc, s9, v20
	v_addc_co_u32_e32 v21, vcc, v3, v21, vcc
	global_load_ushort v3, v[20:21], off
	s_waitcnt vmcnt(0)
	ds_write_b16 v1, v3 offset:4608
.LBB598_57:
	s_or_b64 exec, exec, s[6:7]
.LBB598_58:
	s_andn2_saveexec_b64 s[4:5], s[4:5]
	s_cbranch_execz .LBB598_60
; %bb.59:
	v_lshlrev_b32_e32 v3, 1, v18
	global_load_ushort v3, v3, s[0:1]
	s_waitcnt vmcnt(0)
	ds_write_b16 v1, v3 offset:4608
.LBB598_60:
	;; [unrolled: 33-line block ×8, first 2 shown]
	s_or_b64 exec, exec, s[2:3]
	v_lshlrev_b32_e32 v3, 4, v0
	v_sub_u32_e64 v9, v3, s8 clamp
	v_min_u32_e32 v5, s30, v3
	v_cmp_lt_u32_e32 vcc, v9, v5
	s_waitcnt lgkmcnt(0)
	s_barrier
	s_and_saveexec_b64 s[0:1], vcc
	s_cbranch_execz .LBB598_100
; %bb.97:
	v_lshlrev_b32_e32 v7, 1, v3
	v_lshl_add_u32 v7, s30, 1, v7
	s_mov_b64 s[2:3], 0
.LBB598_98:                             ; =>This Inner Loop Header: Depth=1
	v_add_u32_e32 v11, v5, v9
	v_lshrrev_b32_e32 v13, 1, v11
	v_not_b32_e32 v15, v13
	v_and_b32_e32 v11, -2, v11
	v_lshl_add_u32 v15, v15, 1, v7
	ds_read_u16 v11, v11
	ds_read_u16 v15, v15
	v_add_u32_e32 v17, 1, v13
	s_waitcnt lgkmcnt(0)
	v_cmp_gt_i16_e32 vcc, v15, v11
	v_cndmask_b32_e32 v5, v5, v13, vcc
	v_cndmask_b32_e32 v9, v17, v9, vcc
	v_cmp_ge_u32_e32 vcc, v9, v5
	s_or_b64 s[2:3], vcc, s[2:3]
	s_andn2_b64 exec, exec, s[2:3]
	s_cbranch_execnz .LBB598_98
; %bb.99:
	s_or_b64 exec, exec, s[2:3]
.LBB598_100:
	s_or_b64 exec, exec, s[0:1]
	v_add_u32_e32 v5, s30, v3
	s_add_i32 s31, s8, s30
	v_sub_u32_e32 v11, v5, v9
	v_cmp_ge_u32_e32 vcc, s30, v9
	v_cmp_ge_u32_e64 s[0:1], s31, v11
	s_or_b64 s[0:1], vcc, s[0:1]
                                        ; implicit-def: $vgpr5
                                        ; implicit-def: $vgpr7
                                        ; implicit-def: $vgpr13
                                        ; implicit-def: $vgpr15
                                        ; implicit-def: $vgpr17
                                        ; implicit-def: $vgpr19
                                        ; implicit-def: $vgpr21
                                        ; implicit-def: $vgpr23
	s_and_saveexec_b64 s[34:35], s[0:1]
	s_cbranch_execz .LBB598_106
; %bb.101:
	v_cmp_gt_u32_e32 vcc, s30, v9
                                        ; implicit-def: $vgpr5
	s_and_saveexec_b64 s[0:1], vcc
	s_cbranch_execz .LBB598_103
; %bb.102:
	v_lshlrev_b32_e32 v5, 1, v9
	ds_read_u16 v5, v5
.LBB598_103:
	s_or_b64 exec, exec, s[0:1]
	v_cmp_le_u32_e64 s[0:1], s31, v11
	v_cmp_gt_u32_e64 s[2:3], s31, v11
                                        ; implicit-def: $vgpr7
	s_and_saveexec_b64 s[4:5], s[2:3]
	s_cbranch_execz .LBB598_105
; %bb.104:
	v_lshlrev_b32_e32 v7, 1, v11
	ds_read_u16 v7, v7
.LBB598_105:
	s_or_b64 exec, exec, s[4:5]
	s_waitcnt lgkmcnt(0)
	v_cmp_le_i16_e64 s[2:3], v7, v5
	s_and_b64 s[2:3], vcc, s[2:3]
	s_or_b64 vcc, s[0:1], s[2:3]
	v_mov_b32_e32 v15, s31
	v_mov_b32_e32 v17, s30
	v_cndmask_b32_e32 v13, v11, v9, vcc
	v_cndmask_b32_e32 v19, v15, v17, vcc
	v_add_u32_e32 v13, 1, v13
	v_add_u32_e32 v19, -1, v19
	v_min_u32_e32 v19, v13, v19
	v_lshlrev_b32_e32 v19, 1, v19
	ds_read_u16 v19, v19
	v_cndmask_b32_e32 v9, v9, v13, vcc
	v_cndmask_b32_e32 v11, v13, v11, vcc
	v_cmp_gt_u32_e64 s[2:3], s30, v9
	v_cmp_le_u32_e64 s[0:1], s31, v11
	s_waitcnt lgkmcnt(0)
	v_cndmask_b32_e32 v21, v19, v7, vcc
	v_cndmask_b32_e32 v19, v5, v19, vcc
	v_cmp_le_i16_e64 s[4:5], v21, v19
	s_and_b64 s[2:3], s[2:3], s[4:5]
	s_or_b64 s[0:1], s[0:1], s[2:3]
	v_cndmask_b32_e64 v13, v11, v9, s[0:1]
	v_cndmask_b32_e64 v23, v15, v17, s[0:1]
	v_add_u32_e32 v13, 1, v13
	v_add_u32_e32 v23, -1, v23
	v_min_u32_e32 v23, v13, v23
	v_lshlrev_b32_e32 v23, 1, v23
	ds_read_u16 v23, v23
	v_cndmask_b32_e64 v9, v9, v13, s[0:1]
	v_cndmask_b32_e64 v11, v13, v11, s[0:1]
	v_cmp_gt_u32_e64 s[4:5], s30, v9
	v_cmp_le_u32_e64 s[2:3], s31, v11
	s_waitcnt lgkmcnt(0)
	v_cndmask_b32_e64 v25, v23, v21, s[0:1]
	v_cndmask_b32_e64 v23, v19, v23, s[0:1]
	v_cmp_le_i16_e64 s[6:7], v25, v23
	s_and_b64 s[4:5], s[4:5], s[6:7]
	s_or_b64 s[4:5], s[2:3], s[4:5]
	v_cndmask_b32_e64 v13, v11, v9, s[4:5]
	v_cndmask_b32_e64 v27, v15, v17, s[4:5]
	v_add_u32_e32 v13, 1, v13
	v_add_u32_e32 v27, -1, v27
	v_min_u32_e32 v27, v13, v27
	v_lshlrev_b32_e32 v27, 1, v27
	ds_read_u16 v27, v27
	v_cndmask_b32_e64 v9, v9, v13, s[4:5]
	v_cndmask_b32_e64 v11, v13, v11, s[4:5]
	v_cmp_gt_u32_e64 s[6:7], s30, v9
	v_cmp_le_u32_e64 s[2:3], s31, v11
	s_waitcnt lgkmcnt(0)
	v_cndmask_b32_e64 v29, v27, v25, s[4:5]
	v_cndmask_b32_e64 v27, v23, v27, s[4:5]
	;; [unrolled: 17-line block ×10, first 2 shown]
	v_cmp_le_i16_e64 s[24:25], v46, v45
	s_and_b64 s[22:23], s[22:23], s[24:25]
	s_or_b64 s[20:21], s[20:21], s[22:23]
	v_cndmask_b32_e64 v13, v11, v9, s[20:21]
	v_cndmask_b32_e64 v47, v15, v17, s[20:21]
	v_add_u32_e32 v13, 1, v13
	v_add_u32_e32 v47, -1, v47
	v_min_u32_e32 v47, v13, v47
	v_lshlrev_b32_e32 v47, 1, v47
	ds_read_u16 v47, v47
	v_cndmask_b32_e32 v5, v7, v5, vcc
	v_cndmask_b32_e64 v7, v21, v19, s[0:1]
	v_cndmask_b32_e64 v19, v25, v23, s[4:5]
	;; [unrolled: 1-line block ×3, first 2 shown]
	s_waitcnt lgkmcnt(0)
	v_cndmask_b32_e64 v21, v47, v46, s[20:21]
	v_cndmask_b32_e64 v23, v45, v47, s[20:21]
	;; [unrolled: 1-line block ×3, first 2 shown]
	v_cmp_gt_u32_e64 s[0:1], s30, v9
	v_cmp_le_i16_e64 s[4:5], v21, v23
	v_cmp_le_u32_e32 vcc, s31, v11
	s_and_b64 s[0:1], s[0:1], s[4:5]
	s_or_b64 vcc, vcc, s[0:1]
	v_cndmask_b32_e32 v13, v11, v9, vcc
	v_cndmask_b32_e32 v25, v15, v17, vcc
	v_add_u32_e32 v13, 1, v13
	v_add_u32_e32 v25, -1, v25
	v_min_u32_e32 v25, v13, v25
	v_lshlrev_b32_e32 v25, 1, v25
	ds_read_u16 v25, v25
	v_cndmask_b32_e64 v27, v29, v27, s[2:3]
	v_cndmask_b32_e64 v29, v32, v31, s[6:7]
	;; [unrolled: 1-line block ×3, first 2 shown]
	v_cndmask_b32_e32 v9, v9, v13, vcc
	s_waitcnt lgkmcnt(0)
	v_cndmask_b32_e32 v33, v25, v21, vcc
	v_cndmask_b32_e32 v25, v23, v25, vcc
	;; [unrolled: 1-line block ×3, first 2 shown]
	v_cmp_gt_u32_e64 s[2:3], s30, v9
	v_cmp_le_i16_e64 s[4:5], v33, v25
	v_cmp_le_u32_e64 s[0:1], s31, v11
	s_and_b64 s[2:3], s[2:3], s[4:5]
	s_or_b64 s[0:1], s[0:1], s[2:3]
	v_cndmask_b32_e64 v13, v11, v9, s[0:1]
	v_cndmask_b32_e64 v34, v15, v17, s[0:1]
	v_add_u32_e32 v13, 1, v13
	v_add_u32_e32 v34, -1, v34
	v_min_u32_e32 v34, v13, v34
	v_lshlrev_b32_e32 v34, 1, v34
	ds_read_u16 v34, v34
	v_cndmask_b32_e64 v32, v36, v35, s[12:13]
	v_cndmask_b32_e64 v36, v40, v39, s[14:15]
	;; [unrolled: 1-line block ×4, first 2 shown]
	s_waitcnt lgkmcnt(0)
	v_cndmask_b32_e64 v39, v34, v33, s[0:1]
	v_cndmask_b32_e64 v34, v25, v34, s[0:1]
	v_cmp_gt_u32_e64 s[4:5], s30, v9
	v_cmp_le_i16_e64 s[6:7], v39, v34
	v_cmp_le_u32_e64 s[2:3], s31, v11
	s_and_b64 s[4:5], s[4:5], s[6:7]
	s_or_b64 s[2:3], s[2:3], s[4:5]
	v_cndmask_b32_e64 v13, v11, v9, s[2:3]
	v_cndmask_b32_e64 v15, v15, v17, s[2:3]
	v_add_u32_e32 v13, 1, v13
	v_add_u32_e32 v15, -1, v15
	v_min_u32_e32 v15, v13, v15
	v_lshlrev_b32_e32 v15, 1, v15
	ds_read_u16 v15, v15
	v_cndmask_b32_e64 v9, v9, v13, s[2:3]
	v_cndmask_b32_e64 v25, v33, v25, s[0:1]
	;; [unrolled: 1-line block ×4, first 2 shown]
	s_waitcnt lgkmcnt(0)
	v_cndmask_b32_e64 v17, v15, v39, s[2:3]
	v_cndmask_b32_e64 v15, v34, v15, s[2:3]
	v_cmp_gt_u32_e64 s[0:1], s30, v9
	v_cmp_le_i16_e64 s[2:3], v17, v15
	v_cndmask_b32_e64 v35, v38, v37, s[10:11]
	v_cndmask_b32_e64 v37, v42, v41, s[16:17]
	v_cndmask_b32_e32 v41, v21, v23, vcc
	v_cmp_le_u32_e32 vcc, s31, v11
	s_and_b64 s[0:1], s[0:1], s[2:3]
	s_or_b64 vcc, vcc, s[0:1]
	v_cndmask_b32_e64 v38, v44, v43, s[18:19]
	v_cndmask_b32_e64 v40, v46, v45, s[20:21]
	v_cndmask_b32_e32 v9, v17, v15, vcc
	s_mov_b32 s0, 0x5040100
	v_perm_b32 v23, v7, v5, s0
	v_perm_b32 v21, v27, v19, s0
	;; [unrolled: 1-line block ×8, first 2 shown]
.LBB598_106:
	s_or_b64 exec, exec, s[34:35]
	s_sub_i32 s6, s29, s28
	s_mov_b32 s29, 0
	s_lshl_b64 s[0:1], s[28:29], 1
	s_add_u32 s0, s26, s0
	v_and_b32_e32 v9, 0xfc, v0
	s_addc_u32 s1, s27, s1
	v_lshl_add_u32 v3, v3, 1, v9
	s_cmpk_gt_u32 s6, 0xfff
	s_barrier
	ds_write2_b32 v3, v23, v21 offset1:1
	ds_write2_b32 v3, v19, v17 offset0:2 offset1:3
	ds_write2_b32 v3, v15, v13 offset0:4 offset1:5
	;; [unrolled: 1-line block ×3, first 2 shown]
	v_lshrrev_b32_e32 v32, 5, v2
	v_lshrrev_b32_e32 v31, 5, v4
	v_lshrrev_b32_e32 v29, 5, v6
	v_lshrrev_b32_e32 v27, 5, v8
	v_lshrrev_b32_e32 v25, 5, v10
	v_lshrrev_b32_e32 v23, 5, v12
	v_lshrrev_b32_e32 v21, 5, v14
	v_lshrrev_b32_e32 v19, 5, v16
	v_lshrrev_b32_e32 v17, 5, v18
	v_lshrrev_b32_e32 v15, 5, v20
	v_lshrrev_b32_e32 v13, 5, v22
	v_lshrrev_b32_e32 v11, 5, v24
	v_lshrrev_b32_e32 v9, 5, v26
	v_lshrrev_b32_e32 v7, 5, v28
	v_lshrrev_b32_e32 v5, 5, v30
	s_waitcnt lgkmcnt(0)
	s_cbranch_scc0 .LBB598_108
; %bb.107:
	v_lshrrev_b32_e32 v3, 5, v0
	v_and_b32_e32 v3, 6, v3
	v_and_b32_e32 v33, 14, v32
	;; [unrolled: 1-line block ×8, first 2 shown]
	v_add_lshl_u32 v3, v3, v0, 1
	v_add_lshl_u32 v33, v33, v0, 1
	;; [unrolled: 1-line block ×8, first 2 shown]
	s_barrier
	ds_read_u16 v40, v3
	ds_read_u16 v33, v33 offset:512
	ds_read_u16 v34, v34 offset:1024
	;; [unrolled: 1-line block ×7, first 2 shown]
	v_and_b32_e32 v3, 0x5e, v19
	v_and_b32_e32 v41, 0x7e, v17
	;; [unrolled: 1-line block ×8, first 2 shown]
	v_add_lshl_u32 v3, v3, v0, 1
	v_add_lshl_u32 v41, v41, v0, 1
	;; [unrolled: 1-line block ×8, first 2 shown]
	ds_read_u16 v48, v3 offset:4096
	ds_read_u16 v41, v41 offset:4608
	;; [unrolled: 1-line block ×8, first 2 shown]
	v_mov_b32_e32 v47, s1
	v_add_co_u32_e32 v49, vcc, s0, v1
	v_addc_co_u32_e32 v47, vcc, 0, v47, vcc
	s_waitcnt lgkmcnt(14)
	global_store_short v1, v40, s[0:1]
	global_store_short v1, v33, s[0:1] offset:512
	s_waitcnt lgkmcnt(13)
	global_store_short v1, v34, s[0:1] offset:1024
	s_waitcnt lgkmcnt(12)
	;; [unrolled: 2-line block ×6, first 2 shown]
	global_store_short v1, v39, s[0:1] offset:3584
	v_add_co_u32_e32 v34, vcc, 0x1000, v49
	v_addc_co_u32_e32 v35, vcc, 0, v47, vcc
	s_waitcnt lgkmcnt(7)
	global_store_short v[34:35], v48, off
	s_waitcnt lgkmcnt(6)
	global_store_short v[34:35], v41, off offset:512
	s_waitcnt lgkmcnt(5)
	global_store_short v[34:35], v42, off offset:1024
	;; [unrolled: 2-line block ×6, first 2 shown]
	s_mov_b64 s[2:3], -1
	s_cbranch_execz .LBB598_109
	s_branch .LBB598_126
.LBB598_108:
	s_mov_b64 s[2:3], 0
                                        ; implicit-def: $vgpr3
.LBB598_109:
	s_waitcnt lgkmcnt(0)
	v_and_b32_e32 v3, 14, v32
	v_and_b32_e32 v31, 30, v31
	v_and_b32_e32 v29, 30, v29
	v_and_b32_e32 v27, 62, v27
	v_and_b32_e32 v25, 62, v25
	v_and_b32_e32 v23, 62, v23
	v_and_b32_e32 v21, 62, v21
	v_and_b32_e32 v19, 0x5e, v19
	v_add_lshl_u32 v3, v3, v0, 1
	v_add_lshl_u32 v31, v31, v0, 1
	;; [unrolled: 1-line block ×8, first 2 shown]
	s_barrier
	ds_read_u16 v34, v3 offset:512
	ds_read_u16 v31, v31 offset:1024
	;; [unrolled: 1-line block ×8, first 2 shown]
	v_and_b32_e32 v3, 0x7e, v17
	v_add_lshl_u32 v3, v3, v0, 1
	v_and_b32_e32 v15, 0x7e, v15
	v_and_b32_e32 v13, 0x7e, v13
	;; [unrolled: 1-line block ×6, first 2 shown]
	v_add_lshl_u32 v17, v15, v0, 1
	v_add_lshl_u32 v32, v13, v0, 1
	;; [unrolled: 1-line block ×6, first 2 shown]
	ds_read_u16 v15, v3 offset:4608
	ds_read_u16 v13, v17 offset:5120
	;; [unrolled: 1-line block ×7, first 2 shown]
	v_mov_b32_e32 v17, s1
	v_add_co_u32_e32 v32, vcc, s0, v1
	v_addc_co_u32_e32 v33, vcc, 0, v17, vcc
	v_cmp_gt_u32_e32 vcc, s6, v0
	s_and_saveexec_b64 s[2:3], vcc
	s_cbranch_execnz .LBB598_129
; %bb.110:
	s_or_b64 exec, exec, s[2:3]
	v_cmp_gt_u32_e32 vcc, s6, v2
	s_and_saveexec_b64 s[2:3], vcc
	s_cbranch_execnz .LBB598_130
.LBB598_111:
	s_or_b64 exec, exec, s[2:3]
	v_cmp_gt_u32_e32 vcc, s6, v4
	s_and_saveexec_b64 s[2:3], vcc
	s_cbranch_execnz .LBB598_131
.LBB598_112:
	s_or_b64 exec, exec, s[2:3]
	v_cmp_gt_u32_e32 vcc, s6, v6
	s_and_saveexec_b64 s[2:3], vcc
	s_cbranch_execnz .LBB598_132
.LBB598_113:
	s_or_b64 exec, exec, s[2:3]
	v_cmp_gt_u32_e32 vcc, s6, v8
	s_and_saveexec_b64 s[2:3], vcc
	s_cbranch_execnz .LBB598_133
.LBB598_114:
	s_or_b64 exec, exec, s[2:3]
	v_cmp_gt_u32_e32 vcc, s6, v10
	s_and_saveexec_b64 s[2:3], vcc
	s_cbranch_execnz .LBB598_134
.LBB598_115:
	s_or_b64 exec, exec, s[2:3]
	v_cmp_gt_u32_e32 vcc, s6, v12
	s_and_saveexec_b64 s[2:3], vcc
	s_cbranch_execnz .LBB598_135
.LBB598_116:
	s_or_b64 exec, exec, s[2:3]
	v_cmp_gt_u32_e32 vcc, s6, v14
	s_and_saveexec_b64 s[2:3], vcc
	s_cbranch_execnz .LBB598_136
.LBB598_117:
	s_or_b64 exec, exec, s[2:3]
	v_cmp_gt_u32_e32 vcc, s6, v16
	s_and_saveexec_b64 s[2:3], vcc
	s_cbranch_execnz .LBB598_137
.LBB598_118:
	s_or_b64 exec, exec, s[2:3]
	v_cmp_gt_u32_e32 vcc, s6, v18
	s_and_saveexec_b64 s[2:3], vcc
	s_cbranch_execnz .LBB598_138
.LBB598_119:
	s_or_b64 exec, exec, s[2:3]
	v_cmp_gt_u32_e32 vcc, s6, v20
	s_and_saveexec_b64 s[2:3], vcc
	s_cbranch_execnz .LBB598_139
.LBB598_120:
	s_or_b64 exec, exec, s[2:3]
	v_cmp_gt_u32_e32 vcc, s6, v22
	s_and_saveexec_b64 s[2:3], vcc
	s_cbranch_execnz .LBB598_140
.LBB598_121:
	s_or_b64 exec, exec, s[2:3]
	v_cmp_gt_u32_e32 vcc, s6, v24
	s_and_saveexec_b64 s[2:3], vcc
	s_cbranch_execnz .LBB598_141
.LBB598_122:
	s_or_b64 exec, exec, s[2:3]
	v_cmp_gt_u32_e32 vcc, s6, v26
	s_and_saveexec_b64 s[2:3], vcc
	s_cbranch_execnz .LBB598_142
.LBB598_123:
	s_or_b64 exec, exec, s[2:3]
	v_cmp_gt_u32_e32 vcc, s6, v28
	s_and_saveexec_b64 s[2:3], vcc
	s_cbranch_execz .LBB598_125
.LBB598_124:
	v_add_co_u32_e32 v6, vcc, 0x1000, v32
	s_waitcnt lgkmcnt(2)
	v_addc_co_u32_e32 v7, vcc, 0, v33, vcc
	s_waitcnt lgkmcnt(1)
	global_store_short v[6:7], v5, off offset:3072
.LBB598_125:
	s_or_b64 exec, exec, s[2:3]
	v_cmp_gt_u32_e64 s[2:3], s6, v30
.LBB598_126:
	s_and_saveexec_b64 s[4:5], s[2:3]
	s_cbranch_execnz .LBB598_128
; %bb.127:
	s_endpgm
.LBB598_128:
	v_mov_b32_e32 v0, s1
	v_add_co_u32_e32 v1, vcc, s0, v1
	v_addc_co_u32_e32 v2, vcc, 0, v0, vcc
	v_add_co_u32_e32 v0, vcc, 0x1000, v1
	v_addc_co_u32_e32 v1, vcc, 0, v2, vcc
	s_waitcnt lgkmcnt(0)
	global_store_short v[0:1], v3, off offset:3584
	s_endpgm
.LBB598_129:
	v_lshrrev_b32_e32 v17, 5, v0
	v_and_b32_e32 v17, 6, v17
	v_add_lshl_u32 v0, v17, v0, 1
	ds_read_u16 v0, v0
	s_waitcnt lgkmcnt(0)
	global_store_short v[32:33], v0, off
	s_or_b64 exec, exec, s[2:3]
	v_cmp_gt_u32_e32 vcc, s6, v2
	s_and_saveexec_b64 s[2:3], vcc
	s_cbranch_execz .LBB598_111
.LBB598_130:
	s_waitcnt lgkmcnt(14)
	global_store_short v[32:33], v34, off offset:512
	s_or_b64 exec, exec, s[2:3]
	v_cmp_gt_u32_e32 vcc, s6, v4
	s_and_saveexec_b64 s[2:3], vcc
	s_cbranch_execz .LBB598_112
.LBB598_131:
	s_waitcnt lgkmcnt(13)
	global_store_short v[32:33], v31, off offset:1024
	s_or_b64 exec, exec, s[2:3]
	v_cmp_gt_u32_e32 vcc, s6, v6
	s_and_saveexec_b64 s[2:3], vcc
	s_cbranch_execz .LBB598_113
.LBB598_132:
	s_waitcnt lgkmcnt(12)
	global_store_short v[32:33], v29, off offset:1536
	s_or_b64 exec, exec, s[2:3]
	v_cmp_gt_u32_e32 vcc, s6, v8
	s_and_saveexec_b64 s[2:3], vcc
	s_cbranch_execz .LBB598_114
.LBB598_133:
	s_waitcnt lgkmcnt(11)
	global_store_short v[32:33], v27, off offset:2048
	s_or_b64 exec, exec, s[2:3]
	v_cmp_gt_u32_e32 vcc, s6, v10
	s_and_saveexec_b64 s[2:3], vcc
	s_cbranch_execz .LBB598_115
.LBB598_134:
	s_waitcnt lgkmcnt(10)
	global_store_short v[32:33], v25, off offset:2560
	s_or_b64 exec, exec, s[2:3]
	v_cmp_gt_u32_e32 vcc, s6, v12
	s_and_saveexec_b64 s[2:3], vcc
	s_cbranch_execz .LBB598_116
.LBB598_135:
	s_waitcnt lgkmcnt(9)
	global_store_short v[32:33], v23, off offset:3072
	s_or_b64 exec, exec, s[2:3]
	v_cmp_gt_u32_e32 vcc, s6, v14
	s_and_saveexec_b64 s[2:3], vcc
	s_cbranch_execz .LBB598_117
.LBB598_136:
	s_waitcnt lgkmcnt(8)
	global_store_short v[32:33], v21, off offset:3584
	s_or_b64 exec, exec, s[2:3]
	v_cmp_gt_u32_e32 vcc, s6, v16
	s_and_saveexec_b64 s[2:3], vcc
	s_cbranch_execz .LBB598_118
.LBB598_137:
	v_add_co_u32_e32 v16, vcc, 0x1000, v32
	v_addc_co_u32_e32 v17, vcc, 0, v33, vcc
	s_waitcnt lgkmcnt(7)
	global_store_short v[16:17], v19, off
	s_or_b64 exec, exec, s[2:3]
	v_cmp_gt_u32_e32 vcc, s6, v18
	s_and_saveexec_b64 s[2:3], vcc
	s_cbranch_execz .LBB598_119
.LBB598_138:
	v_add_co_u32_e32 v16, vcc, 0x1000, v32
	v_addc_co_u32_e32 v17, vcc, 0, v33, vcc
	s_waitcnt lgkmcnt(6)
	global_store_short v[16:17], v15, off offset:512
	s_or_b64 exec, exec, s[2:3]
	v_cmp_gt_u32_e32 vcc, s6, v20
	s_and_saveexec_b64 s[2:3], vcc
	s_cbranch_execz .LBB598_120
.LBB598_139:
	v_add_co_u32_e32 v14, vcc, 0x1000, v32
	s_waitcnt lgkmcnt(6)
	v_addc_co_u32_e32 v15, vcc, 0, v33, vcc
	s_waitcnt lgkmcnt(5)
	global_store_short v[14:15], v13, off offset:1024
	s_or_b64 exec, exec, s[2:3]
	v_cmp_gt_u32_e32 vcc, s6, v22
	s_and_saveexec_b64 s[2:3], vcc
	s_cbranch_execz .LBB598_121
.LBB598_140:
	v_add_co_u32_e32 v12, vcc, 0x1000, v32
	s_waitcnt lgkmcnt(5)
	v_addc_co_u32_e32 v13, vcc, 0, v33, vcc
	s_waitcnt lgkmcnt(4)
	global_store_short v[12:13], v11, off offset:1536
	s_or_b64 exec, exec, s[2:3]
	v_cmp_gt_u32_e32 vcc, s6, v24
	s_and_saveexec_b64 s[2:3], vcc
	s_cbranch_execz .LBB598_122
.LBB598_141:
	v_add_co_u32_e32 v10, vcc, 0x1000, v32
	s_waitcnt lgkmcnt(4)
	v_addc_co_u32_e32 v11, vcc, 0, v33, vcc
	s_waitcnt lgkmcnt(3)
	global_store_short v[10:11], v9, off offset:2048
	s_or_b64 exec, exec, s[2:3]
	v_cmp_gt_u32_e32 vcc, s6, v26
	s_and_saveexec_b64 s[2:3], vcc
	s_cbranch_execz .LBB598_123
.LBB598_142:
	v_add_co_u32_e32 v8, vcc, 0x1000, v32
	s_waitcnt lgkmcnt(3)
	v_addc_co_u32_e32 v9, vcc, 0, v33, vcc
	s_waitcnt lgkmcnt(2)
	global_store_short v[8:9], v7, off offset:2560
	s_or_b64 exec, exec, s[2:3]
	v_cmp_gt_u32_e32 vcc, s6, v28
	s_and_saveexec_b64 s[2:3], vcc
	s_cbranch_execnz .LBB598_124
	s_branch .LBB598_125
	.section	.rodata,"a",@progbits
	.p2align	6, 0x0
	.amdhsa_kernel _ZN7rocprim17ROCPRIM_400000_NS6detail17trampoline_kernelINS0_14default_configENS1_21merge_config_selectorIsNS0_10empty_typeEEEZNS1_10merge_implIS3_N6thrust23THRUST_200600_302600_NS6detail15normal_iteratorINS9_10device_ptrIKsEEEESF_NSB_INSC_IsEEEEPS5_SI_SI_NS9_7greaterIsEEEE10hipError_tPvRmT0_T1_T2_T3_T4_T5_mmT6_P12ihipStream_tbEUlT_E0_NS1_11comp_targetILNS1_3genE4ELNS1_11target_archE910ELNS1_3gpuE8ELNS1_3repE0EEENS1_30default_config_static_selectorELNS0_4arch9wavefront6targetE1EEEvSP_
		.amdhsa_group_segment_fixed_size 8448
		.amdhsa_private_segment_fixed_size 0
		.amdhsa_kernarg_size 88
		.amdhsa_user_sgpr_count 6
		.amdhsa_user_sgpr_private_segment_buffer 1
		.amdhsa_user_sgpr_dispatch_ptr 0
		.amdhsa_user_sgpr_queue_ptr 0
		.amdhsa_user_sgpr_kernarg_segment_ptr 1
		.amdhsa_user_sgpr_dispatch_id 0
		.amdhsa_user_sgpr_flat_scratch_init 0
		.amdhsa_user_sgpr_kernarg_preload_length 0
		.amdhsa_user_sgpr_kernarg_preload_offset 0
		.amdhsa_user_sgpr_private_segment_size 0
		.amdhsa_uses_dynamic_stack 0
		.amdhsa_system_sgpr_private_segment_wavefront_offset 0
		.amdhsa_system_sgpr_workgroup_id_x 1
		.amdhsa_system_sgpr_workgroup_id_y 0
		.amdhsa_system_sgpr_workgroup_id_z 0
		.amdhsa_system_sgpr_workgroup_info 0
		.amdhsa_system_vgpr_workitem_id 0
		.amdhsa_next_free_vgpr 50
		.amdhsa_next_free_sgpr 36
		.amdhsa_accum_offset 52
		.amdhsa_reserve_vcc 1
		.amdhsa_reserve_flat_scratch 0
		.amdhsa_float_round_mode_32 0
		.amdhsa_float_round_mode_16_64 0
		.amdhsa_float_denorm_mode_32 3
		.amdhsa_float_denorm_mode_16_64 3
		.amdhsa_dx10_clamp 1
		.amdhsa_ieee_mode 1
		.amdhsa_fp16_overflow 0
		.amdhsa_tg_split 0
		.amdhsa_exception_fp_ieee_invalid_op 0
		.amdhsa_exception_fp_denorm_src 0
		.amdhsa_exception_fp_ieee_div_zero 0
		.amdhsa_exception_fp_ieee_overflow 0
		.amdhsa_exception_fp_ieee_underflow 0
		.amdhsa_exception_fp_ieee_inexact 0
		.amdhsa_exception_int_div_zero 0
	.end_amdhsa_kernel
	.section	.text._ZN7rocprim17ROCPRIM_400000_NS6detail17trampoline_kernelINS0_14default_configENS1_21merge_config_selectorIsNS0_10empty_typeEEEZNS1_10merge_implIS3_N6thrust23THRUST_200600_302600_NS6detail15normal_iteratorINS9_10device_ptrIKsEEEESF_NSB_INSC_IsEEEEPS5_SI_SI_NS9_7greaterIsEEEE10hipError_tPvRmT0_T1_T2_T3_T4_T5_mmT6_P12ihipStream_tbEUlT_E0_NS1_11comp_targetILNS1_3genE4ELNS1_11target_archE910ELNS1_3gpuE8ELNS1_3repE0EEENS1_30default_config_static_selectorELNS0_4arch9wavefront6targetE1EEEvSP_,"axG",@progbits,_ZN7rocprim17ROCPRIM_400000_NS6detail17trampoline_kernelINS0_14default_configENS1_21merge_config_selectorIsNS0_10empty_typeEEEZNS1_10merge_implIS3_N6thrust23THRUST_200600_302600_NS6detail15normal_iteratorINS9_10device_ptrIKsEEEESF_NSB_INSC_IsEEEEPS5_SI_SI_NS9_7greaterIsEEEE10hipError_tPvRmT0_T1_T2_T3_T4_T5_mmT6_P12ihipStream_tbEUlT_E0_NS1_11comp_targetILNS1_3genE4ELNS1_11target_archE910ELNS1_3gpuE8ELNS1_3repE0EEENS1_30default_config_static_selectorELNS0_4arch9wavefront6targetE1EEEvSP_,comdat
.Lfunc_end598:
	.size	_ZN7rocprim17ROCPRIM_400000_NS6detail17trampoline_kernelINS0_14default_configENS1_21merge_config_selectorIsNS0_10empty_typeEEEZNS1_10merge_implIS3_N6thrust23THRUST_200600_302600_NS6detail15normal_iteratorINS9_10device_ptrIKsEEEESF_NSB_INSC_IsEEEEPS5_SI_SI_NS9_7greaterIsEEEE10hipError_tPvRmT0_T1_T2_T3_T4_T5_mmT6_P12ihipStream_tbEUlT_E0_NS1_11comp_targetILNS1_3genE4ELNS1_11target_archE910ELNS1_3gpuE8ELNS1_3repE0EEENS1_30default_config_static_selectorELNS0_4arch9wavefront6targetE1EEEvSP_, .Lfunc_end598-_ZN7rocprim17ROCPRIM_400000_NS6detail17trampoline_kernelINS0_14default_configENS1_21merge_config_selectorIsNS0_10empty_typeEEEZNS1_10merge_implIS3_N6thrust23THRUST_200600_302600_NS6detail15normal_iteratorINS9_10device_ptrIKsEEEESF_NSB_INSC_IsEEEEPS5_SI_SI_NS9_7greaterIsEEEE10hipError_tPvRmT0_T1_T2_T3_T4_T5_mmT6_P12ihipStream_tbEUlT_E0_NS1_11comp_targetILNS1_3genE4ELNS1_11target_archE910ELNS1_3gpuE8ELNS1_3repE0EEENS1_30default_config_static_selectorELNS0_4arch9wavefront6targetE1EEEvSP_
                                        ; -- End function
	.section	.AMDGPU.csdata,"",@progbits
; Kernel info:
; codeLenInByte = 6164
; NumSgprs: 40
; NumVgprs: 50
; NumAgprs: 0
; TotalNumVgprs: 50
; ScratchSize: 0
; MemoryBound: 0
; FloatMode: 240
; IeeeMode: 1
; LDSByteSize: 8448 bytes/workgroup (compile time only)
; SGPRBlocks: 4
; VGPRBlocks: 6
; NumSGPRsForWavesPerEU: 40
; NumVGPRsForWavesPerEU: 50
; AccumOffset: 52
; Occupancy: 7
; WaveLimiterHint : 1
; COMPUTE_PGM_RSRC2:SCRATCH_EN: 0
; COMPUTE_PGM_RSRC2:USER_SGPR: 6
; COMPUTE_PGM_RSRC2:TRAP_HANDLER: 0
; COMPUTE_PGM_RSRC2:TGID_X_EN: 1
; COMPUTE_PGM_RSRC2:TGID_Y_EN: 0
; COMPUTE_PGM_RSRC2:TGID_Z_EN: 0
; COMPUTE_PGM_RSRC2:TIDIG_COMP_CNT: 0
; COMPUTE_PGM_RSRC3_GFX90A:ACCUM_OFFSET: 12
; COMPUTE_PGM_RSRC3_GFX90A:TG_SPLIT: 0
	.section	.text._ZN7rocprim17ROCPRIM_400000_NS6detail17trampoline_kernelINS0_14default_configENS1_21merge_config_selectorIsNS0_10empty_typeEEEZNS1_10merge_implIS3_N6thrust23THRUST_200600_302600_NS6detail15normal_iteratorINS9_10device_ptrIKsEEEESF_NSB_INSC_IsEEEEPS5_SI_SI_NS9_7greaterIsEEEE10hipError_tPvRmT0_T1_T2_T3_T4_T5_mmT6_P12ihipStream_tbEUlT_E0_NS1_11comp_targetILNS1_3genE3ELNS1_11target_archE908ELNS1_3gpuE7ELNS1_3repE0EEENS1_30default_config_static_selectorELNS0_4arch9wavefront6targetE1EEEvSP_,"axG",@progbits,_ZN7rocprim17ROCPRIM_400000_NS6detail17trampoline_kernelINS0_14default_configENS1_21merge_config_selectorIsNS0_10empty_typeEEEZNS1_10merge_implIS3_N6thrust23THRUST_200600_302600_NS6detail15normal_iteratorINS9_10device_ptrIKsEEEESF_NSB_INSC_IsEEEEPS5_SI_SI_NS9_7greaterIsEEEE10hipError_tPvRmT0_T1_T2_T3_T4_T5_mmT6_P12ihipStream_tbEUlT_E0_NS1_11comp_targetILNS1_3genE3ELNS1_11target_archE908ELNS1_3gpuE7ELNS1_3repE0EEENS1_30default_config_static_selectorELNS0_4arch9wavefront6targetE1EEEvSP_,comdat
	.protected	_ZN7rocprim17ROCPRIM_400000_NS6detail17trampoline_kernelINS0_14default_configENS1_21merge_config_selectorIsNS0_10empty_typeEEEZNS1_10merge_implIS3_N6thrust23THRUST_200600_302600_NS6detail15normal_iteratorINS9_10device_ptrIKsEEEESF_NSB_INSC_IsEEEEPS5_SI_SI_NS9_7greaterIsEEEE10hipError_tPvRmT0_T1_T2_T3_T4_T5_mmT6_P12ihipStream_tbEUlT_E0_NS1_11comp_targetILNS1_3genE3ELNS1_11target_archE908ELNS1_3gpuE7ELNS1_3repE0EEENS1_30default_config_static_selectorELNS0_4arch9wavefront6targetE1EEEvSP_ ; -- Begin function _ZN7rocprim17ROCPRIM_400000_NS6detail17trampoline_kernelINS0_14default_configENS1_21merge_config_selectorIsNS0_10empty_typeEEEZNS1_10merge_implIS3_N6thrust23THRUST_200600_302600_NS6detail15normal_iteratorINS9_10device_ptrIKsEEEESF_NSB_INSC_IsEEEEPS5_SI_SI_NS9_7greaterIsEEEE10hipError_tPvRmT0_T1_T2_T3_T4_T5_mmT6_P12ihipStream_tbEUlT_E0_NS1_11comp_targetILNS1_3genE3ELNS1_11target_archE908ELNS1_3gpuE7ELNS1_3repE0EEENS1_30default_config_static_selectorELNS0_4arch9wavefront6targetE1EEEvSP_
	.globl	_ZN7rocprim17ROCPRIM_400000_NS6detail17trampoline_kernelINS0_14default_configENS1_21merge_config_selectorIsNS0_10empty_typeEEEZNS1_10merge_implIS3_N6thrust23THRUST_200600_302600_NS6detail15normal_iteratorINS9_10device_ptrIKsEEEESF_NSB_INSC_IsEEEEPS5_SI_SI_NS9_7greaterIsEEEE10hipError_tPvRmT0_T1_T2_T3_T4_T5_mmT6_P12ihipStream_tbEUlT_E0_NS1_11comp_targetILNS1_3genE3ELNS1_11target_archE908ELNS1_3gpuE7ELNS1_3repE0EEENS1_30default_config_static_selectorELNS0_4arch9wavefront6targetE1EEEvSP_
	.p2align	8
	.type	_ZN7rocprim17ROCPRIM_400000_NS6detail17trampoline_kernelINS0_14default_configENS1_21merge_config_selectorIsNS0_10empty_typeEEEZNS1_10merge_implIS3_N6thrust23THRUST_200600_302600_NS6detail15normal_iteratorINS9_10device_ptrIKsEEEESF_NSB_INSC_IsEEEEPS5_SI_SI_NS9_7greaterIsEEEE10hipError_tPvRmT0_T1_T2_T3_T4_T5_mmT6_P12ihipStream_tbEUlT_E0_NS1_11comp_targetILNS1_3genE3ELNS1_11target_archE908ELNS1_3gpuE7ELNS1_3repE0EEENS1_30default_config_static_selectorELNS0_4arch9wavefront6targetE1EEEvSP_,@function
_ZN7rocprim17ROCPRIM_400000_NS6detail17trampoline_kernelINS0_14default_configENS1_21merge_config_selectorIsNS0_10empty_typeEEEZNS1_10merge_implIS3_N6thrust23THRUST_200600_302600_NS6detail15normal_iteratorINS9_10device_ptrIKsEEEESF_NSB_INSC_IsEEEEPS5_SI_SI_NS9_7greaterIsEEEE10hipError_tPvRmT0_T1_T2_T3_T4_T5_mmT6_P12ihipStream_tbEUlT_E0_NS1_11comp_targetILNS1_3genE3ELNS1_11target_archE908ELNS1_3gpuE7ELNS1_3repE0EEENS1_30default_config_static_selectorELNS0_4arch9wavefront6targetE1EEEvSP_: ; @_ZN7rocprim17ROCPRIM_400000_NS6detail17trampoline_kernelINS0_14default_configENS1_21merge_config_selectorIsNS0_10empty_typeEEEZNS1_10merge_implIS3_N6thrust23THRUST_200600_302600_NS6detail15normal_iteratorINS9_10device_ptrIKsEEEESF_NSB_INSC_IsEEEEPS5_SI_SI_NS9_7greaterIsEEEE10hipError_tPvRmT0_T1_T2_T3_T4_T5_mmT6_P12ihipStream_tbEUlT_E0_NS1_11comp_targetILNS1_3genE3ELNS1_11target_archE908ELNS1_3gpuE7ELNS1_3repE0EEENS1_30default_config_static_selectorELNS0_4arch9wavefront6targetE1EEEvSP_
; %bb.0:
	.section	.rodata,"a",@progbits
	.p2align	6, 0x0
	.amdhsa_kernel _ZN7rocprim17ROCPRIM_400000_NS6detail17trampoline_kernelINS0_14default_configENS1_21merge_config_selectorIsNS0_10empty_typeEEEZNS1_10merge_implIS3_N6thrust23THRUST_200600_302600_NS6detail15normal_iteratorINS9_10device_ptrIKsEEEESF_NSB_INSC_IsEEEEPS5_SI_SI_NS9_7greaterIsEEEE10hipError_tPvRmT0_T1_T2_T3_T4_T5_mmT6_P12ihipStream_tbEUlT_E0_NS1_11comp_targetILNS1_3genE3ELNS1_11target_archE908ELNS1_3gpuE7ELNS1_3repE0EEENS1_30default_config_static_selectorELNS0_4arch9wavefront6targetE1EEEvSP_
		.amdhsa_group_segment_fixed_size 0
		.amdhsa_private_segment_fixed_size 0
		.amdhsa_kernarg_size 88
		.amdhsa_user_sgpr_count 6
		.amdhsa_user_sgpr_private_segment_buffer 1
		.amdhsa_user_sgpr_dispatch_ptr 0
		.amdhsa_user_sgpr_queue_ptr 0
		.amdhsa_user_sgpr_kernarg_segment_ptr 1
		.amdhsa_user_sgpr_dispatch_id 0
		.amdhsa_user_sgpr_flat_scratch_init 0
		.amdhsa_user_sgpr_kernarg_preload_length 0
		.amdhsa_user_sgpr_kernarg_preload_offset 0
		.amdhsa_user_sgpr_private_segment_size 0
		.amdhsa_uses_dynamic_stack 0
		.amdhsa_system_sgpr_private_segment_wavefront_offset 0
		.amdhsa_system_sgpr_workgroup_id_x 1
		.amdhsa_system_sgpr_workgroup_id_y 0
		.amdhsa_system_sgpr_workgroup_id_z 0
		.amdhsa_system_sgpr_workgroup_info 0
		.amdhsa_system_vgpr_workitem_id 0
		.amdhsa_next_free_vgpr 1
		.amdhsa_next_free_sgpr 0
		.amdhsa_accum_offset 4
		.amdhsa_reserve_vcc 0
		.amdhsa_reserve_flat_scratch 0
		.amdhsa_float_round_mode_32 0
		.amdhsa_float_round_mode_16_64 0
		.amdhsa_float_denorm_mode_32 3
		.amdhsa_float_denorm_mode_16_64 3
		.amdhsa_dx10_clamp 1
		.amdhsa_ieee_mode 1
		.amdhsa_fp16_overflow 0
		.amdhsa_tg_split 0
		.amdhsa_exception_fp_ieee_invalid_op 0
		.amdhsa_exception_fp_denorm_src 0
		.amdhsa_exception_fp_ieee_div_zero 0
		.amdhsa_exception_fp_ieee_overflow 0
		.amdhsa_exception_fp_ieee_underflow 0
		.amdhsa_exception_fp_ieee_inexact 0
		.amdhsa_exception_int_div_zero 0
	.end_amdhsa_kernel
	.section	.text._ZN7rocprim17ROCPRIM_400000_NS6detail17trampoline_kernelINS0_14default_configENS1_21merge_config_selectorIsNS0_10empty_typeEEEZNS1_10merge_implIS3_N6thrust23THRUST_200600_302600_NS6detail15normal_iteratorINS9_10device_ptrIKsEEEESF_NSB_INSC_IsEEEEPS5_SI_SI_NS9_7greaterIsEEEE10hipError_tPvRmT0_T1_T2_T3_T4_T5_mmT6_P12ihipStream_tbEUlT_E0_NS1_11comp_targetILNS1_3genE3ELNS1_11target_archE908ELNS1_3gpuE7ELNS1_3repE0EEENS1_30default_config_static_selectorELNS0_4arch9wavefront6targetE1EEEvSP_,"axG",@progbits,_ZN7rocprim17ROCPRIM_400000_NS6detail17trampoline_kernelINS0_14default_configENS1_21merge_config_selectorIsNS0_10empty_typeEEEZNS1_10merge_implIS3_N6thrust23THRUST_200600_302600_NS6detail15normal_iteratorINS9_10device_ptrIKsEEEESF_NSB_INSC_IsEEEEPS5_SI_SI_NS9_7greaterIsEEEE10hipError_tPvRmT0_T1_T2_T3_T4_T5_mmT6_P12ihipStream_tbEUlT_E0_NS1_11comp_targetILNS1_3genE3ELNS1_11target_archE908ELNS1_3gpuE7ELNS1_3repE0EEENS1_30default_config_static_selectorELNS0_4arch9wavefront6targetE1EEEvSP_,comdat
.Lfunc_end599:
	.size	_ZN7rocprim17ROCPRIM_400000_NS6detail17trampoline_kernelINS0_14default_configENS1_21merge_config_selectorIsNS0_10empty_typeEEEZNS1_10merge_implIS3_N6thrust23THRUST_200600_302600_NS6detail15normal_iteratorINS9_10device_ptrIKsEEEESF_NSB_INSC_IsEEEEPS5_SI_SI_NS9_7greaterIsEEEE10hipError_tPvRmT0_T1_T2_T3_T4_T5_mmT6_P12ihipStream_tbEUlT_E0_NS1_11comp_targetILNS1_3genE3ELNS1_11target_archE908ELNS1_3gpuE7ELNS1_3repE0EEENS1_30default_config_static_selectorELNS0_4arch9wavefront6targetE1EEEvSP_, .Lfunc_end599-_ZN7rocprim17ROCPRIM_400000_NS6detail17trampoline_kernelINS0_14default_configENS1_21merge_config_selectorIsNS0_10empty_typeEEEZNS1_10merge_implIS3_N6thrust23THRUST_200600_302600_NS6detail15normal_iteratorINS9_10device_ptrIKsEEEESF_NSB_INSC_IsEEEEPS5_SI_SI_NS9_7greaterIsEEEE10hipError_tPvRmT0_T1_T2_T3_T4_T5_mmT6_P12ihipStream_tbEUlT_E0_NS1_11comp_targetILNS1_3genE3ELNS1_11target_archE908ELNS1_3gpuE7ELNS1_3repE0EEENS1_30default_config_static_selectorELNS0_4arch9wavefront6targetE1EEEvSP_
                                        ; -- End function
	.section	.AMDGPU.csdata,"",@progbits
; Kernel info:
; codeLenInByte = 0
; NumSgprs: 4
; NumVgprs: 0
; NumAgprs: 0
; TotalNumVgprs: 0
; ScratchSize: 0
; MemoryBound: 0
; FloatMode: 240
; IeeeMode: 1
; LDSByteSize: 0 bytes/workgroup (compile time only)
; SGPRBlocks: 0
; VGPRBlocks: 0
; NumSGPRsForWavesPerEU: 4
; NumVGPRsForWavesPerEU: 1
; AccumOffset: 4
; Occupancy: 8
; WaveLimiterHint : 0
; COMPUTE_PGM_RSRC2:SCRATCH_EN: 0
; COMPUTE_PGM_RSRC2:USER_SGPR: 6
; COMPUTE_PGM_RSRC2:TRAP_HANDLER: 0
; COMPUTE_PGM_RSRC2:TGID_X_EN: 1
; COMPUTE_PGM_RSRC2:TGID_Y_EN: 0
; COMPUTE_PGM_RSRC2:TGID_Z_EN: 0
; COMPUTE_PGM_RSRC2:TIDIG_COMP_CNT: 0
; COMPUTE_PGM_RSRC3_GFX90A:ACCUM_OFFSET: 0
; COMPUTE_PGM_RSRC3_GFX90A:TG_SPLIT: 0
	.section	.text._ZN7rocprim17ROCPRIM_400000_NS6detail17trampoline_kernelINS0_14default_configENS1_21merge_config_selectorIsNS0_10empty_typeEEEZNS1_10merge_implIS3_N6thrust23THRUST_200600_302600_NS6detail15normal_iteratorINS9_10device_ptrIKsEEEESF_NSB_INSC_IsEEEEPS5_SI_SI_NS9_7greaterIsEEEE10hipError_tPvRmT0_T1_T2_T3_T4_T5_mmT6_P12ihipStream_tbEUlT_E0_NS1_11comp_targetILNS1_3genE2ELNS1_11target_archE906ELNS1_3gpuE6ELNS1_3repE0EEENS1_30default_config_static_selectorELNS0_4arch9wavefront6targetE1EEEvSP_,"axG",@progbits,_ZN7rocprim17ROCPRIM_400000_NS6detail17trampoline_kernelINS0_14default_configENS1_21merge_config_selectorIsNS0_10empty_typeEEEZNS1_10merge_implIS3_N6thrust23THRUST_200600_302600_NS6detail15normal_iteratorINS9_10device_ptrIKsEEEESF_NSB_INSC_IsEEEEPS5_SI_SI_NS9_7greaterIsEEEE10hipError_tPvRmT0_T1_T2_T3_T4_T5_mmT6_P12ihipStream_tbEUlT_E0_NS1_11comp_targetILNS1_3genE2ELNS1_11target_archE906ELNS1_3gpuE6ELNS1_3repE0EEENS1_30default_config_static_selectorELNS0_4arch9wavefront6targetE1EEEvSP_,comdat
	.protected	_ZN7rocprim17ROCPRIM_400000_NS6detail17trampoline_kernelINS0_14default_configENS1_21merge_config_selectorIsNS0_10empty_typeEEEZNS1_10merge_implIS3_N6thrust23THRUST_200600_302600_NS6detail15normal_iteratorINS9_10device_ptrIKsEEEESF_NSB_INSC_IsEEEEPS5_SI_SI_NS9_7greaterIsEEEE10hipError_tPvRmT0_T1_T2_T3_T4_T5_mmT6_P12ihipStream_tbEUlT_E0_NS1_11comp_targetILNS1_3genE2ELNS1_11target_archE906ELNS1_3gpuE6ELNS1_3repE0EEENS1_30default_config_static_selectorELNS0_4arch9wavefront6targetE1EEEvSP_ ; -- Begin function _ZN7rocprim17ROCPRIM_400000_NS6detail17trampoline_kernelINS0_14default_configENS1_21merge_config_selectorIsNS0_10empty_typeEEEZNS1_10merge_implIS3_N6thrust23THRUST_200600_302600_NS6detail15normal_iteratorINS9_10device_ptrIKsEEEESF_NSB_INSC_IsEEEEPS5_SI_SI_NS9_7greaterIsEEEE10hipError_tPvRmT0_T1_T2_T3_T4_T5_mmT6_P12ihipStream_tbEUlT_E0_NS1_11comp_targetILNS1_3genE2ELNS1_11target_archE906ELNS1_3gpuE6ELNS1_3repE0EEENS1_30default_config_static_selectorELNS0_4arch9wavefront6targetE1EEEvSP_
	.globl	_ZN7rocprim17ROCPRIM_400000_NS6detail17trampoline_kernelINS0_14default_configENS1_21merge_config_selectorIsNS0_10empty_typeEEEZNS1_10merge_implIS3_N6thrust23THRUST_200600_302600_NS6detail15normal_iteratorINS9_10device_ptrIKsEEEESF_NSB_INSC_IsEEEEPS5_SI_SI_NS9_7greaterIsEEEE10hipError_tPvRmT0_T1_T2_T3_T4_T5_mmT6_P12ihipStream_tbEUlT_E0_NS1_11comp_targetILNS1_3genE2ELNS1_11target_archE906ELNS1_3gpuE6ELNS1_3repE0EEENS1_30default_config_static_selectorELNS0_4arch9wavefront6targetE1EEEvSP_
	.p2align	8
	.type	_ZN7rocprim17ROCPRIM_400000_NS6detail17trampoline_kernelINS0_14default_configENS1_21merge_config_selectorIsNS0_10empty_typeEEEZNS1_10merge_implIS3_N6thrust23THRUST_200600_302600_NS6detail15normal_iteratorINS9_10device_ptrIKsEEEESF_NSB_INSC_IsEEEEPS5_SI_SI_NS9_7greaterIsEEEE10hipError_tPvRmT0_T1_T2_T3_T4_T5_mmT6_P12ihipStream_tbEUlT_E0_NS1_11comp_targetILNS1_3genE2ELNS1_11target_archE906ELNS1_3gpuE6ELNS1_3repE0EEENS1_30default_config_static_selectorELNS0_4arch9wavefront6targetE1EEEvSP_,@function
_ZN7rocprim17ROCPRIM_400000_NS6detail17trampoline_kernelINS0_14default_configENS1_21merge_config_selectorIsNS0_10empty_typeEEEZNS1_10merge_implIS3_N6thrust23THRUST_200600_302600_NS6detail15normal_iteratorINS9_10device_ptrIKsEEEESF_NSB_INSC_IsEEEEPS5_SI_SI_NS9_7greaterIsEEEE10hipError_tPvRmT0_T1_T2_T3_T4_T5_mmT6_P12ihipStream_tbEUlT_E0_NS1_11comp_targetILNS1_3genE2ELNS1_11target_archE906ELNS1_3gpuE6ELNS1_3repE0EEENS1_30default_config_static_selectorELNS0_4arch9wavefront6targetE1EEEvSP_: ; @_ZN7rocprim17ROCPRIM_400000_NS6detail17trampoline_kernelINS0_14default_configENS1_21merge_config_selectorIsNS0_10empty_typeEEEZNS1_10merge_implIS3_N6thrust23THRUST_200600_302600_NS6detail15normal_iteratorINS9_10device_ptrIKsEEEESF_NSB_INSC_IsEEEEPS5_SI_SI_NS9_7greaterIsEEEE10hipError_tPvRmT0_T1_T2_T3_T4_T5_mmT6_P12ihipStream_tbEUlT_E0_NS1_11comp_targetILNS1_3genE2ELNS1_11target_archE906ELNS1_3gpuE6ELNS1_3repE0EEENS1_30default_config_static_selectorELNS0_4arch9wavefront6targetE1EEEvSP_
; %bb.0:
	.section	.rodata,"a",@progbits
	.p2align	6, 0x0
	.amdhsa_kernel _ZN7rocprim17ROCPRIM_400000_NS6detail17trampoline_kernelINS0_14default_configENS1_21merge_config_selectorIsNS0_10empty_typeEEEZNS1_10merge_implIS3_N6thrust23THRUST_200600_302600_NS6detail15normal_iteratorINS9_10device_ptrIKsEEEESF_NSB_INSC_IsEEEEPS5_SI_SI_NS9_7greaterIsEEEE10hipError_tPvRmT0_T1_T2_T3_T4_T5_mmT6_P12ihipStream_tbEUlT_E0_NS1_11comp_targetILNS1_3genE2ELNS1_11target_archE906ELNS1_3gpuE6ELNS1_3repE0EEENS1_30default_config_static_selectorELNS0_4arch9wavefront6targetE1EEEvSP_
		.amdhsa_group_segment_fixed_size 0
		.amdhsa_private_segment_fixed_size 0
		.amdhsa_kernarg_size 88
		.amdhsa_user_sgpr_count 6
		.amdhsa_user_sgpr_private_segment_buffer 1
		.amdhsa_user_sgpr_dispatch_ptr 0
		.amdhsa_user_sgpr_queue_ptr 0
		.amdhsa_user_sgpr_kernarg_segment_ptr 1
		.amdhsa_user_sgpr_dispatch_id 0
		.amdhsa_user_sgpr_flat_scratch_init 0
		.amdhsa_user_sgpr_kernarg_preload_length 0
		.amdhsa_user_sgpr_kernarg_preload_offset 0
		.amdhsa_user_sgpr_private_segment_size 0
		.amdhsa_uses_dynamic_stack 0
		.amdhsa_system_sgpr_private_segment_wavefront_offset 0
		.amdhsa_system_sgpr_workgroup_id_x 1
		.amdhsa_system_sgpr_workgroup_id_y 0
		.amdhsa_system_sgpr_workgroup_id_z 0
		.amdhsa_system_sgpr_workgroup_info 0
		.amdhsa_system_vgpr_workitem_id 0
		.amdhsa_next_free_vgpr 1
		.amdhsa_next_free_sgpr 0
		.amdhsa_accum_offset 4
		.amdhsa_reserve_vcc 0
		.amdhsa_reserve_flat_scratch 0
		.amdhsa_float_round_mode_32 0
		.amdhsa_float_round_mode_16_64 0
		.amdhsa_float_denorm_mode_32 3
		.amdhsa_float_denorm_mode_16_64 3
		.amdhsa_dx10_clamp 1
		.amdhsa_ieee_mode 1
		.amdhsa_fp16_overflow 0
		.amdhsa_tg_split 0
		.amdhsa_exception_fp_ieee_invalid_op 0
		.amdhsa_exception_fp_denorm_src 0
		.amdhsa_exception_fp_ieee_div_zero 0
		.amdhsa_exception_fp_ieee_overflow 0
		.amdhsa_exception_fp_ieee_underflow 0
		.amdhsa_exception_fp_ieee_inexact 0
		.amdhsa_exception_int_div_zero 0
	.end_amdhsa_kernel
	.section	.text._ZN7rocprim17ROCPRIM_400000_NS6detail17trampoline_kernelINS0_14default_configENS1_21merge_config_selectorIsNS0_10empty_typeEEEZNS1_10merge_implIS3_N6thrust23THRUST_200600_302600_NS6detail15normal_iteratorINS9_10device_ptrIKsEEEESF_NSB_INSC_IsEEEEPS5_SI_SI_NS9_7greaterIsEEEE10hipError_tPvRmT0_T1_T2_T3_T4_T5_mmT6_P12ihipStream_tbEUlT_E0_NS1_11comp_targetILNS1_3genE2ELNS1_11target_archE906ELNS1_3gpuE6ELNS1_3repE0EEENS1_30default_config_static_selectorELNS0_4arch9wavefront6targetE1EEEvSP_,"axG",@progbits,_ZN7rocprim17ROCPRIM_400000_NS6detail17trampoline_kernelINS0_14default_configENS1_21merge_config_selectorIsNS0_10empty_typeEEEZNS1_10merge_implIS3_N6thrust23THRUST_200600_302600_NS6detail15normal_iteratorINS9_10device_ptrIKsEEEESF_NSB_INSC_IsEEEEPS5_SI_SI_NS9_7greaterIsEEEE10hipError_tPvRmT0_T1_T2_T3_T4_T5_mmT6_P12ihipStream_tbEUlT_E0_NS1_11comp_targetILNS1_3genE2ELNS1_11target_archE906ELNS1_3gpuE6ELNS1_3repE0EEENS1_30default_config_static_selectorELNS0_4arch9wavefront6targetE1EEEvSP_,comdat
.Lfunc_end600:
	.size	_ZN7rocprim17ROCPRIM_400000_NS6detail17trampoline_kernelINS0_14default_configENS1_21merge_config_selectorIsNS0_10empty_typeEEEZNS1_10merge_implIS3_N6thrust23THRUST_200600_302600_NS6detail15normal_iteratorINS9_10device_ptrIKsEEEESF_NSB_INSC_IsEEEEPS5_SI_SI_NS9_7greaterIsEEEE10hipError_tPvRmT0_T1_T2_T3_T4_T5_mmT6_P12ihipStream_tbEUlT_E0_NS1_11comp_targetILNS1_3genE2ELNS1_11target_archE906ELNS1_3gpuE6ELNS1_3repE0EEENS1_30default_config_static_selectorELNS0_4arch9wavefront6targetE1EEEvSP_, .Lfunc_end600-_ZN7rocprim17ROCPRIM_400000_NS6detail17trampoline_kernelINS0_14default_configENS1_21merge_config_selectorIsNS0_10empty_typeEEEZNS1_10merge_implIS3_N6thrust23THRUST_200600_302600_NS6detail15normal_iteratorINS9_10device_ptrIKsEEEESF_NSB_INSC_IsEEEEPS5_SI_SI_NS9_7greaterIsEEEE10hipError_tPvRmT0_T1_T2_T3_T4_T5_mmT6_P12ihipStream_tbEUlT_E0_NS1_11comp_targetILNS1_3genE2ELNS1_11target_archE906ELNS1_3gpuE6ELNS1_3repE0EEENS1_30default_config_static_selectorELNS0_4arch9wavefront6targetE1EEEvSP_
                                        ; -- End function
	.section	.AMDGPU.csdata,"",@progbits
; Kernel info:
; codeLenInByte = 0
; NumSgprs: 4
; NumVgprs: 0
; NumAgprs: 0
; TotalNumVgprs: 0
; ScratchSize: 0
; MemoryBound: 0
; FloatMode: 240
; IeeeMode: 1
; LDSByteSize: 0 bytes/workgroup (compile time only)
; SGPRBlocks: 0
; VGPRBlocks: 0
; NumSGPRsForWavesPerEU: 4
; NumVGPRsForWavesPerEU: 1
; AccumOffset: 4
; Occupancy: 8
; WaveLimiterHint : 0
; COMPUTE_PGM_RSRC2:SCRATCH_EN: 0
; COMPUTE_PGM_RSRC2:USER_SGPR: 6
; COMPUTE_PGM_RSRC2:TRAP_HANDLER: 0
; COMPUTE_PGM_RSRC2:TGID_X_EN: 1
; COMPUTE_PGM_RSRC2:TGID_Y_EN: 0
; COMPUTE_PGM_RSRC2:TGID_Z_EN: 0
; COMPUTE_PGM_RSRC2:TIDIG_COMP_CNT: 0
; COMPUTE_PGM_RSRC3_GFX90A:ACCUM_OFFSET: 0
; COMPUTE_PGM_RSRC3_GFX90A:TG_SPLIT: 0
	.section	.text._ZN7rocprim17ROCPRIM_400000_NS6detail17trampoline_kernelINS0_14default_configENS1_21merge_config_selectorIsNS0_10empty_typeEEEZNS1_10merge_implIS3_N6thrust23THRUST_200600_302600_NS6detail15normal_iteratorINS9_10device_ptrIKsEEEESF_NSB_INSC_IsEEEEPS5_SI_SI_NS9_7greaterIsEEEE10hipError_tPvRmT0_T1_T2_T3_T4_T5_mmT6_P12ihipStream_tbEUlT_E0_NS1_11comp_targetILNS1_3genE10ELNS1_11target_archE1201ELNS1_3gpuE5ELNS1_3repE0EEENS1_30default_config_static_selectorELNS0_4arch9wavefront6targetE1EEEvSP_,"axG",@progbits,_ZN7rocprim17ROCPRIM_400000_NS6detail17trampoline_kernelINS0_14default_configENS1_21merge_config_selectorIsNS0_10empty_typeEEEZNS1_10merge_implIS3_N6thrust23THRUST_200600_302600_NS6detail15normal_iteratorINS9_10device_ptrIKsEEEESF_NSB_INSC_IsEEEEPS5_SI_SI_NS9_7greaterIsEEEE10hipError_tPvRmT0_T1_T2_T3_T4_T5_mmT6_P12ihipStream_tbEUlT_E0_NS1_11comp_targetILNS1_3genE10ELNS1_11target_archE1201ELNS1_3gpuE5ELNS1_3repE0EEENS1_30default_config_static_selectorELNS0_4arch9wavefront6targetE1EEEvSP_,comdat
	.protected	_ZN7rocprim17ROCPRIM_400000_NS6detail17trampoline_kernelINS0_14default_configENS1_21merge_config_selectorIsNS0_10empty_typeEEEZNS1_10merge_implIS3_N6thrust23THRUST_200600_302600_NS6detail15normal_iteratorINS9_10device_ptrIKsEEEESF_NSB_INSC_IsEEEEPS5_SI_SI_NS9_7greaterIsEEEE10hipError_tPvRmT0_T1_T2_T3_T4_T5_mmT6_P12ihipStream_tbEUlT_E0_NS1_11comp_targetILNS1_3genE10ELNS1_11target_archE1201ELNS1_3gpuE5ELNS1_3repE0EEENS1_30default_config_static_selectorELNS0_4arch9wavefront6targetE1EEEvSP_ ; -- Begin function _ZN7rocprim17ROCPRIM_400000_NS6detail17trampoline_kernelINS0_14default_configENS1_21merge_config_selectorIsNS0_10empty_typeEEEZNS1_10merge_implIS3_N6thrust23THRUST_200600_302600_NS6detail15normal_iteratorINS9_10device_ptrIKsEEEESF_NSB_INSC_IsEEEEPS5_SI_SI_NS9_7greaterIsEEEE10hipError_tPvRmT0_T1_T2_T3_T4_T5_mmT6_P12ihipStream_tbEUlT_E0_NS1_11comp_targetILNS1_3genE10ELNS1_11target_archE1201ELNS1_3gpuE5ELNS1_3repE0EEENS1_30default_config_static_selectorELNS0_4arch9wavefront6targetE1EEEvSP_
	.globl	_ZN7rocprim17ROCPRIM_400000_NS6detail17trampoline_kernelINS0_14default_configENS1_21merge_config_selectorIsNS0_10empty_typeEEEZNS1_10merge_implIS3_N6thrust23THRUST_200600_302600_NS6detail15normal_iteratorINS9_10device_ptrIKsEEEESF_NSB_INSC_IsEEEEPS5_SI_SI_NS9_7greaterIsEEEE10hipError_tPvRmT0_T1_T2_T3_T4_T5_mmT6_P12ihipStream_tbEUlT_E0_NS1_11comp_targetILNS1_3genE10ELNS1_11target_archE1201ELNS1_3gpuE5ELNS1_3repE0EEENS1_30default_config_static_selectorELNS0_4arch9wavefront6targetE1EEEvSP_
	.p2align	8
	.type	_ZN7rocprim17ROCPRIM_400000_NS6detail17trampoline_kernelINS0_14default_configENS1_21merge_config_selectorIsNS0_10empty_typeEEEZNS1_10merge_implIS3_N6thrust23THRUST_200600_302600_NS6detail15normal_iteratorINS9_10device_ptrIKsEEEESF_NSB_INSC_IsEEEEPS5_SI_SI_NS9_7greaterIsEEEE10hipError_tPvRmT0_T1_T2_T3_T4_T5_mmT6_P12ihipStream_tbEUlT_E0_NS1_11comp_targetILNS1_3genE10ELNS1_11target_archE1201ELNS1_3gpuE5ELNS1_3repE0EEENS1_30default_config_static_selectorELNS0_4arch9wavefront6targetE1EEEvSP_,@function
_ZN7rocprim17ROCPRIM_400000_NS6detail17trampoline_kernelINS0_14default_configENS1_21merge_config_selectorIsNS0_10empty_typeEEEZNS1_10merge_implIS3_N6thrust23THRUST_200600_302600_NS6detail15normal_iteratorINS9_10device_ptrIKsEEEESF_NSB_INSC_IsEEEEPS5_SI_SI_NS9_7greaterIsEEEE10hipError_tPvRmT0_T1_T2_T3_T4_T5_mmT6_P12ihipStream_tbEUlT_E0_NS1_11comp_targetILNS1_3genE10ELNS1_11target_archE1201ELNS1_3gpuE5ELNS1_3repE0EEENS1_30default_config_static_selectorELNS0_4arch9wavefront6targetE1EEEvSP_: ; @_ZN7rocprim17ROCPRIM_400000_NS6detail17trampoline_kernelINS0_14default_configENS1_21merge_config_selectorIsNS0_10empty_typeEEEZNS1_10merge_implIS3_N6thrust23THRUST_200600_302600_NS6detail15normal_iteratorINS9_10device_ptrIKsEEEESF_NSB_INSC_IsEEEEPS5_SI_SI_NS9_7greaterIsEEEE10hipError_tPvRmT0_T1_T2_T3_T4_T5_mmT6_P12ihipStream_tbEUlT_E0_NS1_11comp_targetILNS1_3genE10ELNS1_11target_archE1201ELNS1_3gpuE5ELNS1_3repE0EEENS1_30default_config_static_selectorELNS0_4arch9wavefront6targetE1EEEvSP_
; %bb.0:
	.section	.rodata,"a",@progbits
	.p2align	6, 0x0
	.amdhsa_kernel _ZN7rocprim17ROCPRIM_400000_NS6detail17trampoline_kernelINS0_14default_configENS1_21merge_config_selectorIsNS0_10empty_typeEEEZNS1_10merge_implIS3_N6thrust23THRUST_200600_302600_NS6detail15normal_iteratorINS9_10device_ptrIKsEEEESF_NSB_INSC_IsEEEEPS5_SI_SI_NS9_7greaterIsEEEE10hipError_tPvRmT0_T1_T2_T3_T4_T5_mmT6_P12ihipStream_tbEUlT_E0_NS1_11comp_targetILNS1_3genE10ELNS1_11target_archE1201ELNS1_3gpuE5ELNS1_3repE0EEENS1_30default_config_static_selectorELNS0_4arch9wavefront6targetE1EEEvSP_
		.amdhsa_group_segment_fixed_size 0
		.amdhsa_private_segment_fixed_size 0
		.amdhsa_kernarg_size 88
		.amdhsa_user_sgpr_count 6
		.amdhsa_user_sgpr_private_segment_buffer 1
		.amdhsa_user_sgpr_dispatch_ptr 0
		.amdhsa_user_sgpr_queue_ptr 0
		.amdhsa_user_sgpr_kernarg_segment_ptr 1
		.amdhsa_user_sgpr_dispatch_id 0
		.amdhsa_user_sgpr_flat_scratch_init 0
		.amdhsa_user_sgpr_kernarg_preload_length 0
		.amdhsa_user_sgpr_kernarg_preload_offset 0
		.amdhsa_user_sgpr_private_segment_size 0
		.amdhsa_uses_dynamic_stack 0
		.amdhsa_system_sgpr_private_segment_wavefront_offset 0
		.amdhsa_system_sgpr_workgroup_id_x 1
		.amdhsa_system_sgpr_workgroup_id_y 0
		.amdhsa_system_sgpr_workgroup_id_z 0
		.amdhsa_system_sgpr_workgroup_info 0
		.amdhsa_system_vgpr_workitem_id 0
		.amdhsa_next_free_vgpr 1
		.amdhsa_next_free_sgpr 0
		.amdhsa_accum_offset 4
		.amdhsa_reserve_vcc 0
		.amdhsa_reserve_flat_scratch 0
		.amdhsa_float_round_mode_32 0
		.amdhsa_float_round_mode_16_64 0
		.amdhsa_float_denorm_mode_32 3
		.amdhsa_float_denorm_mode_16_64 3
		.amdhsa_dx10_clamp 1
		.amdhsa_ieee_mode 1
		.amdhsa_fp16_overflow 0
		.amdhsa_tg_split 0
		.amdhsa_exception_fp_ieee_invalid_op 0
		.amdhsa_exception_fp_denorm_src 0
		.amdhsa_exception_fp_ieee_div_zero 0
		.amdhsa_exception_fp_ieee_overflow 0
		.amdhsa_exception_fp_ieee_underflow 0
		.amdhsa_exception_fp_ieee_inexact 0
		.amdhsa_exception_int_div_zero 0
	.end_amdhsa_kernel
	.section	.text._ZN7rocprim17ROCPRIM_400000_NS6detail17trampoline_kernelINS0_14default_configENS1_21merge_config_selectorIsNS0_10empty_typeEEEZNS1_10merge_implIS3_N6thrust23THRUST_200600_302600_NS6detail15normal_iteratorINS9_10device_ptrIKsEEEESF_NSB_INSC_IsEEEEPS5_SI_SI_NS9_7greaterIsEEEE10hipError_tPvRmT0_T1_T2_T3_T4_T5_mmT6_P12ihipStream_tbEUlT_E0_NS1_11comp_targetILNS1_3genE10ELNS1_11target_archE1201ELNS1_3gpuE5ELNS1_3repE0EEENS1_30default_config_static_selectorELNS0_4arch9wavefront6targetE1EEEvSP_,"axG",@progbits,_ZN7rocprim17ROCPRIM_400000_NS6detail17trampoline_kernelINS0_14default_configENS1_21merge_config_selectorIsNS0_10empty_typeEEEZNS1_10merge_implIS3_N6thrust23THRUST_200600_302600_NS6detail15normal_iteratorINS9_10device_ptrIKsEEEESF_NSB_INSC_IsEEEEPS5_SI_SI_NS9_7greaterIsEEEE10hipError_tPvRmT0_T1_T2_T3_T4_T5_mmT6_P12ihipStream_tbEUlT_E0_NS1_11comp_targetILNS1_3genE10ELNS1_11target_archE1201ELNS1_3gpuE5ELNS1_3repE0EEENS1_30default_config_static_selectorELNS0_4arch9wavefront6targetE1EEEvSP_,comdat
.Lfunc_end601:
	.size	_ZN7rocprim17ROCPRIM_400000_NS6detail17trampoline_kernelINS0_14default_configENS1_21merge_config_selectorIsNS0_10empty_typeEEEZNS1_10merge_implIS3_N6thrust23THRUST_200600_302600_NS6detail15normal_iteratorINS9_10device_ptrIKsEEEESF_NSB_INSC_IsEEEEPS5_SI_SI_NS9_7greaterIsEEEE10hipError_tPvRmT0_T1_T2_T3_T4_T5_mmT6_P12ihipStream_tbEUlT_E0_NS1_11comp_targetILNS1_3genE10ELNS1_11target_archE1201ELNS1_3gpuE5ELNS1_3repE0EEENS1_30default_config_static_selectorELNS0_4arch9wavefront6targetE1EEEvSP_, .Lfunc_end601-_ZN7rocprim17ROCPRIM_400000_NS6detail17trampoline_kernelINS0_14default_configENS1_21merge_config_selectorIsNS0_10empty_typeEEEZNS1_10merge_implIS3_N6thrust23THRUST_200600_302600_NS6detail15normal_iteratorINS9_10device_ptrIKsEEEESF_NSB_INSC_IsEEEEPS5_SI_SI_NS9_7greaterIsEEEE10hipError_tPvRmT0_T1_T2_T3_T4_T5_mmT6_P12ihipStream_tbEUlT_E0_NS1_11comp_targetILNS1_3genE10ELNS1_11target_archE1201ELNS1_3gpuE5ELNS1_3repE0EEENS1_30default_config_static_selectorELNS0_4arch9wavefront6targetE1EEEvSP_
                                        ; -- End function
	.section	.AMDGPU.csdata,"",@progbits
; Kernel info:
; codeLenInByte = 0
; NumSgprs: 4
; NumVgprs: 0
; NumAgprs: 0
; TotalNumVgprs: 0
; ScratchSize: 0
; MemoryBound: 0
; FloatMode: 240
; IeeeMode: 1
; LDSByteSize: 0 bytes/workgroup (compile time only)
; SGPRBlocks: 0
; VGPRBlocks: 0
; NumSGPRsForWavesPerEU: 4
; NumVGPRsForWavesPerEU: 1
; AccumOffset: 4
; Occupancy: 8
; WaveLimiterHint : 0
; COMPUTE_PGM_RSRC2:SCRATCH_EN: 0
; COMPUTE_PGM_RSRC2:USER_SGPR: 6
; COMPUTE_PGM_RSRC2:TRAP_HANDLER: 0
; COMPUTE_PGM_RSRC2:TGID_X_EN: 1
; COMPUTE_PGM_RSRC2:TGID_Y_EN: 0
; COMPUTE_PGM_RSRC2:TGID_Z_EN: 0
; COMPUTE_PGM_RSRC2:TIDIG_COMP_CNT: 0
; COMPUTE_PGM_RSRC3_GFX90A:ACCUM_OFFSET: 0
; COMPUTE_PGM_RSRC3_GFX90A:TG_SPLIT: 0
	.section	.text._ZN7rocprim17ROCPRIM_400000_NS6detail17trampoline_kernelINS0_14default_configENS1_21merge_config_selectorIsNS0_10empty_typeEEEZNS1_10merge_implIS3_N6thrust23THRUST_200600_302600_NS6detail15normal_iteratorINS9_10device_ptrIKsEEEESF_NSB_INSC_IsEEEEPS5_SI_SI_NS9_7greaterIsEEEE10hipError_tPvRmT0_T1_T2_T3_T4_T5_mmT6_P12ihipStream_tbEUlT_E0_NS1_11comp_targetILNS1_3genE10ELNS1_11target_archE1200ELNS1_3gpuE4ELNS1_3repE0EEENS1_30default_config_static_selectorELNS0_4arch9wavefront6targetE1EEEvSP_,"axG",@progbits,_ZN7rocprim17ROCPRIM_400000_NS6detail17trampoline_kernelINS0_14default_configENS1_21merge_config_selectorIsNS0_10empty_typeEEEZNS1_10merge_implIS3_N6thrust23THRUST_200600_302600_NS6detail15normal_iteratorINS9_10device_ptrIKsEEEESF_NSB_INSC_IsEEEEPS5_SI_SI_NS9_7greaterIsEEEE10hipError_tPvRmT0_T1_T2_T3_T4_T5_mmT6_P12ihipStream_tbEUlT_E0_NS1_11comp_targetILNS1_3genE10ELNS1_11target_archE1200ELNS1_3gpuE4ELNS1_3repE0EEENS1_30default_config_static_selectorELNS0_4arch9wavefront6targetE1EEEvSP_,comdat
	.protected	_ZN7rocprim17ROCPRIM_400000_NS6detail17trampoline_kernelINS0_14default_configENS1_21merge_config_selectorIsNS0_10empty_typeEEEZNS1_10merge_implIS3_N6thrust23THRUST_200600_302600_NS6detail15normal_iteratorINS9_10device_ptrIKsEEEESF_NSB_INSC_IsEEEEPS5_SI_SI_NS9_7greaterIsEEEE10hipError_tPvRmT0_T1_T2_T3_T4_T5_mmT6_P12ihipStream_tbEUlT_E0_NS1_11comp_targetILNS1_3genE10ELNS1_11target_archE1200ELNS1_3gpuE4ELNS1_3repE0EEENS1_30default_config_static_selectorELNS0_4arch9wavefront6targetE1EEEvSP_ ; -- Begin function _ZN7rocprim17ROCPRIM_400000_NS6detail17trampoline_kernelINS0_14default_configENS1_21merge_config_selectorIsNS0_10empty_typeEEEZNS1_10merge_implIS3_N6thrust23THRUST_200600_302600_NS6detail15normal_iteratorINS9_10device_ptrIKsEEEESF_NSB_INSC_IsEEEEPS5_SI_SI_NS9_7greaterIsEEEE10hipError_tPvRmT0_T1_T2_T3_T4_T5_mmT6_P12ihipStream_tbEUlT_E0_NS1_11comp_targetILNS1_3genE10ELNS1_11target_archE1200ELNS1_3gpuE4ELNS1_3repE0EEENS1_30default_config_static_selectorELNS0_4arch9wavefront6targetE1EEEvSP_
	.globl	_ZN7rocprim17ROCPRIM_400000_NS6detail17trampoline_kernelINS0_14default_configENS1_21merge_config_selectorIsNS0_10empty_typeEEEZNS1_10merge_implIS3_N6thrust23THRUST_200600_302600_NS6detail15normal_iteratorINS9_10device_ptrIKsEEEESF_NSB_INSC_IsEEEEPS5_SI_SI_NS9_7greaterIsEEEE10hipError_tPvRmT0_T1_T2_T3_T4_T5_mmT6_P12ihipStream_tbEUlT_E0_NS1_11comp_targetILNS1_3genE10ELNS1_11target_archE1200ELNS1_3gpuE4ELNS1_3repE0EEENS1_30default_config_static_selectorELNS0_4arch9wavefront6targetE1EEEvSP_
	.p2align	8
	.type	_ZN7rocprim17ROCPRIM_400000_NS6detail17trampoline_kernelINS0_14default_configENS1_21merge_config_selectorIsNS0_10empty_typeEEEZNS1_10merge_implIS3_N6thrust23THRUST_200600_302600_NS6detail15normal_iteratorINS9_10device_ptrIKsEEEESF_NSB_INSC_IsEEEEPS5_SI_SI_NS9_7greaterIsEEEE10hipError_tPvRmT0_T1_T2_T3_T4_T5_mmT6_P12ihipStream_tbEUlT_E0_NS1_11comp_targetILNS1_3genE10ELNS1_11target_archE1200ELNS1_3gpuE4ELNS1_3repE0EEENS1_30default_config_static_selectorELNS0_4arch9wavefront6targetE1EEEvSP_,@function
_ZN7rocprim17ROCPRIM_400000_NS6detail17trampoline_kernelINS0_14default_configENS1_21merge_config_selectorIsNS0_10empty_typeEEEZNS1_10merge_implIS3_N6thrust23THRUST_200600_302600_NS6detail15normal_iteratorINS9_10device_ptrIKsEEEESF_NSB_INSC_IsEEEEPS5_SI_SI_NS9_7greaterIsEEEE10hipError_tPvRmT0_T1_T2_T3_T4_T5_mmT6_P12ihipStream_tbEUlT_E0_NS1_11comp_targetILNS1_3genE10ELNS1_11target_archE1200ELNS1_3gpuE4ELNS1_3repE0EEENS1_30default_config_static_selectorELNS0_4arch9wavefront6targetE1EEEvSP_: ; @_ZN7rocprim17ROCPRIM_400000_NS6detail17trampoline_kernelINS0_14default_configENS1_21merge_config_selectorIsNS0_10empty_typeEEEZNS1_10merge_implIS3_N6thrust23THRUST_200600_302600_NS6detail15normal_iteratorINS9_10device_ptrIKsEEEESF_NSB_INSC_IsEEEEPS5_SI_SI_NS9_7greaterIsEEEE10hipError_tPvRmT0_T1_T2_T3_T4_T5_mmT6_P12ihipStream_tbEUlT_E0_NS1_11comp_targetILNS1_3genE10ELNS1_11target_archE1200ELNS1_3gpuE4ELNS1_3repE0EEENS1_30default_config_static_selectorELNS0_4arch9wavefront6targetE1EEEvSP_
; %bb.0:
	.section	.rodata,"a",@progbits
	.p2align	6, 0x0
	.amdhsa_kernel _ZN7rocprim17ROCPRIM_400000_NS6detail17trampoline_kernelINS0_14default_configENS1_21merge_config_selectorIsNS0_10empty_typeEEEZNS1_10merge_implIS3_N6thrust23THRUST_200600_302600_NS6detail15normal_iteratorINS9_10device_ptrIKsEEEESF_NSB_INSC_IsEEEEPS5_SI_SI_NS9_7greaterIsEEEE10hipError_tPvRmT0_T1_T2_T3_T4_T5_mmT6_P12ihipStream_tbEUlT_E0_NS1_11comp_targetILNS1_3genE10ELNS1_11target_archE1200ELNS1_3gpuE4ELNS1_3repE0EEENS1_30default_config_static_selectorELNS0_4arch9wavefront6targetE1EEEvSP_
		.amdhsa_group_segment_fixed_size 0
		.amdhsa_private_segment_fixed_size 0
		.amdhsa_kernarg_size 88
		.amdhsa_user_sgpr_count 6
		.amdhsa_user_sgpr_private_segment_buffer 1
		.amdhsa_user_sgpr_dispatch_ptr 0
		.amdhsa_user_sgpr_queue_ptr 0
		.amdhsa_user_sgpr_kernarg_segment_ptr 1
		.amdhsa_user_sgpr_dispatch_id 0
		.amdhsa_user_sgpr_flat_scratch_init 0
		.amdhsa_user_sgpr_kernarg_preload_length 0
		.amdhsa_user_sgpr_kernarg_preload_offset 0
		.amdhsa_user_sgpr_private_segment_size 0
		.amdhsa_uses_dynamic_stack 0
		.amdhsa_system_sgpr_private_segment_wavefront_offset 0
		.amdhsa_system_sgpr_workgroup_id_x 1
		.amdhsa_system_sgpr_workgroup_id_y 0
		.amdhsa_system_sgpr_workgroup_id_z 0
		.amdhsa_system_sgpr_workgroup_info 0
		.amdhsa_system_vgpr_workitem_id 0
		.amdhsa_next_free_vgpr 1
		.amdhsa_next_free_sgpr 0
		.amdhsa_accum_offset 4
		.amdhsa_reserve_vcc 0
		.amdhsa_reserve_flat_scratch 0
		.amdhsa_float_round_mode_32 0
		.amdhsa_float_round_mode_16_64 0
		.amdhsa_float_denorm_mode_32 3
		.amdhsa_float_denorm_mode_16_64 3
		.amdhsa_dx10_clamp 1
		.amdhsa_ieee_mode 1
		.amdhsa_fp16_overflow 0
		.amdhsa_tg_split 0
		.amdhsa_exception_fp_ieee_invalid_op 0
		.amdhsa_exception_fp_denorm_src 0
		.amdhsa_exception_fp_ieee_div_zero 0
		.amdhsa_exception_fp_ieee_overflow 0
		.amdhsa_exception_fp_ieee_underflow 0
		.amdhsa_exception_fp_ieee_inexact 0
		.amdhsa_exception_int_div_zero 0
	.end_amdhsa_kernel
	.section	.text._ZN7rocprim17ROCPRIM_400000_NS6detail17trampoline_kernelINS0_14default_configENS1_21merge_config_selectorIsNS0_10empty_typeEEEZNS1_10merge_implIS3_N6thrust23THRUST_200600_302600_NS6detail15normal_iteratorINS9_10device_ptrIKsEEEESF_NSB_INSC_IsEEEEPS5_SI_SI_NS9_7greaterIsEEEE10hipError_tPvRmT0_T1_T2_T3_T4_T5_mmT6_P12ihipStream_tbEUlT_E0_NS1_11comp_targetILNS1_3genE10ELNS1_11target_archE1200ELNS1_3gpuE4ELNS1_3repE0EEENS1_30default_config_static_selectorELNS0_4arch9wavefront6targetE1EEEvSP_,"axG",@progbits,_ZN7rocprim17ROCPRIM_400000_NS6detail17trampoline_kernelINS0_14default_configENS1_21merge_config_selectorIsNS0_10empty_typeEEEZNS1_10merge_implIS3_N6thrust23THRUST_200600_302600_NS6detail15normal_iteratorINS9_10device_ptrIKsEEEESF_NSB_INSC_IsEEEEPS5_SI_SI_NS9_7greaterIsEEEE10hipError_tPvRmT0_T1_T2_T3_T4_T5_mmT6_P12ihipStream_tbEUlT_E0_NS1_11comp_targetILNS1_3genE10ELNS1_11target_archE1200ELNS1_3gpuE4ELNS1_3repE0EEENS1_30default_config_static_selectorELNS0_4arch9wavefront6targetE1EEEvSP_,comdat
.Lfunc_end602:
	.size	_ZN7rocprim17ROCPRIM_400000_NS6detail17trampoline_kernelINS0_14default_configENS1_21merge_config_selectorIsNS0_10empty_typeEEEZNS1_10merge_implIS3_N6thrust23THRUST_200600_302600_NS6detail15normal_iteratorINS9_10device_ptrIKsEEEESF_NSB_INSC_IsEEEEPS5_SI_SI_NS9_7greaterIsEEEE10hipError_tPvRmT0_T1_T2_T3_T4_T5_mmT6_P12ihipStream_tbEUlT_E0_NS1_11comp_targetILNS1_3genE10ELNS1_11target_archE1200ELNS1_3gpuE4ELNS1_3repE0EEENS1_30default_config_static_selectorELNS0_4arch9wavefront6targetE1EEEvSP_, .Lfunc_end602-_ZN7rocprim17ROCPRIM_400000_NS6detail17trampoline_kernelINS0_14default_configENS1_21merge_config_selectorIsNS0_10empty_typeEEEZNS1_10merge_implIS3_N6thrust23THRUST_200600_302600_NS6detail15normal_iteratorINS9_10device_ptrIKsEEEESF_NSB_INSC_IsEEEEPS5_SI_SI_NS9_7greaterIsEEEE10hipError_tPvRmT0_T1_T2_T3_T4_T5_mmT6_P12ihipStream_tbEUlT_E0_NS1_11comp_targetILNS1_3genE10ELNS1_11target_archE1200ELNS1_3gpuE4ELNS1_3repE0EEENS1_30default_config_static_selectorELNS0_4arch9wavefront6targetE1EEEvSP_
                                        ; -- End function
	.section	.AMDGPU.csdata,"",@progbits
; Kernel info:
; codeLenInByte = 0
; NumSgprs: 4
; NumVgprs: 0
; NumAgprs: 0
; TotalNumVgprs: 0
; ScratchSize: 0
; MemoryBound: 0
; FloatMode: 240
; IeeeMode: 1
; LDSByteSize: 0 bytes/workgroup (compile time only)
; SGPRBlocks: 0
; VGPRBlocks: 0
; NumSGPRsForWavesPerEU: 4
; NumVGPRsForWavesPerEU: 1
; AccumOffset: 4
; Occupancy: 8
; WaveLimiterHint : 0
; COMPUTE_PGM_RSRC2:SCRATCH_EN: 0
; COMPUTE_PGM_RSRC2:USER_SGPR: 6
; COMPUTE_PGM_RSRC2:TRAP_HANDLER: 0
; COMPUTE_PGM_RSRC2:TGID_X_EN: 1
; COMPUTE_PGM_RSRC2:TGID_Y_EN: 0
; COMPUTE_PGM_RSRC2:TGID_Z_EN: 0
; COMPUTE_PGM_RSRC2:TIDIG_COMP_CNT: 0
; COMPUTE_PGM_RSRC3_GFX90A:ACCUM_OFFSET: 0
; COMPUTE_PGM_RSRC3_GFX90A:TG_SPLIT: 0
	.section	.text._ZN7rocprim17ROCPRIM_400000_NS6detail17trampoline_kernelINS0_14default_configENS1_21merge_config_selectorIsNS0_10empty_typeEEEZNS1_10merge_implIS3_N6thrust23THRUST_200600_302600_NS6detail15normal_iteratorINS9_10device_ptrIKsEEEESF_NSB_INSC_IsEEEEPS5_SI_SI_NS9_7greaterIsEEEE10hipError_tPvRmT0_T1_T2_T3_T4_T5_mmT6_P12ihipStream_tbEUlT_E0_NS1_11comp_targetILNS1_3genE9ELNS1_11target_archE1100ELNS1_3gpuE3ELNS1_3repE0EEENS1_30default_config_static_selectorELNS0_4arch9wavefront6targetE1EEEvSP_,"axG",@progbits,_ZN7rocprim17ROCPRIM_400000_NS6detail17trampoline_kernelINS0_14default_configENS1_21merge_config_selectorIsNS0_10empty_typeEEEZNS1_10merge_implIS3_N6thrust23THRUST_200600_302600_NS6detail15normal_iteratorINS9_10device_ptrIKsEEEESF_NSB_INSC_IsEEEEPS5_SI_SI_NS9_7greaterIsEEEE10hipError_tPvRmT0_T1_T2_T3_T4_T5_mmT6_P12ihipStream_tbEUlT_E0_NS1_11comp_targetILNS1_3genE9ELNS1_11target_archE1100ELNS1_3gpuE3ELNS1_3repE0EEENS1_30default_config_static_selectorELNS0_4arch9wavefront6targetE1EEEvSP_,comdat
	.protected	_ZN7rocprim17ROCPRIM_400000_NS6detail17trampoline_kernelINS0_14default_configENS1_21merge_config_selectorIsNS0_10empty_typeEEEZNS1_10merge_implIS3_N6thrust23THRUST_200600_302600_NS6detail15normal_iteratorINS9_10device_ptrIKsEEEESF_NSB_INSC_IsEEEEPS5_SI_SI_NS9_7greaterIsEEEE10hipError_tPvRmT0_T1_T2_T3_T4_T5_mmT6_P12ihipStream_tbEUlT_E0_NS1_11comp_targetILNS1_3genE9ELNS1_11target_archE1100ELNS1_3gpuE3ELNS1_3repE0EEENS1_30default_config_static_selectorELNS0_4arch9wavefront6targetE1EEEvSP_ ; -- Begin function _ZN7rocprim17ROCPRIM_400000_NS6detail17trampoline_kernelINS0_14default_configENS1_21merge_config_selectorIsNS0_10empty_typeEEEZNS1_10merge_implIS3_N6thrust23THRUST_200600_302600_NS6detail15normal_iteratorINS9_10device_ptrIKsEEEESF_NSB_INSC_IsEEEEPS5_SI_SI_NS9_7greaterIsEEEE10hipError_tPvRmT0_T1_T2_T3_T4_T5_mmT6_P12ihipStream_tbEUlT_E0_NS1_11comp_targetILNS1_3genE9ELNS1_11target_archE1100ELNS1_3gpuE3ELNS1_3repE0EEENS1_30default_config_static_selectorELNS0_4arch9wavefront6targetE1EEEvSP_
	.globl	_ZN7rocprim17ROCPRIM_400000_NS6detail17trampoline_kernelINS0_14default_configENS1_21merge_config_selectorIsNS0_10empty_typeEEEZNS1_10merge_implIS3_N6thrust23THRUST_200600_302600_NS6detail15normal_iteratorINS9_10device_ptrIKsEEEESF_NSB_INSC_IsEEEEPS5_SI_SI_NS9_7greaterIsEEEE10hipError_tPvRmT0_T1_T2_T3_T4_T5_mmT6_P12ihipStream_tbEUlT_E0_NS1_11comp_targetILNS1_3genE9ELNS1_11target_archE1100ELNS1_3gpuE3ELNS1_3repE0EEENS1_30default_config_static_selectorELNS0_4arch9wavefront6targetE1EEEvSP_
	.p2align	8
	.type	_ZN7rocprim17ROCPRIM_400000_NS6detail17trampoline_kernelINS0_14default_configENS1_21merge_config_selectorIsNS0_10empty_typeEEEZNS1_10merge_implIS3_N6thrust23THRUST_200600_302600_NS6detail15normal_iteratorINS9_10device_ptrIKsEEEESF_NSB_INSC_IsEEEEPS5_SI_SI_NS9_7greaterIsEEEE10hipError_tPvRmT0_T1_T2_T3_T4_T5_mmT6_P12ihipStream_tbEUlT_E0_NS1_11comp_targetILNS1_3genE9ELNS1_11target_archE1100ELNS1_3gpuE3ELNS1_3repE0EEENS1_30default_config_static_selectorELNS0_4arch9wavefront6targetE1EEEvSP_,@function
_ZN7rocprim17ROCPRIM_400000_NS6detail17trampoline_kernelINS0_14default_configENS1_21merge_config_selectorIsNS0_10empty_typeEEEZNS1_10merge_implIS3_N6thrust23THRUST_200600_302600_NS6detail15normal_iteratorINS9_10device_ptrIKsEEEESF_NSB_INSC_IsEEEEPS5_SI_SI_NS9_7greaterIsEEEE10hipError_tPvRmT0_T1_T2_T3_T4_T5_mmT6_P12ihipStream_tbEUlT_E0_NS1_11comp_targetILNS1_3genE9ELNS1_11target_archE1100ELNS1_3gpuE3ELNS1_3repE0EEENS1_30default_config_static_selectorELNS0_4arch9wavefront6targetE1EEEvSP_: ; @_ZN7rocprim17ROCPRIM_400000_NS6detail17trampoline_kernelINS0_14default_configENS1_21merge_config_selectorIsNS0_10empty_typeEEEZNS1_10merge_implIS3_N6thrust23THRUST_200600_302600_NS6detail15normal_iteratorINS9_10device_ptrIKsEEEESF_NSB_INSC_IsEEEEPS5_SI_SI_NS9_7greaterIsEEEE10hipError_tPvRmT0_T1_T2_T3_T4_T5_mmT6_P12ihipStream_tbEUlT_E0_NS1_11comp_targetILNS1_3genE9ELNS1_11target_archE1100ELNS1_3gpuE3ELNS1_3repE0EEENS1_30default_config_static_selectorELNS0_4arch9wavefront6targetE1EEEvSP_
; %bb.0:
	.section	.rodata,"a",@progbits
	.p2align	6, 0x0
	.amdhsa_kernel _ZN7rocprim17ROCPRIM_400000_NS6detail17trampoline_kernelINS0_14default_configENS1_21merge_config_selectorIsNS0_10empty_typeEEEZNS1_10merge_implIS3_N6thrust23THRUST_200600_302600_NS6detail15normal_iteratorINS9_10device_ptrIKsEEEESF_NSB_INSC_IsEEEEPS5_SI_SI_NS9_7greaterIsEEEE10hipError_tPvRmT0_T1_T2_T3_T4_T5_mmT6_P12ihipStream_tbEUlT_E0_NS1_11comp_targetILNS1_3genE9ELNS1_11target_archE1100ELNS1_3gpuE3ELNS1_3repE0EEENS1_30default_config_static_selectorELNS0_4arch9wavefront6targetE1EEEvSP_
		.amdhsa_group_segment_fixed_size 0
		.amdhsa_private_segment_fixed_size 0
		.amdhsa_kernarg_size 88
		.amdhsa_user_sgpr_count 6
		.amdhsa_user_sgpr_private_segment_buffer 1
		.amdhsa_user_sgpr_dispatch_ptr 0
		.amdhsa_user_sgpr_queue_ptr 0
		.amdhsa_user_sgpr_kernarg_segment_ptr 1
		.amdhsa_user_sgpr_dispatch_id 0
		.amdhsa_user_sgpr_flat_scratch_init 0
		.amdhsa_user_sgpr_kernarg_preload_length 0
		.amdhsa_user_sgpr_kernarg_preload_offset 0
		.amdhsa_user_sgpr_private_segment_size 0
		.amdhsa_uses_dynamic_stack 0
		.amdhsa_system_sgpr_private_segment_wavefront_offset 0
		.amdhsa_system_sgpr_workgroup_id_x 1
		.amdhsa_system_sgpr_workgroup_id_y 0
		.amdhsa_system_sgpr_workgroup_id_z 0
		.amdhsa_system_sgpr_workgroup_info 0
		.amdhsa_system_vgpr_workitem_id 0
		.amdhsa_next_free_vgpr 1
		.amdhsa_next_free_sgpr 0
		.amdhsa_accum_offset 4
		.amdhsa_reserve_vcc 0
		.amdhsa_reserve_flat_scratch 0
		.amdhsa_float_round_mode_32 0
		.amdhsa_float_round_mode_16_64 0
		.amdhsa_float_denorm_mode_32 3
		.amdhsa_float_denorm_mode_16_64 3
		.amdhsa_dx10_clamp 1
		.amdhsa_ieee_mode 1
		.amdhsa_fp16_overflow 0
		.amdhsa_tg_split 0
		.amdhsa_exception_fp_ieee_invalid_op 0
		.amdhsa_exception_fp_denorm_src 0
		.amdhsa_exception_fp_ieee_div_zero 0
		.amdhsa_exception_fp_ieee_overflow 0
		.amdhsa_exception_fp_ieee_underflow 0
		.amdhsa_exception_fp_ieee_inexact 0
		.amdhsa_exception_int_div_zero 0
	.end_amdhsa_kernel
	.section	.text._ZN7rocprim17ROCPRIM_400000_NS6detail17trampoline_kernelINS0_14default_configENS1_21merge_config_selectorIsNS0_10empty_typeEEEZNS1_10merge_implIS3_N6thrust23THRUST_200600_302600_NS6detail15normal_iteratorINS9_10device_ptrIKsEEEESF_NSB_INSC_IsEEEEPS5_SI_SI_NS9_7greaterIsEEEE10hipError_tPvRmT0_T1_T2_T3_T4_T5_mmT6_P12ihipStream_tbEUlT_E0_NS1_11comp_targetILNS1_3genE9ELNS1_11target_archE1100ELNS1_3gpuE3ELNS1_3repE0EEENS1_30default_config_static_selectorELNS0_4arch9wavefront6targetE1EEEvSP_,"axG",@progbits,_ZN7rocprim17ROCPRIM_400000_NS6detail17trampoline_kernelINS0_14default_configENS1_21merge_config_selectorIsNS0_10empty_typeEEEZNS1_10merge_implIS3_N6thrust23THRUST_200600_302600_NS6detail15normal_iteratorINS9_10device_ptrIKsEEEESF_NSB_INSC_IsEEEEPS5_SI_SI_NS9_7greaterIsEEEE10hipError_tPvRmT0_T1_T2_T3_T4_T5_mmT6_P12ihipStream_tbEUlT_E0_NS1_11comp_targetILNS1_3genE9ELNS1_11target_archE1100ELNS1_3gpuE3ELNS1_3repE0EEENS1_30default_config_static_selectorELNS0_4arch9wavefront6targetE1EEEvSP_,comdat
.Lfunc_end603:
	.size	_ZN7rocprim17ROCPRIM_400000_NS6detail17trampoline_kernelINS0_14default_configENS1_21merge_config_selectorIsNS0_10empty_typeEEEZNS1_10merge_implIS3_N6thrust23THRUST_200600_302600_NS6detail15normal_iteratorINS9_10device_ptrIKsEEEESF_NSB_INSC_IsEEEEPS5_SI_SI_NS9_7greaterIsEEEE10hipError_tPvRmT0_T1_T2_T3_T4_T5_mmT6_P12ihipStream_tbEUlT_E0_NS1_11comp_targetILNS1_3genE9ELNS1_11target_archE1100ELNS1_3gpuE3ELNS1_3repE0EEENS1_30default_config_static_selectorELNS0_4arch9wavefront6targetE1EEEvSP_, .Lfunc_end603-_ZN7rocprim17ROCPRIM_400000_NS6detail17trampoline_kernelINS0_14default_configENS1_21merge_config_selectorIsNS0_10empty_typeEEEZNS1_10merge_implIS3_N6thrust23THRUST_200600_302600_NS6detail15normal_iteratorINS9_10device_ptrIKsEEEESF_NSB_INSC_IsEEEEPS5_SI_SI_NS9_7greaterIsEEEE10hipError_tPvRmT0_T1_T2_T3_T4_T5_mmT6_P12ihipStream_tbEUlT_E0_NS1_11comp_targetILNS1_3genE9ELNS1_11target_archE1100ELNS1_3gpuE3ELNS1_3repE0EEENS1_30default_config_static_selectorELNS0_4arch9wavefront6targetE1EEEvSP_
                                        ; -- End function
	.section	.AMDGPU.csdata,"",@progbits
; Kernel info:
; codeLenInByte = 0
; NumSgprs: 4
; NumVgprs: 0
; NumAgprs: 0
; TotalNumVgprs: 0
; ScratchSize: 0
; MemoryBound: 0
; FloatMode: 240
; IeeeMode: 1
; LDSByteSize: 0 bytes/workgroup (compile time only)
; SGPRBlocks: 0
; VGPRBlocks: 0
; NumSGPRsForWavesPerEU: 4
; NumVGPRsForWavesPerEU: 1
; AccumOffset: 4
; Occupancy: 8
; WaveLimiterHint : 0
; COMPUTE_PGM_RSRC2:SCRATCH_EN: 0
; COMPUTE_PGM_RSRC2:USER_SGPR: 6
; COMPUTE_PGM_RSRC2:TRAP_HANDLER: 0
; COMPUTE_PGM_RSRC2:TGID_X_EN: 1
; COMPUTE_PGM_RSRC2:TGID_Y_EN: 0
; COMPUTE_PGM_RSRC2:TGID_Z_EN: 0
; COMPUTE_PGM_RSRC2:TIDIG_COMP_CNT: 0
; COMPUTE_PGM_RSRC3_GFX90A:ACCUM_OFFSET: 0
; COMPUTE_PGM_RSRC3_GFX90A:TG_SPLIT: 0
	.section	.text._ZN7rocprim17ROCPRIM_400000_NS6detail17trampoline_kernelINS0_14default_configENS1_21merge_config_selectorIsNS0_10empty_typeEEEZNS1_10merge_implIS3_N6thrust23THRUST_200600_302600_NS6detail15normal_iteratorINS9_10device_ptrIKsEEEESF_NSB_INSC_IsEEEEPS5_SI_SI_NS9_7greaterIsEEEE10hipError_tPvRmT0_T1_T2_T3_T4_T5_mmT6_P12ihipStream_tbEUlT_E0_NS1_11comp_targetILNS1_3genE8ELNS1_11target_archE1030ELNS1_3gpuE2ELNS1_3repE0EEENS1_30default_config_static_selectorELNS0_4arch9wavefront6targetE1EEEvSP_,"axG",@progbits,_ZN7rocprim17ROCPRIM_400000_NS6detail17trampoline_kernelINS0_14default_configENS1_21merge_config_selectorIsNS0_10empty_typeEEEZNS1_10merge_implIS3_N6thrust23THRUST_200600_302600_NS6detail15normal_iteratorINS9_10device_ptrIKsEEEESF_NSB_INSC_IsEEEEPS5_SI_SI_NS9_7greaterIsEEEE10hipError_tPvRmT0_T1_T2_T3_T4_T5_mmT6_P12ihipStream_tbEUlT_E0_NS1_11comp_targetILNS1_3genE8ELNS1_11target_archE1030ELNS1_3gpuE2ELNS1_3repE0EEENS1_30default_config_static_selectorELNS0_4arch9wavefront6targetE1EEEvSP_,comdat
	.protected	_ZN7rocprim17ROCPRIM_400000_NS6detail17trampoline_kernelINS0_14default_configENS1_21merge_config_selectorIsNS0_10empty_typeEEEZNS1_10merge_implIS3_N6thrust23THRUST_200600_302600_NS6detail15normal_iteratorINS9_10device_ptrIKsEEEESF_NSB_INSC_IsEEEEPS5_SI_SI_NS9_7greaterIsEEEE10hipError_tPvRmT0_T1_T2_T3_T4_T5_mmT6_P12ihipStream_tbEUlT_E0_NS1_11comp_targetILNS1_3genE8ELNS1_11target_archE1030ELNS1_3gpuE2ELNS1_3repE0EEENS1_30default_config_static_selectorELNS0_4arch9wavefront6targetE1EEEvSP_ ; -- Begin function _ZN7rocprim17ROCPRIM_400000_NS6detail17trampoline_kernelINS0_14default_configENS1_21merge_config_selectorIsNS0_10empty_typeEEEZNS1_10merge_implIS3_N6thrust23THRUST_200600_302600_NS6detail15normal_iteratorINS9_10device_ptrIKsEEEESF_NSB_INSC_IsEEEEPS5_SI_SI_NS9_7greaterIsEEEE10hipError_tPvRmT0_T1_T2_T3_T4_T5_mmT6_P12ihipStream_tbEUlT_E0_NS1_11comp_targetILNS1_3genE8ELNS1_11target_archE1030ELNS1_3gpuE2ELNS1_3repE0EEENS1_30default_config_static_selectorELNS0_4arch9wavefront6targetE1EEEvSP_
	.globl	_ZN7rocprim17ROCPRIM_400000_NS6detail17trampoline_kernelINS0_14default_configENS1_21merge_config_selectorIsNS0_10empty_typeEEEZNS1_10merge_implIS3_N6thrust23THRUST_200600_302600_NS6detail15normal_iteratorINS9_10device_ptrIKsEEEESF_NSB_INSC_IsEEEEPS5_SI_SI_NS9_7greaterIsEEEE10hipError_tPvRmT0_T1_T2_T3_T4_T5_mmT6_P12ihipStream_tbEUlT_E0_NS1_11comp_targetILNS1_3genE8ELNS1_11target_archE1030ELNS1_3gpuE2ELNS1_3repE0EEENS1_30default_config_static_selectorELNS0_4arch9wavefront6targetE1EEEvSP_
	.p2align	8
	.type	_ZN7rocprim17ROCPRIM_400000_NS6detail17trampoline_kernelINS0_14default_configENS1_21merge_config_selectorIsNS0_10empty_typeEEEZNS1_10merge_implIS3_N6thrust23THRUST_200600_302600_NS6detail15normal_iteratorINS9_10device_ptrIKsEEEESF_NSB_INSC_IsEEEEPS5_SI_SI_NS9_7greaterIsEEEE10hipError_tPvRmT0_T1_T2_T3_T4_T5_mmT6_P12ihipStream_tbEUlT_E0_NS1_11comp_targetILNS1_3genE8ELNS1_11target_archE1030ELNS1_3gpuE2ELNS1_3repE0EEENS1_30default_config_static_selectorELNS0_4arch9wavefront6targetE1EEEvSP_,@function
_ZN7rocprim17ROCPRIM_400000_NS6detail17trampoline_kernelINS0_14default_configENS1_21merge_config_selectorIsNS0_10empty_typeEEEZNS1_10merge_implIS3_N6thrust23THRUST_200600_302600_NS6detail15normal_iteratorINS9_10device_ptrIKsEEEESF_NSB_INSC_IsEEEEPS5_SI_SI_NS9_7greaterIsEEEE10hipError_tPvRmT0_T1_T2_T3_T4_T5_mmT6_P12ihipStream_tbEUlT_E0_NS1_11comp_targetILNS1_3genE8ELNS1_11target_archE1030ELNS1_3gpuE2ELNS1_3repE0EEENS1_30default_config_static_selectorELNS0_4arch9wavefront6targetE1EEEvSP_: ; @_ZN7rocprim17ROCPRIM_400000_NS6detail17trampoline_kernelINS0_14default_configENS1_21merge_config_selectorIsNS0_10empty_typeEEEZNS1_10merge_implIS3_N6thrust23THRUST_200600_302600_NS6detail15normal_iteratorINS9_10device_ptrIKsEEEESF_NSB_INSC_IsEEEEPS5_SI_SI_NS9_7greaterIsEEEE10hipError_tPvRmT0_T1_T2_T3_T4_T5_mmT6_P12ihipStream_tbEUlT_E0_NS1_11comp_targetILNS1_3genE8ELNS1_11target_archE1030ELNS1_3gpuE2ELNS1_3repE0EEENS1_30default_config_static_selectorELNS0_4arch9wavefront6targetE1EEEvSP_
; %bb.0:
	.section	.rodata,"a",@progbits
	.p2align	6, 0x0
	.amdhsa_kernel _ZN7rocprim17ROCPRIM_400000_NS6detail17trampoline_kernelINS0_14default_configENS1_21merge_config_selectorIsNS0_10empty_typeEEEZNS1_10merge_implIS3_N6thrust23THRUST_200600_302600_NS6detail15normal_iteratorINS9_10device_ptrIKsEEEESF_NSB_INSC_IsEEEEPS5_SI_SI_NS9_7greaterIsEEEE10hipError_tPvRmT0_T1_T2_T3_T4_T5_mmT6_P12ihipStream_tbEUlT_E0_NS1_11comp_targetILNS1_3genE8ELNS1_11target_archE1030ELNS1_3gpuE2ELNS1_3repE0EEENS1_30default_config_static_selectorELNS0_4arch9wavefront6targetE1EEEvSP_
		.amdhsa_group_segment_fixed_size 0
		.amdhsa_private_segment_fixed_size 0
		.amdhsa_kernarg_size 88
		.amdhsa_user_sgpr_count 6
		.amdhsa_user_sgpr_private_segment_buffer 1
		.amdhsa_user_sgpr_dispatch_ptr 0
		.amdhsa_user_sgpr_queue_ptr 0
		.amdhsa_user_sgpr_kernarg_segment_ptr 1
		.amdhsa_user_sgpr_dispatch_id 0
		.amdhsa_user_sgpr_flat_scratch_init 0
		.amdhsa_user_sgpr_kernarg_preload_length 0
		.amdhsa_user_sgpr_kernarg_preload_offset 0
		.amdhsa_user_sgpr_private_segment_size 0
		.amdhsa_uses_dynamic_stack 0
		.amdhsa_system_sgpr_private_segment_wavefront_offset 0
		.amdhsa_system_sgpr_workgroup_id_x 1
		.amdhsa_system_sgpr_workgroup_id_y 0
		.amdhsa_system_sgpr_workgroup_id_z 0
		.amdhsa_system_sgpr_workgroup_info 0
		.amdhsa_system_vgpr_workitem_id 0
		.amdhsa_next_free_vgpr 1
		.amdhsa_next_free_sgpr 0
		.amdhsa_accum_offset 4
		.amdhsa_reserve_vcc 0
		.amdhsa_reserve_flat_scratch 0
		.amdhsa_float_round_mode_32 0
		.amdhsa_float_round_mode_16_64 0
		.amdhsa_float_denorm_mode_32 3
		.amdhsa_float_denorm_mode_16_64 3
		.amdhsa_dx10_clamp 1
		.amdhsa_ieee_mode 1
		.amdhsa_fp16_overflow 0
		.amdhsa_tg_split 0
		.amdhsa_exception_fp_ieee_invalid_op 0
		.amdhsa_exception_fp_denorm_src 0
		.amdhsa_exception_fp_ieee_div_zero 0
		.amdhsa_exception_fp_ieee_overflow 0
		.amdhsa_exception_fp_ieee_underflow 0
		.amdhsa_exception_fp_ieee_inexact 0
		.amdhsa_exception_int_div_zero 0
	.end_amdhsa_kernel
	.section	.text._ZN7rocprim17ROCPRIM_400000_NS6detail17trampoline_kernelINS0_14default_configENS1_21merge_config_selectorIsNS0_10empty_typeEEEZNS1_10merge_implIS3_N6thrust23THRUST_200600_302600_NS6detail15normal_iteratorINS9_10device_ptrIKsEEEESF_NSB_INSC_IsEEEEPS5_SI_SI_NS9_7greaterIsEEEE10hipError_tPvRmT0_T1_T2_T3_T4_T5_mmT6_P12ihipStream_tbEUlT_E0_NS1_11comp_targetILNS1_3genE8ELNS1_11target_archE1030ELNS1_3gpuE2ELNS1_3repE0EEENS1_30default_config_static_selectorELNS0_4arch9wavefront6targetE1EEEvSP_,"axG",@progbits,_ZN7rocprim17ROCPRIM_400000_NS6detail17trampoline_kernelINS0_14default_configENS1_21merge_config_selectorIsNS0_10empty_typeEEEZNS1_10merge_implIS3_N6thrust23THRUST_200600_302600_NS6detail15normal_iteratorINS9_10device_ptrIKsEEEESF_NSB_INSC_IsEEEEPS5_SI_SI_NS9_7greaterIsEEEE10hipError_tPvRmT0_T1_T2_T3_T4_T5_mmT6_P12ihipStream_tbEUlT_E0_NS1_11comp_targetILNS1_3genE8ELNS1_11target_archE1030ELNS1_3gpuE2ELNS1_3repE0EEENS1_30default_config_static_selectorELNS0_4arch9wavefront6targetE1EEEvSP_,comdat
.Lfunc_end604:
	.size	_ZN7rocprim17ROCPRIM_400000_NS6detail17trampoline_kernelINS0_14default_configENS1_21merge_config_selectorIsNS0_10empty_typeEEEZNS1_10merge_implIS3_N6thrust23THRUST_200600_302600_NS6detail15normal_iteratorINS9_10device_ptrIKsEEEESF_NSB_INSC_IsEEEEPS5_SI_SI_NS9_7greaterIsEEEE10hipError_tPvRmT0_T1_T2_T3_T4_T5_mmT6_P12ihipStream_tbEUlT_E0_NS1_11comp_targetILNS1_3genE8ELNS1_11target_archE1030ELNS1_3gpuE2ELNS1_3repE0EEENS1_30default_config_static_selectorELNS0_4arch9wavefront6targetE1EEEvSP_, .Lfunc_end604-_ZN7rocprim17ROCPRIM_400000_NS6detail17trampoline_kernelINS0_14default_configENS1_21merge_config_selectorIsNS0_10empty_typeEEEZNS1_10merge_implIS3_N6thrust23THRUST_200600_302600_NS6detail15normal_iteratorINS9_10device_ptrIKsEEEESF_NSB_INSC_IsEEEEPS5_SI_SI_NS9_7greaterIsEEEE10hipError_tPvRmT0_T1_T2_T3_T4_T5_mmT6_P12ihipStream_tbEUlT_E0_NS1_11comp_targetILNS1_3genE8ELNS1_11target_archE1030ELNS1_3gpuE2ELNS1_3repE0EEENS1_30default_config_static_selectorELNS0_4arch9wavefront6targetE1EEEvSP_
                                        ; -- End function
	.section	.AMDGPU.csdata,"",@progbits
; Kernel info:
; codeLenInByte = 0
; NumSgprs: 4
; NumVgprs: 0
; NumAgprs: 0
; TotalNumVgprs: 0
; ScratchSize: 0
; MemoryBound: 0
; FloatMode: 240
; IeeeMode: 1
; LDSByteSize: 0 bytes/workgroup (compile time only)
; SGPRBlocks: 0
; VGPRBlocks: 0
; NumSGPRsForWavesPerEU: 4
; NumVGPRsForWavesPerEU: 1
; AccumOffset: 4
; Occupancy: 8
; WaveLimiterHint : 0
; COMPUTE_PGM_RSRC2:SCRATCH_EN: 0
; COMPUTE_PGM_RSRC2:USER_SGPR: 6
; COMPUTE_PGM_RSRC2:TRAP_HANDLER: 0
; COMPUTE_PGM_RSRC2:TGID_X_EN: 1
; COMPUTE_PGM_RSRC2:TGID_Y_EN: 0
; COMPUTE_PGM_RSRC2:TGID_Z_EN: 0
; COMPUTE_PGM_RSRC2:TIDIG_COMP_CNT: 0
; COMPUTE_PGM_RSRC3_GFX90A:ACCUM_OFFSET: 0
; COMPUTE_PGM_RSRC3_GFX90A:TG_SPLIT: 0
	.section	.text._Z11MergeKernelIiEviPKT_S2_PS0_,"axG",@progbits,_Z11MergeKernelIiEviPKT_S2_PS0_,comdat
	.protected	_Z11MergeKernelIiEviPKT_S2_PS0_ ; -- Begin function _Z11MergeKernelIiEviPKT_S2_PS0_
	.globl	_Z11MergeKernelIiEviPKT_S2_PS0_
	.p2align	8
	.type	_Z11MergeKernelIiEviPKT_S2_PS0_,@function
_Z11MergeKernelIiEviPKT_S2_PS0_:        ; @_Z11MergeKernelIiEviPKT_S2_PS0_
; %bb.0:
	v_cmp_eq_u32_e32 vcc, 0, v0
	s_and_saveexec_b64 s[0:1], vcc
	s_cbranch_execz .LBB605_10
; %bb.1:
	s_load_dword s8, s[4:5], 0x0
	s_load_dwordx4 s[0:3], s[4:5], 0x8
	s_load_dwordx2 s[6:7], s[4:5], 0x18
	s_waitcnt lgkmcnt(0)
	s_ashr_i32 s9, s8, 31
	s_lshl_b64 s[10:11], s[8:9], 2
	s_add_u32 s8, s0, s10
	s_addc_u32 s9, s1, s11
	s_add_u32 s4, s2, s10
	s_addc_u32 s5, s3, s11
	s_cmp_eq_u64 s[10:11], 0
	s_cbranch_scc1 .LBB605_4
; %bb.2:
	v_mov_b32_e32 v0, 0
.LBB605_3:                              ; =>This Inner Loop Header: Depth=1
	global_load_dword v1, v0, s[2:3]
	global_load_dword v2, v0, s[0:1]
	s_waitcnt vmcnt(0)
	v_cmp_lt_i32_e32 vcc, v1, v2
	v_cndmask_b32_e64 v4, 0, 1, vcc
	v_cmp_ge_i32_e32 vcc, v1, v2
	v_readfirstlane_b32 s10, v4
	v_min_i32_e32 v3, v1, v2
	v_cndmask_b32_e64 v1, 0, 1, vcc
	s_lshl_b32 s10, s10, 2
	v_readfirstlane_b32 s11, v1
	s_add_u32 s2, s2, s10
	s_addc_u32 s3, s3, 0
	s_lshl_b32 s10, s11, 2
	s_add_u32 s0, s0, s10
	s_addc_u32 s1, s1, 0
	global_store_dword v0, v3, s[6:7]
	s_add_u32 s6, s6, 4
	s_addc_u32 s7, s7, 0
	s_cmp_lg_u64 s[0:1], s[8:9]
	s_cselect_b64 s[10:11], -1, 0
	s_cmp_lg_u64 s[2:3], s[4:5]
	s_cselect_b64 s[12:13], -1, 0
	s_and_b64 s[10:11], s[10:11], s[12:13]
	s_and_b64 vcc, exec, s[10:11]
	s_cbranch_vccnz .LBB605_3
.LBB605_4:
	s_sub_u32 s8, s0, s8
	s_subb_u32 s9, s1, s9
	s_ashr_i64 s[8:9], s[8:9], 2
	v_cmp_gt_i64_e64 s[10:11], s[8:9], -1
	s_and_b64 vcc, exec, s[10:11]
	s_cbranch_vccnz .LBB605_7
; %bb.5:
	s_sub_u32 s10, 1, s8
	s_subb_u32 s11, 0, s9
	v_mov_b32_e32 v0, 0
	s_mov_b64 s[12:13], s[6:7]
.LBB605_6:                              ; =>This Inner Loop Header: Depth=1
	global_load_dword v1, v0, s[0:1]
	s_add_u32 s0, s0, 4
	s_addc_u32 s1, s1, 0
	s_waitcnt vmcnt(0)
	global_store_dword v0, v1, s[12:13]
	s_add_u32 s12, s12, 4
	s_addc_u32 s13, s13, 0
	s_add_u32 s10, s10, -1
	s_addc_u32 s11, s11, -1
	v_cmp_gt_u64_e64 s[14:15], s[10:11], 1
	s_and_b64 vcc, exec, s[14:15]
	s_cbranch_vccnz .LBB605_6
.LBB605_7:
	s_sub_u32 s0, s2, s4
	s_subb_u32 s1, s3, s5
	s_ashr_i64 s[4:5], s[0:1], 2
	v_cmp_gt_i64_e64 s[0:1], s[4:5], -1
	s_and_b64 vcc, exec, s[0:1]
	s_cbranch_vccnz .LBB605_10
; %bb.8:
	s_lshl_b64 s[0:1], s[8:9], 2
	s_sub_u32 s0, s6, s0
	s_subb_u32 s1, s7, s1
	s_sub_u32 s4, 1, s4
	s_subb_u32 s5, 0, s5
	v_mov_b32_e32 v0, 0
.LBB605_9:                              ; =>This Inner Loop Header: Depth=1
	global_load_dword v1, v0, s[2:3]
	s_add_u32 s2, s2, 4
	s_addc_u32 s3, s3, 0
	s_waitcnt vmcnt(0)
	global_store_dword v0, v1, s[0:1]
	s_add_u32 s0, s0, 4
	s_addc_u32 s1, s1, 0
	s_add_u32 s4, s4, -1
	s_addc_u32 s5, s5, -1
	v_cmp_gt_u64_e64 s[6:7], s[4:5], 1
	s_and_b64 vcc, exec, s[6:7]
	s_cbranch_vccnz .LBB605_9
.LBB605_10:
	s_endpgm
	.section	.rodata,"a",@progbits
	.p2align	6, 0x0
	.amdhsa_kernel _Z11MergeKernelIiEviPKT_S2_PS0_
		.amdhsa_group_segment_fixed_size 0
		.amdhsa_private_segment_fixed_size 0
		.amdhsa_kernarg_size 32
		.amdhsa_user_sgpr_count 6
		.amdhsa_user_sgpr_private_segment_buffer 1
		.amdhsa_user_sgpr_dispatch_ptr 0
		.amdhsa_user_sgpr_queue_ptr 0
		.amdhsa_user_sgpr_kernarg_segment_ptr 1
		.amdhsa_user_sgpr_dispatch_id 0
		.amdhsa_user_sgpr_flat_scratch_init 0
		.amdhsa_user_sgpr_kernarg_preload_length 0
		.amdhsa_user_sgpr_kernarg_preload_offset 0
		.amdhsa_user_sgpr_private_segment_size 0
		.amdhsa_uses_dynamic_stack 0
		.amdhsa_system_sgpr_private_segment_wavefront_offset 0
		.amdhsa_system_sgpr_workgroup_id_x 1
		.amdhsa_system_sgpr_workgroup_id_y 0
		.amdhsa_system_sgpr_workgroup_id_z 0
		.amdhsa_system_sgpr_workgroup_info 0
		.amdhsa_system_vgpr_workitem_id 0
		.amdhsa_next_free_vgpr 5
		.amdhsa_next_free_sgpr 16
		.amdhsa_accum_offset 8
		.amdhsa_reserve_vcc 1
		.amdhsa_reserve_flat_scratch 0
		.amdhsa_float_round_mode_32 0
		.amdhsa_float_round_mode_16_64 0
		.amdhsa_float_denorm_mode_32 3
		.amdhsa_float_denorm_mode_16_64 3
		.amdhsa_dx10_clamp 1
		.amdhsa_ieee_mode 1
		.amdhsa_fp16_overflow 0
		.amdhsa_tg_split 0
		.amdhsa_exception_fp_ieee_invalid_op 0
		.amdhsa_exception_fp_denorm_src 0
		.amdhsa_exception_fp_ieee_div_zero 0
		.amdhsa_exception_fp_ieee_overflow 0
		.amdhsa_exception_fp_ieee_underflow 0
		.amdhsa_exception_fp_ieee_inexact 0
		.amdhsa_exception_int_div_zero 0
	.end_amdhsa_kernel
	.section	.text._Z11MergeKernelIiEviPKT_S2_PS0_,"axG",@progbits,_Z11MergeKernelIiEviPKT_S2_PS0_,comdat
.Lfunc_end605:
	.size	_Z11MergeKernelIiEviPKT_S2_PS0_, .Lfunc_end605-_Z11MergeKernelIiEviPKT_S2_PS0_
                                        ; -- End function
	.section	.AMDGPU.csdata,"",@progbits
; Kernel info:
; codeLenInByte = 420
; NumSgprs: 20
; NumVgprs: 5
; NumAgprs: 0
; TotalNumVgprs: 5
; ScratchSize: 0
; MemoryBound: 0
; FloatMode: 240
; IeeeMode: 1
; LDSByteSize: 0 bytes/workgroup (compile time only)
; SGPRBlocks: 2
; VGPRBlocks: 0
; NumSGPRsForWavesPerEU: 20
; NumVGPRsForWavesPerEU: 5
; AccumOffset: 8
; Occupancy: 8
; WaveLimiterHint : 0
; COMPUTE_PGM_RSRC2:SCRATCH_EN: 0
; COMPUTE_PGM_RSRC2:USER_SGPR: 6
; COMPUTE_PGM_RSRC2:TRAP_HANDLER: 0
; COMPUTE_PGM_RSRC2:TGID_X_EN: 1
; COMPUTE_PGM_RSRC2:TGID_Y_EN: 0
; COMPUTE_PGM_RSRC2:TGID_Z_EN: 0
; COMPUTE_PGM_RSRC2:TIDIG_COMP_CNT: 0
; COMPUTE_PGM_RSRC3_GFX90A:ACCUM_OFFSET: 1
; COMPUTE_PGM_RSRC3_GFX90A:TG_SPLIT: 0
	.section	.text._ZN7rocprim17ROCPRIM_400000_NS6detail17trampoline_kernelINS0_14default_configENS1_21merge_config_selectorIiNS0_10empty_typeEEEZNS1_10merge_implIS3_N6thrust23THRUST_200600_302600_NS10device_ptrIKiEESC_NSA_IiEEPS5_SE_SE_NS9_4lessIiEEEE10hipError_tPvRmT0_T1_T2_T3_T4_T5_mmT6_P12ihipStream_tbEUlT_E_NS1_11comp_targetILNS1_3genE0ELNS1_11target_archE4294967295ELNS1_3gpuE0ELNS1_3repE0EEENS1_30default_config_static_selectorELNS0_4arch9wavefront6targetE1EEEvSL_,"axG",@progbits,_ZN7rocprim17ROCPRIM_400000_NS6detail17trampoline_kernelINS0_14default_configENS1_21merge_config_selectorIiNS0_10empty_typeEEEZNS1_10merge_implIS3_N6thrust23THRUST_200600_302600_NS10device_ptrIKiEESC_NSA_IiEEPS5_SE_SE_NS9_4lessIiEEEE10hipError_tPvRmT0_T1_T2_T3_T4_T5_mmT6_P12ihipStream_tbEUlT_E_NS1_11comp_targetILNS1_3genE0ELNS1_11target_archE4294967295ELNS1_3gpuE0ELNS1_3repE0EEENS1_30default_config_static_selectorELNS0_4arch9wavefront6targetE1EEEvSL_,comdat
	.protected	_ZN7rocprim17ROCPRIM_400000_NS6detail17trampoline_kernelINS0_14default_configENS1_21merge_config_selectorIiNS0_10empty_typeEEEZNS1_10merge_implIS3_N6thrust23THRUST_200600_302600_NS10device_ptrIKiEESC_NSA_IiEEPS5_SE_SE_NS9_4lessIiEEEE10hipError_tPvRmT0_T1_T2_T3_T4_T5_mmT6_P12ihipStream_tbEUlT_E_NS1_11comp_targetILNS1_3genE0ELNS1_11target_archE4294967295ELNS1_3gpuE0ELNS1_3repE0EEENS1_30default_config_static_selectorELNS0_4arch9wavefront6targetE1EEEvSL_ ; -- Begin function _ZN7rocprim17ROCPRIM_400000_NS6detail17trampoline_kernelINS0_14default_configENS1_21merge_config_selectorIiNS0_10empty_typeEEEZNS1_10merge_implIS3_N6thrust23THRUST_200600_302600_NS10device_ptrIKiEESC_NSA_IiEEPS5_SE_SE_NS9_4lessIiEEEE10hipError_tPvRmT0_T1_T2_T3_T4_T5_mmT6_P12ihipStream_tbEUlT_E_NS1_11comp_targetILNS1_3genE0ELNS1_11target_archE4294967295ELNS1_3gpuE0ELNS1_3repE0EEENS1_30default_config_static_selectorELNS0_4arch9wavefront6targetE1EEEvSL_
	.globl	_ZN7rocprim17ROCPRIM_400000_NS6detail17trampoline_kernelINS0_14default_configENS1_21merge_config_selectorIiNS0_10empty_typeEEEZNS1_10merge_implIS3_N6thrust23THRUST_200600_302600_NS10device_ptrIKiEESC_NSA_IiEEPS5_SE_SE_NS9_4lessIiEEEE10hipError_tPvRmT0_T1_T2_T3_T4_T5_mmT6_P12ihipStream_tbEUlT_E_NS1_11comp_targetILNS1_3genE0ELNS1_11target_archE4294967295ELNS1_3gpuE0ELNS1_3repE0EEENS1_30default_config_static_selectorELNS0_4arch9wavefront6targetE1EEEvSL_
	.p2align	8
	.type	_ZN7rocprim17ROCPRIM_400000_NS6detail17trampoline_kernelINS0_14default_configENS1_21merge_config_selectorIiNS0_10empty_typeEEEZNS1_10merge_implIS3_N6thrust23THRUST_200600_302600_NS10device_ptrIKiEESC_NSA_IiEEPS5_SE_SE_NS9_4lessIiEEEE10hipError_tPvRmT0_T1_T2_T3_T4_T5_mmT6_P12ihipStream_tbEUlT_E_NS1_11comp_targetILNS1_3genE0ELNS1_11target_archE4294967295ELNS1_3gpuE0ELNS1_3repE0EEENS1_30default_config_static_selectorELNS0_4arch9wavefront6targetE1EEEvSL_,@function
_ZN7rocprim17ROCPRIM_400000_NS6detail17trampoline_kernelINS0_14default_configENS1_21merge_config_selectorIiNS0_10empty_typeEEEZNS1_10merge_implIS3_N6thrust23THRUST_200600_302600_NS10device_ptrIKiEESC_NSA_IiEEPS5_SE_SE_NS9_4lessIiEEEE10hipError_tPvRmT0_T1_T2_T3_T4_T5_mmT6_P12ihipStream_tbEUlT_E_NS1_11comp_targetILNS1_3genE0ELNS1_11target_archE4294967295ELNS1_3gpuE0ELNS1_3repE0EEENS1_30default_config_static_selectorELNS0_4arch9wavefront6targetE1EEEvSL_: ; @_ZN7rocprim17ROCPRIM_400000_NS6detail17trampoline_kernelINS0_14default_configENS1_21merge_config_selectorIiNS0_10empty_typeEEEZNS1_10merge_implIS3_N6thrust23THRUST_200600_302600_NS10device_ptrIKiEESC_NSA_IiEEPS5_SE_SE_NS9_4lessIiEEEE10hipError_tPvRmT0_T1_T2_T3_T4_T5_mmT6_P12ihipStream_tbEUlT_E_NS1_11comp_targetILNS1_3genE0ELNS1_11target_archE4294967295ELNS1_3gpuE0ELNS1_3repE0EEENS1_30default_config_static_selectorELNS0_4arch9wavefront6targetE1EEEvSL_
; %bb.0:
	.section	.rodata,"a",@progbits
	.p2align	6, 0x0
	.amdhsa_kernel _ZN7rocprim17ROCPRIM_400000_NS6detail17trampoline_kernelINS0_14default_configENS1_21merge_config_selectorIiNS0_10empty_typeEEEZNS1_10merge_implIS3_N6thrust23THRUST_200600_302600_NS10device_ptrIKiEESC_NSA_IiEEPS5_SE_SE_NS9_4lessIiEEEE10hipError_tPvRmT0_T1_T2_T3_T4_T5_mmT6_P12ihipStream_tbEUlT_E_NS1_11comp_targetILNS1_3genE0ELNS1_11target_archE4294967295ELNS1_3gpuE0ELNS1_3repE0EEENS1_30default_config_static_selectorELNS0_4arch9wavefront6targetE1EEEvSL_
		.amdhsa_group_segment_fixed_size 0
		.amdhsa_private_segment_fixed_size 0
		.amdhsa_kernarg_size 48
		.amdhsa_user_sgpr_count 6
		.amdhsa_user_sgpr_private_segment_buffer 1
		.amdhsa_user_sgpr_dispatch_ptr 0
		.amdhsa_user_sgpr_queue_ptr 0
		.amdhsa_user_sgpr_kernarg_segment_ptr 1
		.amdhsa_user_sgpr_dispatch_id 0
		.amdhsa_user_sgpr_flat_scratch_init 0
		.amdhsa_user_sgpr_kernarg_preload_length 0
		.amdhsa_user_sgpr_kernarg_preload_offset 0
		.amdhsa_user_sgpr_private_segment_size 0
		.amdhsa_uses_dynamic_stack 0
		.amdhsa_system_sgpr_private_segment_wavefront_offset 0
		.amdhsa_system_sgpr_workgroup_id_x 1
		.amdhsa_system_sgpr_workgroup_id_y 0
		.amdhsa_system_sgpr_workgroup_id_z 0
		.amdhsa_system_sgpr_workgroup_info 0
		.amdhsa_system_vgpr_workitem_id 0
		.amdhsa_next_free_vgpr 1
		.amdhsa_next_free_sgpr 0
		.amdhsa_accum_offset 4
		.amdhsa_reserve_vcc 0
		.amdhsa_reserve_flat_scratch 0
		.amdhsa_float_round_mode_32 0
		.amdhsa_float_round_mode_16_64 0
		.amdhsa_float_denorm_mode_32 3
		.amdhsa_float_denorm_mode_16_64 3
		.amdhsa_dx10_clamp 1
		.amdhsa_ieee_mode 1
		.amdhsa_fp16_overflow 0
		.amdhsa_tg_split 0
		.amdhsa_exception_fp_ieee_invalid_op 0
		.amdhsa_exception_fp_denorm_src 0
		.amdhsa_exception_fp_ieee_div_zero 0
		.amdhsa_exception_fp_ieee_overflow 0
		.amdhsa_exception_fp_ieee_underflow 0
		.amdhsa_exception_fp_ieee_inexact 0
		.amdhsa_exception_int_div_zero 0
	.end_amdhsa_kernel
	.section	.text._ZN7rocprim17ROCPRIM_400000_NS6detail17trampoline_kernelINS0_14default_configENS1_21merge_config_selectorIiNS0_10empty_typeEEEZNS1_10merge_implIS3_N6thrust23THRUST_200600_302600_NS10device_ptrIKiEESC_NSA_IiEEPS5_SE_SE_NS9_4lessIiEEEE10hipError_tPvRmT0_T1_T2_T3_T4_T5_mmT6_P12ihipStream_tbEUlT_E_NS1_11comp_targetILNS1_3genE0ELNS1_11target_archE4294967295ELNS1_3gpuE0ELNS1_3repE0EEENS1_30default_config_static_selectorELNS0_4arch9wavefront6targetE1EEEvSL_,"axG",@progbits,_ZN7rocprim17ROCPRIM_400000_NS6detail17trampoline_kernelINS0_14default_configENS1_21merge_config_selectorIiNS0_10empty_typeEEEZNS1_10merge_implIS3_N6thrust23THRUST_200600_302600_NS10device_ptrIKiEESC_NSA_IiEEPS5_SE_SE_NS9_4lessIiEEEE10hipError_tPvRmT0_T1_T2_T3_T4_T5_mmT6_P12ihipStream_tbEUlT_E_NS1_11comp_targetILNS1_3genE0ELNS1_11target_archE4294967295ELNS1_3gpuE0ELNS1_3repE0EEENS1_30default_config_static_selectorELNS0_4arch9wavefront6targetE1EEEvSL_,comdat
.Lfunc_end606:
	.size	_ZN7rocprim17ROCPRIM_400000_NS6detail17trampoline_kernelINS0_14default_configENS1_21merge_config_selectorIiNS0_10empty_typeEEEZNS1_10merge_implIS3_N6thrust23THRUST_200600_302600_NS10device_ptrIKiEESC_NSA_IiEEPS5_SE_SE_NS9_4lessIiEEEE10hipError_tPvRmT0_T1_T2_T3_T4_T5_mmT6_P12ihipStream_tbEUlT_E_NS1_11comp_targetILNS1_3genE0ELNS1_11target_archE4294967295ELNS1_3gpuE0ELNS1_3repE0EEENS1_30default_config_static_selectorELNS0_4arch9wavefront6targetE1EEEvSL_, .Lfunc_end606-_ZN7rocprim17ROCPRIM_400000_NS6detail17trampoline_kernelINS0_14default_configENS1_21merge_config_selectorIiNS0_10empty_typeEEEZNS1_10merge_implIS3_N6thrust23THRUST_200600_302600_NS10device_ptrIKiEESC_NSA_IiEEPS5_SE_SE_NS9_4lessIiEEEE10hipError_tPvRmT0_T1_T2_T3_T4_T5_mmT6_P12ihipStream_tbEUlT_E_NS1_11comp_targetILNS1_3genE0ELNS1_11target_archE4294967295ELNS1_3gpuE0ELNS1_3repE0EEENS1_30default_config_static_selectorELNS0_4arch9wavefront6targetE1EEEvSL_
                                        ; -- End function
	.section	.AMDGPU.csdata,"",@progbits
; Kernel info:
; codeLenInByte = 0
; NumSgprs: 4
; NumVgprs: 0
; NumAgprs: 0
; TotalNumVgprs: 0
; ScratchSize: 0
; MemoryBound: 0
; FloatMode: 240
; IeeeMode: 1
; LDSByteSize: 0 bytes/workgroup (compile time only)
; SGPRBlocks: 0
; VGPRBlocks: 0
; NumSGPRsForWavesPerEU: 4
; NumVGPRsForWavesPerEU: 1
; AccumOffset: 4
; Occupancy: 8
; WaveLimiterHint : 0
; COMPUTE_PGM_RSRC2:SCRATCH_EN: 0
; COMPUTE_PGM_RSRC2:USER_SGPR: 6
; COMPUTE_PGM_RSRC2:TRAP_HANDLER: 0
; COMPUTE_PGM_RSRC2:TGID_X_EN: 1
; COMPUTE_PGM_RSRC2:TGID_Y_EN: 0
; COMPUTE_PGM_RSRC2:TGID_Z_EN: 0
; COMPUTE_PGM_RSRC2:TIDIG_COMP_CNT: 0
; COMPUTE_PGM_RSRC3_GFX90A:ACCUM_OFFSET: 0
; COMPUTE_PGM_RSRC3_GFX90A:TG_SPLIT: 0
	.section	.text._ZN7rocprim17ROCPRIM_400000_NS6detail17trampoline_kernelINS0_14default_configENS1_21merge_config_selectorIiNS0_10empty_typeEEEZNS1_10merge_implIS3_N6thrust23THRUST_200600_302600_NS10device_ptrIKiEESC_NSA_IiEEPS5_SE_SE_NS9_4lessIiEEEE10hipError_tPvRmT0_T1_T2_T3_T4_T5_mmT6_P12ihipStream_tbEUlT_E_NS1_11comp_targetILNS1_3genE5ELNS1_11target_archE942ELNS1_3gpuE9ELNS1_3repE0EEENS1_30default_config_static_selectorELNS0_4arch9wavefront6targetE1EEEvSL_,"axG",@progbits,_ZN7rocprim17ROCPRIM_400000_NS6detail17trampoline_kernelINS0_14default_configENS1_21merge_config_selectorIiNS0_10empty_typeEEEZNS1_10merge_implIS3_N6thrust23THRUST_200600_302600_NS10device_ptrIKiEESC_NSA_IiEEPS5_SE_SE_NS9_4lessIiEEEE10hipError_tPvRmT0_T1_T2_T3_T4_T5_mmT6_P12ihipStream_tbEUlT_E_NS1_11comp_targetILNS1_3genE5ELNS1_11target_archE942ELNS1_3gpuE9ELNS1_3repE0EEENS1_30default_config_static_selectorELNS0_4arch9wavefront6targetE1EEEvSL_,comdat
	.protected	_ZN7rocprim17ROCPRIM_400000_NS6detail17trampoline_kernelINS0_14default_configENS1_21merge_config_selectorIiNS0_10empty_typeEEEZNS1_10merge_implIS3_N6thrust23THRUST_200600_302600_NS10device_ptrIKiEESC_NSA_IiEEPS5_SE_SE_NS9_4lessIiEEEE10hipError_tPvRmT0_T1_T2_T3_T4_T5_mmT6_P12ihipStream_tbEUlT_E_NS1_11comp_targetILNS1_3genE5ELNS1_11target_archE942ELNS1_3gpuE9ELNS1_3repE0EEENS1_30default_config_static_selectorELNS0_4arch9wavefront6targetE1EEEvSL_ ; -- Begin function _ZN7rocprim17ROCPRIM_400000_NS6detail17trampoline_kernelINS0_14default_configENS1_21merge_config_selectorIiNS0_10empty_typeEEEZNS1_10merge_implIS3_N6thrust23THRUST_200600_302600_NS10device_ptrIKiEESC_NSA_IiEEPS5_SE_SE_NS9_4lessIiEEEE10hipError_tPvRmT0_T1_T2_T3_T4_T5_mmT6_P12ihipStream_tbEUlT_E_NS1_11comp_targetILNS1_3genE5ELNS1_11target_archE942ELNS1_3gpuE9ELNS1_3repE0EEENS1_30default_config_static_selectorELNS0_4arch9wavefront6targetE1EEEvSL_
	.globl	_ZN7rocprim17ROCPRIM_400000_NS6detail17trampoline_kernelINS0_14default_configENS1_21merge_config_selectorIiNS0_10empty_typeEEEZNS1_10merge_implIS3_N6thrust23THRUST_200600_302600_NS10device_ptrIKiEESC_NSA_IiEEPS5_SE_SE_NS9_4lessIiEEEE10hipError_tPvRmT0_T1_T2_T3_T4_T5_mmT6_P12ihipStream_tbEUlT_E_NS1_11comp_targetILNS1_3genE5ELNS1_11target_archE942ELNS1_3gpuE9ELNS1_3repE0EEENS1_30default_config_static_selectorELNS0_4arch9wavefront6targetE1EEEvSL_
	.p2align	8
	.type	_ZN7rocprim17ROCPRIM_400000_NS6detail17trampoline_kernelINS0_14default_configENS1_21merge_config_selectorIiNS0_10empty_typeEEEZNS1_10merge_implIS3_N6thrust23THRUST_200600_302600_NS10device_ptrIKiEESC_NSA_IiEEPS5_SE_SE_NS9_4lessIiEEEE10hipError_tPvRmT0_T1_T2_T3_T4_T5_mmT6_P12ihipStream_tbEUlT_E_NS1_11comp_targetILNS1_3genE5ELNS1_11target_archE942ELNS1_3gpuE9ELNS1_3repE0EEENS1_30default_config_static_selectorELNS0_4arch9wavefront6targetE1EEEvSL_,@function
_ZN7rocprim17ROCPRIM_400000_NS6detail17trampoline_kernelINS0_14default_configENS1_21merge_config_selectorIiNS0_10empty_typeEEEZNS1_10merge_implIS3_N6thrust23THRUST_200600_302600_NS10device_ptrIKiEESC_NSA_IiEEPS5_SE_SE_NS9_4lessIiEEEE10hipError_tPvRmT0_T1_T2_T3_T4_T5_mmT6_P12ihipStream_tbEUlT_E_NS1_11comp_targetILNS1_3genE5ELNS1_11target_archE942ELNS1_3gpuE9ELNS1_3repE0EEENS1_30default_config_static_selectorELNS0_4arch9wavefront6targetE1EEEvSL_: ; @_ZN7rocprim17ROCPRIM_400000_NS6detail17trampoline_kernelINS0_14default_configENS1_21merge_config_selectorIiNS0_10empty_typeEEEZNS1_10merge_implIS3_N6thrust23THRUST_200600_302600_NS10device_ptrIKiEESC_NSA_IiEEPS5_SE_SE_NS9_4lessIiEEEE10hipError_tPvRmT0_T1_T2_T3_T4_T5_mmT6_P12ihipStream_tbEUlT_E_NS1_11comp_targetILNS1_3genE5ELNS1_11target_archE942ELNS1_3gpuE9ELNS1_3repE0EEENS1_30default_config_static_selectorELNS0_4arch9wavefront6targetE1EEEvSL_
; %bb.0:
	.section	.rodata,"a",@progbits
	.p2align	6, 0x0
	.amdhsa_kernel _ZN7rocprim17ROCPRIM_400000_NS6detail17trampoline_kernelINS0_14default_configENS1_21merge_config_selectorIiNS0_10empty_typeEEEZNS1_10merge_implIS3_N6thrust23THRUST_200600_302600_NS10device_ptrIKiEESC_NSA_IiEEPS5_SE_SE_NS9_4lessIiEEEE10hipError_tPvRmT0_T1_T2_T3_T4_T5_mmT6_P12ihipStream_tbEUlT_E_NS1_11comp_targetILNS1_3genE5ELNS1_11target_archE942ELNS1_3gpuE9ELNS1_3repE0EEENS1_30default_config_static_selectorELNS0_4arch9wavefront6targetE1EEEvSL_
		.amdhsa_group_segment_fixed_size 0
		.amdhsa_private_segment_fixed_size 0
		.amdhsa_kernarg_size 48
		.amdhsa_user_sgpr_count 6
		.amdhsa_user_sgpr_private_segment_buffer 1
		.amdhsa_user_sgpr_dispatch_ptr 0
		.amdhsa_user_sgpr_queue_ptr 0
		.amdhsa_user_sgpr_kernarg_segment_ptr 1
		.amdhsa_user_sgpr_dispatch_id 0
		.amdhsa_user_sgpr_flat_scratch_init 0
		.amdhsa_user_sgpr_kernarg_preload_length 0
		.amdhsa_user_sgpr_kernarg_preload_offset 0
		.amdhsa_user_sgpr_private_segment_size 0
		.amdhsa_uses_dynamic_stack 0
		.amdhsa_system_sgpr_private_segment_wavefront_offset 0
		.amdhsa_system_sgpr_workgroup_id_x 1
		.amdhsa_system_sgpr_workgroup_id_y 0
		.amdhsa_system_sgpr_workgroup_id_z 0
		.amdhsa_system_sgpr_workgroup_info 0
		.amdhsa_system_vgpr_workitem_id 0
		.amdhsa_next_free_vgpr 1
		.amdhsa_next_free_sgpr 0
		.amdhsa_accum_offset 4
		.amdhsa_reserve_vcc 0
		.amdhsa_reserve_flat_scratch 0
		.amdhsa_float_round_mode_32 0
		.amdhsa_float_round_mode_16_64 0
		.amdhsa_float_denorm_mode_32 3
		.amdhsa_float_denorm_mode_16_64 3
		.amdhsa_dx10_clamp 1
		.amdhsa_ieee_mode 1
		.amdhsa_fp16_overflow 0
		.amdhsa_tg_split 0
		.amdhsa_exception_fp_ieee_invalid_op 0
		.amdhsa_exception_fp_denorm_src 0
		.amdhsa_exception_fp_ieee_div_zero 0
		.amdhsa_exception_fp_ieee_overflow 0
		.amdhsa_exception_fp_ieee_underflow 0
		.amdhsa_exception_fp_ieee_inexact 0
		.amdhsa_exception_int_div_zero 0
	.end_amdhsa_kernel
	.section	.text._ZN7rocprim17ROCPRIM_400000_NS6detail17trampoline_kernelINS0_14default_configENS1_21merge_config_selectorIiNS0_10empty_typeEEEZNS1_10merge_implIS3_N6thrust23THRUST_200600_302600_NS10device_ptrIKiEESC_NSA_IiEEPS5_SE_SE_NS9_4lessIiEEEE10hipError_tPvRmT0_T1_T2_T3_T4_T5_mmT6_P12ihipStream_tbEUlT_E_NS1_11comp_targetILNS1_3genE5ELNS1_11target_archE942ELNS1_3gpuE9ELNS1_3repE0EEENS1_30default_config_static_selectorELNS0_4arch9wavefront6targetE1EEEvSL_,"axG",@progbits,_ZN7rocprim17ROCPRIM_400000_NS6detail17trampoline_kernelINS0_14default_configENS1_21merge_config_selectorIiNS0_10empty_typeEEEZNS1_10merge_implIS3_N6thrust23THRUST_200600_302600_NS10device_ptrIKiEESC_NSA_IiEEPS5_SE_SE_NS9_4lessIiEEEE10hipError_tPvRmT0_T1_T2_T3_T4_T5_mmT6_P12ihipStream_tbEUlT_E_NS1_11comp_targetILNS1_3genE5ELNS1_11target_archE942ELNS1_3gpuE9ELNS1_3repE0EEENS1_30default_config_static_selectorELNS0_4arch9wavefront6targetE1EEEvSL_,comdat
.Lfunc_end607:
	.size	_ZN7rocprim17ROCPRIM_400000_NS6detail17trampoline_kernelINS0_14default_configENS1_21merge_config_selectorIiNS0_10empty_typeEEEZNS1_10merge_implIS3_N6thrust23THRUST_200600_302600_NS10device_ptrIKiEESC_NSA_IiEEPS5_SE_SE_NS9_4lessIiEEEE10hipError_tPvRmT0_T1_T2_T3_T4_T5_mmT6_P12ihipStream_tbEUlT_E_NS1_11comp_targetILNS1_3genE5ELNS1_11target_archE942ELNS1_3gpuE9ELNS1_3repE0EEENS1_30default_config_static_selectorELNS0_4arch9wavefront6targetE1EEEvSL_, .Lfunc_end607-_ZN7rocprim17ROCPRIM_400000_NS6detail17trampoline_kernelINS0_14default_configENS1_21merge_config_selectorIiNS0_10empty_typeEEEZNS1_10merge_implIS3_N6thrust23THRUST_200600_302600_NS10device_ptrIKiEESC_NSA_IiEEPS5_SE_SE_NS9_4lessIiEEEE10hipError_tPvRmT0_T1_T2_T3_T4_T5_mmT6_P12ihipStream_tbEUlT_E_NS1_11comp_targetILNS1_3genE5ELNS1_11target_archE942ELNS1_3gpuE9ELNS1_3repE0EEENS1_30default_config_static_selectorELNS0_4arch9wavefront6targetE1EEEvSL_
                                        ; -- End function
	.section	.AMDGPU.csdata,"",@progbits
; Kernel info:
; codeLenInByte = 0
; NumSgprs: 4
; NumVgprs: 0
; NumAgprs: 0
; TotalNumVgprs: 0
; ScratchSize: 0
; MemoryBound: 0
; FloatMode: 240
; IeeeMode: 1
; LDSByteSize: 0 bytes/workgroup (compile time only)
; SGPRBlocks: 0
; VGPRBlocks: 0
; NumSGPRsForWavesPerEU: 4
; NumVGPRsForWavesPerEU: 1
; AccumOffset: 4
; Occupancy: 8
; WaveLimiterHint : 0
; COMPUTE_PGM_RSRC2:SCRATCH_EN: 0
; COMPUTE_PGM_RSRC2:USER_SGPR: 6
; COMPUTE_PGM_RSRC2:TRAP_HANDLER: 0
; COMPUTE_PGM_RSRC2:TGID_X_EN: 1
; COMPUTE_PGM_RSRC2:TGID_Y_EN: 0
; COMPUTE_PGM_RSRC2:TGID_Z_EN: 0
; COMPUTE_PGM_RSRC2:TIDIG_COMP_CNT: 0
; COMPUTE_PGM_RSRC3_GFX90A:ACCUM_OFFSET: 0
; COMPUTE_PGM_RSRC3_GFX90A:TG_SPLIT: 0
	.section	.text._ZN7rocprim17ROCPRIM_400000_NS6detail17trampoline_kernelINS0_14default_configENS1_21merge_config_selectorIiNS0_10empty_typeEEEZNS1_10merge_implIS3_N6thrust23THRUST_200600_302600_NS10device_ptrIKiEESC_NSA_IiEEPS5_SE_SE_NS9_4lessIiEEEE10hipError_tPvRmT0_T1_T2_T3_T4_T5_mmT6_P12ihipStream_tbEUlT_E_NS1_11comp_targetILNS1_3genE4ELNS1_11target_archE910ELNS1_3gpuE8ELNS1_3repE0EEENS1_30default_config_static_selectorELNS0_4arch9wavefront6targetE1EEEvSL_,"axG",@progbits,_ZN7rocprim17ROCPRIM_400000_NS6detail17trampoline_kernelINS0_14default_configENS1_21merge_config_selectorIiNS0_10empty_typeEEEZNS1_10merge_implIS3_N6thrust23THRUST_200600_302600_NS10device_ptrIKiEESC_NSA_IiEEPS5_SE_SE_NS9_4lessIiEEEE10hipError_tPvRmT0_T1_T2_T3_T4_T5_mmT6_P12ihipStream_tbEUlT_E_NS1_11comp_targetILNS1_3genE4ELNS1_11target_archE910ELNS1_3gpuE8ELNS1_3repE0EEENS1_30default_config_static_selectorELNS0_4arch9wavefront6targetE1EEEvSL_,comdat
	.protected	_ZN7rocprim17ROCPRIM_400000_NS6detail17trampoline_kernelINS0_14default_configENS1_21merge_config_selectorIiNS0_10empty_typeEEEZNS1_10merge_implIS3_N6thrust23THRUST_200600_302600_NS10device_ptrIKiEESC_NSA_IiEEPS5_SE_SE_NS9_4lessIiEEEE10hipError_tPvRmT0_T1_T2_T3_T4_T5_mmT6_P12ihipStream_tbEUlT_E_NS1_11comp_targetILNS1_3genE4ELNS1_11target_archE910ELNS1_3gpuE8ELNS1_3repE0EEENS1_30default_config_static_selectorELNS0_4arch9wavefront6targetE1EEEvSL_ ; -- Begin function _ZN7rocprim17ROCPRIM_400000_NS6detail17trampoline_kernelINS0_14default_configENS1_21merge_config_selectorIiNS0_10empty_typeEEEZNS1_10merge_implIS3_N6thrust23THRUST_200600_302600_NS10device_ptrIKiEESC_NSA_IiEEPS5_SE_SE_NS9_4lessIiEEEE10hipError_tPvRmT0_T1_T2_T3_T4_T5_mmT6_P12ihipStream_tbEUlT_E_NS1_11comp_targetILNS1_3genE4ELNS1_11target_archE910ELNS1_3gpuE8ELNS1_3repE0EEENS1_30default_config_static_selectorELNS0_4arch9wavefront6targetE1EEEvSL_
	.globl	_ZN7rocprim17ROCPRIM_400000_NS6detail17trampoline_kernelINS0_14default_configENS1_21merge_config_selectorIiNS0_10empty_typeEEEZNS1_10merge_implIS3_N6thrust23THRUST_200600_302600_NS10device_ptrIKiEESC_NSA_IiEEPS5_SE_SE_NS9_4lessIiEEEE10hipError_tPvRmT0_T1_T2_T3_T4_T5_mmT6_P12ihipStream_tbEUlT_E_NS1_11comp_targetILNS1_3genE4ELNS1_11target_archE910ELNS1_3gpuE8ELNS1_3repE0EEENS1_30default_config_static_selectorELNS0_4arch9wavefront6targetE1EEEvSL_
	.p2align	8
	.type	_ZN7rocprim17ROCPRIM_400000_NS6detail17trampoline_kernelINS0_14default_configENS1_21merge_config_selectorIiNS0_10empty_typeEEEZNS1_10merge_implIS3_N6thrust23THRUST_200600_302600_NS10device_ptrIKiEESC_NSA_IiEEPS5_SE_SE_NS9_4lessIiEEEE10hipError_tPvRmT0_T1_T2_T3_T4_T5_mmT6_P12ihipStream_tbEUlT_E_NS1_11comp_targetILNS1_3genE4ELNS1_11target_archE910ELNS1_3gpuE8ELNS1_3repE0EEENS1_30default_config_static_selectorELNS0_4arch9wavefront6targetE1EEEvSL_,@function
_ZN7rocprim17ROCPRIM_400000_NS6detail17trampoline_kernelINS0_14default_configENS1_21merge_config_selectorIiNS0_10empty_typeEEEZNS1_10merge_implIS3_N6thrust23THRUST_200600_302600_NS10device_ptrIKiEESC_NSA_IiEEPS5_SE_SE_NS9_4lessIiEEEE10hipError_tPvRmT0_T1_T2_T3_T4_T5_mmT6_P12ihipStream_tbEUlT_E_NS1_11comp_targetILNS1_3genE4ELNS1_11target_archE910ELNS1_3gpuE8ELNS1_3repE0EEENS1_30default_config_static_selectorELNS0_4arch9wavefront6targetE1EEEvSL_: ; @_ZN7rocprim17ROCPRIM_400000_NS6detail17trampoline_kernelINS0_14default_configENS1_21merge_config_selectorIiNS0_10empty_typeEEEZNS1_10merge_implIS3_N6thrust23THRUST_200600_302600_NS10device_ptrIKiEESC_NSA_IiEEPS5_SE_SE_NS9_4lessIiEEEE10hipError_tPvRmT0_T1_T2_T3_T4_T5_mmT6_P12ihipStream_tbEUlT_E_NS1_11comp_targetILNS1_3genE4ELNS1_11target_archE910ELNS1_3gpuE8ELNS1_3repE0EEENS1_30default_config_static_selectorELNS0_4arch9wavefront6targetE1EEEvSL_
; %bb.0:
	s_load_dword s7, s[4:5], 0x28
	s_load_dword s0, s[4:5], 0x3c
	s_load_dwordx4 s[8:11], s[4:5], 0x18
	s_waitcnt lgkmcnt(0)
	v_cvt_f32_u32_e32 v1, s7
	s_and_b32 s0, s0, 0xffff
	s_add_u32 s12, s10, s8
	s_addc_u32 s13, s11, s9
	v_rcp_iflag_f32_e32 v1, v1
	s_sub_i32 s1, 0, s7
	s_mul_i32 s6, s6, s0
	s_add_i32 s0, s7, s12
	v_mul_f32_e32 v1, 0x4f7ffffe, v1
	v_cvt_u32_f32_e32 v1, v1
	s_add_i32 s0, s0, -1
	v_add_u32_e32 v0, s6, v0
	v_readfirstlane_b32 s2, v1
	s_mul_i32 s1, s1, s2
	s_mul_hi_u32 s1, s2, s1
	s_add_i32 s2, s2, s1
	s_mul_hi_u32 s1, s0, s2
	s_mul_i32 s2, s1, s7
	s_sub_i32 s0, s0, s2
	s_add_i32 s3, s1, 1
	s_sub_i32 s2, s0, s7
	s_cmp_ge_u32 s0, s7
	s_cselect_b32 s1, s3, s1
	s_cselect_b32 s0, s2, s0
	s_add_i32 s2, s1, 1
	s_cmp_ge_u32 s0, s7
	s_cselect_b32 s0, s2, s1
	v_cmp_ge_u32_e32 vcc, s0, v0
	s_and_saveexec_b64 s[0:1], vcc
	s_cbranch_execz .LBB608_6
; %bb.1:
	v_mul_lo_u32 v2, v0, s7
	v_mov_b32_e32 v3, 0
	v_mov_b32_e32 v1, s13
	v_cmp_gt_u64_e32 vcc, s[12:13], v[2:3]
	v_cndmask_b32_e64 v7, v1, 0, vcc
	v_mov_b32_e32 v1, s12
	v_cndmask_b32_e32 v6, v1, v2, vcc
	v_mov_b32_e32 v1, s11
	v_subrev_co_u32_e32 v2, vcc, s10, v6
	v_subb_co_u32_e32 v3, vcc, v7, v1, vcc
	s_load_dwordx4 s[0:3], s[4:5], 0x0
	v_cmp_gt_u64_e32 vcc, v[2:3], v[6:7]
	v_cndmask_b32_e64 v3, v3, 0, vcc
	v_cndmask_b32_e64 v2, v2, 0, vcc
	v_mov_b32_e32 v1, s9
	v_cmp_gt_u64_e32 vcc, s[8:9], v[6:7]
	v_cndmask_b32_e32 v5, v1, v7, vcc
	v_mov_b32_e32 v1, s8
	v_cndmask_b32_e32 v4, v1, v6, vcc
	v_cmp_lt_u64_e32 vcc, v[2:3], v[4:5]
	s_and_saveexec_b64 s[6:7], vcc
	s_cbranch_execz .LBB608_5
; %bb.2:
	s_load_dwordx2 s[4:5], s[4:5], 0x10
	v_lshlrev_b64 v[6:7], 2, v[6:7]
	s_waitcnt lgkmcnt(0)
	v_mov_b32_e32 v8, s5
	v_add_co_u32_e32 v1, vcc, s4, v6
	v_addc_co_u32_e32 v6, vcc, v8, v7, vcc
	s_mov_b64 s[4:5], 0
	v_mov_b32_e32 v7, s3
.LBB608_3:                              ; =>This Inner Loop Header: Depth=1
	v_add_co_u32_e32 v8, vcc, v4, v2
	v_addc_co_u32_e32 v9, vcc, v5, v3, vcc
	v_lshrrev_b64 v[8:9], 1, v[8:9]
	v_lshlrev_b64 v[12:13], 2, v[8:9]
	v_not_b32_e32 v11, v9
	v_not_b32_e32 v10, v8
	v_add_co_u32_e32 v12, vcc, s2, v12
	v_addc_co_u32_e32 v13, vcc, v7, v13, vcc
	v_lshlrev_b64 v[10:11], 2, v[10:11]
	v_add_co_u32_e32 v10, vcc, v1, v10
	v_addc_co_u32_e32 v11, vcc, v6, v11, vcc
	global_load_dword v12, v[12:13], off
	s_nop 0
	global_load_dword v10, v[10:11], off
	v_add_co_u32_e32 v11, vcc, 1, v8
	v_addc_co_u32_e32 v13, vcc, 0, v9, vcc
	s_waitcnt vmcnt(0)
	v_cmp_lt_i32_e32 vcc, v10, v12
	v_cndmask_b32_e32 v5, v5, v9, vcc
	v_cndmask_b32_e32 v4, v4, v8, vcc
	;; [unrolled: 1-line block ×4, first 2 shown]
	v_cmp_ge_u64_e32 vcc, v[2:3], v[4:5]
	s_or_b64 s[4:5], vcc, s[4:5]
	s_andn2_b64 exec, exec, s[4:5]
	s_cbranch_execnz .LBB608_3
; %bb.4:
	s_or_b64 exec, exec, s[4:5]
.LBB608_5:
	s_or_b64 exec, exec, s[6:7]
	v_mov_b32_e32 v1, 0
	v_lshlrev_b64 v[0:1], 2, v[0:1]
	s_waitcnt lgkmcnt(0)
	v_mov_b32_e32 v3, s1
	v_add_co_u32_e32 v0, vcc, s0, v0
	v_addc_co_u32_e32 v1, vcc, v3, v1, vcc
	global_store_dword v[0:1], v2, off
.LBB608_6:
	s_endpgm
	.section	.rodata,"a",@progbits
	.p2align	6, 0x0
	.amdhsa_kernel _ZN7rocprim17ROCPRIM_400000_NS6detail17trampoline_kernelINS0_14default_configENS1_21merge_config_selectorIiNS0_10empty_typeEEEZNS1_10merge_implIS3_N6thrust23THRUST_200600_302600_NS10device_ptrIKiEESC_NSA_IiEEPS5_SE_SE_NS9_4lessIiEEEE10hipError_tPvRmT0_T1_T2_T3_T4_T5_mmT6_P12ihipStream_tbEUlT_E_NS1_11comp_targetILNS1_3genE4ELNS1_11target_archE910ELNS1_3gpuE8ELNS1_3repE0EEENS1_30default_config_static_selectorELNS0_4arch9wavefront6targetE1EEEvSL_
		.amdhsa_group_segment_fixed_size 0
		.amdhsa_private_segment_fixed_size 0
		.amdhsa_kernarg_size 304
		.amdhsa_user_sgpr_count 6
		.amdhsa_user_sgpr_private_segment_buffer 1
		.amdhsa_user_sgpr_dispatch_ptr 0
		.amdhsa_user_sgpr_queue_ptr 0
		.amdhsa_user_sgpr_kernarg_segment_ptr 1
		.amdhsa_user_sgpr_dispatch_id 0
		.amdhsa_user_sgpr_flat_scratch_init 0
		.amdhsa_user_sgpr_kernarg_preload_length 0
		.amdhsa_user_sgpr_kernarg_preload_offset 0
		.amdhsa_user_sgpr_private_segment_size 0
		.amdhsa_uses_dynamic_stack 0
		.amdhsa_system_sgpr_private_segment_wavefront_offset 0
		.amdhsa_system_sgpr_workgroup_id_x 1
		.amdhsa_system_sgpr_workgroup_id_y 0
		.amdhsa_system_sgpr_workgroup_id_z 0
		.amdhsa_system_sgpr_workgroup_info 0
		.amdhsa_system_vgpr_workitem_id 0
		.amdhsa_next_free_vgpr 14
		.amdhsa_next_free_sgpr 14
		.amdhsa_accum_offset 16
		.amdhsa_reserve_vcc 1
		.amdhsa_reserve_flat_scratch 0
		.amdhsa_float_round_mode_32 0
		.amdhsa_float_round_mode_16_64 0
		.amdhsa_float_denorm_mode_32 3
		.amdhsa_float_denorm_mode_16_64 3
		.amdhsa_dx10_clamp 1
		.amdhsa_ieee_mode 1
		.amdhsa_fp16_overflow 0
		.amdhsa_tg_split 0
		.amdhsa_exception_fp_ieee_invalid_op 0
		.amdhsa_exception_fp_denorm_src 0
		.amdhsa_exception_fp_ieee_div_zero 0
		.amdhsa_exception_fp_ieee_overflow 0
		.amdhsa_exception_fp_ieee_underflow 0
		.amdhsa_exception_fp_ieee_inexact 0
		.amdhsa_exception_int_div_zero 0
	.end_amdhsa_kernel
	.section	.text._ZN7rocprim17ROCPRIM_400000_NS6detail17trampoline_kernelINS0_14default_configENS1_21merge_config_selectorIiNS0_10empty_typeEEEZNS1_10merge_implIS3_N6thrust23THRUST_200600_302600_NS10device_ptrIKiEESC_NSA_IiEEPS5_SE_SE_NS9_4lessIiEEEE10hipError_tPvRmT0_T1_T2_T3_T4_T5_mmT6_P12ihipStream_tbEUlT_E_NS1_11comp_targetILNS1_3genE4ELNS1_11target_archE910ELNS1_3gpuE8ELNS1_3repE0EEENS1_30default_config_static_selectorELNS0_4arch9wavefront6targetE1EEEvSL_,"axG",@progbits,_ZN7rocprim17ROCPRIM_400000_NS6detail17trampoline_kernelINS0_14default_configENS1_21merge_config_selectorIiNS0_10empty_typeEEEZNS1_10merge_implIS3_N6thrust23THRUST_200600_302600_NS10device_ptrIKiEESC_NSA_IiEEPS5_SE_SE_NS9_4lessIiEEEE10hipError_tPvRmT0_T1_T2_T3_T4_T5_mmT6_P12ihipStream_tbEUlT_E_NS1_11comp_targetILNS1_3genE4ELNS1_11target_archE910ELNS1_3gpuE8ELNS1_3repE0EEENS1_30default_config_static_selectorELNS0_4arch9wavefront6targetE1EEEvSL_,comdat
.Lfunc_end608:
	.size	_ZN7rocprim17ROCPRIM_400000_NS6detail17trampoline_kernelINS0_14default_configENS1_21merge_config_selectorIiNS0_10empty_typeEEEZNS1_10merge_implIS3_N6thrust23THRUST_200600_302600_NS10device_ptrIKiEESC_NSA_IiEEPS5_SE_SE_NS9_4lessIiEEEE10hipError_tPvRmT0_T1_T2_T3_T4_T5_mmT6_P12ihipStream_tbEUlT_E_NS1_11comp_targetILNS1_3genE4ELNS1_11target_archE910ELNS1_3gpuE8ELNS1_3repE0EEENS1_30default_config_static_selectorELNS0_4arch9wavefront6targetE1EEEvSL_, .Lfunc_end608-_ZN7rocprim17ROCPRIM_400000_NS6detail17trampoline_kernelINS0_14default_configENS1_21merge_config_selectorIiNS0_10empty_typeEEEZNS1_10merge_implIS3_N6thrust23THRUST_200600_302600_NS10device_ptrIKiEESC_NSA_IiEEPS5_SE_SE_NS9_4lessIiEEEE10hipError_tPvRmT0_T1_T2_T3_T4_T5_mmT6_P12ihipStream_tbEUlT_E_NS1_11comp_targetILNS1_3genE4ELNS1_11target_archE910ELNS1_3gpuE8ELNS1_3repE0EEENS1_30default_config_static_selectorELNS0_4arch9wavefront6targetE1EEEvSL_
                                        ; -- End function
	.section	.AMDGPU.csdata,"",@progbits
; Kernel info:
; codeLenInByte = 476
; NumSgprs: 18
; NumVgprs: 14
; NumAgprs: 0
; TotalNumVgprs: 14
; ScratchSize: 0
; MemoryBound: 0
; FloatMode: 240
; IeeeMode: 1
; LDSByteSize: 0 bytes/workgroup (compile time only)
; SGPRBlocks: 2
; VGPRBlocks: 1
; NumSGPRsForWavesPerEU: 18
; NumVGPRsForWavesPerEU: 14
; AccumOffset: 16
; Occupancy: 8
; WaveLimiterHint : 0
; COMPUTE_PGM_RSRC2:SCRATCH_EN: 0
; COMPUTE_PGM_RSRC2:USER_SGPR: 6
; COMPUTE_PGM_RSRC2:TRAP_HANDLER: 0
; COMPUTE_PGM_RSRC2:TGID_X_EN: 1
; COMPUTE_PGM_RSRC2:TGID_Y_EN: 0
; COMPUTE_PGM_RSRC2:TGID_Z_EN: 0
; COMPUTE_PGM_RSRC2:TIDIG_COMP_CNT: 0
; COMPUTE_PGM_RSRC3_GFX90A:ACCUM_OFFSET: 3
; COMPUTE_PGM_RSRC3_GFX90A:TG_SPLIT: 0
	.section	.text._ZN7rocprim17ROCPRIM_400000_NS6detail17trampoline_kernelINS0_14default_configENS1_21merge_config_selectorIiNS0_10empty_typeEEEZNS1_10merge_implIS3_N6thrust23THRUST_200600_302600_NS10device_ptrIKiEESC_NSA_IiEEPS5_SE_SE_NS9_4lessIiEEEE10hipError_tPvRmT0_T1_T2_T3_T4_T5_mmT6_P12ihipStream_tbEUlT_E_NS1_11comp_targetILNS1_3genE3ELNS1_11target_archE908ELNS1_3gpuE7ELNS1_3repE0EEENS1_30default_config_static_selectorELNS0_4arch9wavefront6targetE1EEEvSL_,"axG",@progbits,_ZN7rocprim17ROCPRIM_400000_NS6detail17trampoline_kernelINS0_14default_configENS1_21merge_config_selectorIiNS0_10empty_typeEEEZNS1_10merge_implIS3_N6thrust23THRUST_200600_302600_NS10device_ptrIKiEESC_NSA_IiEEPS5_SE_SE_NS9_4lessIiEEEE10hipError_tPvRmT0_T1_T2_T3_T4_T5_mmT6_P12ihipStream_tbEUlT_E_NS1_11comp_targetILNS1_3genE3ELNS1_11target_archE908ELNS1_3gpuE7ELNS1_3repE0EEENS1_30default_config_static_selectorELNS0_4arch9wavefront6targetE1EEEvSL_,comdat
	.protected	_ZN7rocprim17ROCPRIM_400000_NS6detail17trampoline_kernelINS0_14default_configENS1_21merge_config_selectorIiNS0_10empty_typeEEEZNS1_10merge_implIS3_N6thrust23THRUST_200600_302600_NS10device_ptrIKiEESC_NSA_IiEEPS5_SE_SE_NS9_4lessIiEEEE10hipError_tPvRmT0_T1_T2_T3_T4_T5_mmT6_P12ihipStream_tbEUlT_E_NS1_11comp_targetILNS1_3genE3ELNS1_11target_archE908ELNS1_3gpuE7ELNS1_3repE0EEENS1_30default_config_static_selectorELNS0_4arch9wavefront6targetE1EEEvSL_ ; -- Begin function _ZN7rocprim17ROCPRIM_400000_NS6detail17trampoline_kernelINS0_14default_configENS1_21merge_config_selectorIiNS0_10empty_typeEEEZNS1_10merge_implIS3_N6thrust23THRUST_200600_302600_NS10device_ptrIKiEESC_NSA_IiEEPS5_SE_SE_NS9_4lessIiEEEE10hipError_tPvRmT0_T1_T2_T3_T4_T5_mmT6_P12ihipStream_tbEUlT_E_NS1_11comp_targetILNS1_3genE3ELNS1_11target_archE908ELNS1_3gpuE7ELNS1_3repE0EEENS1_30default_config_static_selectorELNS0_4arch9wavefront6targetE1EEEvSL_
	.globl	_ZN7rocprim17ROCPRIM_400000_NS6detail17trampoline_kernelINS0_14default_configENS1_21merge_config_selectorIiNS0_10empty_typeEEEZNS1_10merge_implIS3_N6thrust23THRUST_200600_302600_NS10device_ptrIKiEESC_NSA_IiEEPS5_SE_SE_NS9_4lessIiEEEE10hipError_tPvRmT0_T1_T2_T3_T4_T5_mmT6_P12ihipStream_tbEUlT_E_NS1_11comp_targetILNS1_3genE3ELNS1_11target_archE908ELNS1_3gpuE7ELNS1_3repE0EEENS1_30default_config_static_selectorELNS0_4arch9wavefront6targetE1EEEvSL_
	.p2align	8
	.type	_ZN7rocprim17ROCPRIM_400000_NS6detail17trampoline_kernelINS0_14default_configENS1_21merge_config_selectorIiNS0_10empty_typeEEEZNS1_10merge_implIS3_N6thrust23THRUST_200600_302600_NS10device_ptrIKiEESC_NSA_IiEEPS5_SE_SE_NS9_4lessIiEEEE10hipError_tPvRmT0_T1_T2_T3_T4_T5_mmT6_P12ihipStream_tbEUlT_E_NS1_11comp_targetILNS1_3genE3ELNS1_11target_archE908ELNS1_3gpuE7ELNS1_3repE0EEENS1_30default_config_static_selectorELNS0_4arch9wavefront6targetE1EEEvSL_,@function
_ZN7rocprim17ROCPRIM_400000_NS6detail17trampoline_kernelINS0_14default_configENS1_21merge_config_selectorIiNS0_10empty_typeEEEZNS1_10merge_implIS3_N6thrust23THRUST_200600_302600_NS10device_ptrIKiEESC_NSA_IiEEPS5_SE_SE_NS9_4lessIiEEEE10hipError_tPvRmT0_T1_T2_T3_T4_T5_mmT6_P12ihipStream_tbEUlT_E_NS1_11comp_targetILNS1_3genE3ELNS1_11target_archE908ELNS1_3gpuE7ELNS1_3repE0EEENS1_30default_config_static_selectorELNS0_4arch9wavefront6targetE1EEEvSL_: ; @_ZN7rocprim17ROCPRIM_400000_NS6detail17trampoline_kernelINS0_14default_configENS1_21merge_config_selectorIiNS0_10empty_typeEEEZNS1_10merge_implIS3_N6thrust23THRUST_200600_302600_NS10device_ptrIKiEESC_NSA_IiEEPS5_SE_SE_NS9_4lessIiEEEE10hipError_tPvRmT0_T1_T2_T3_T4_T5_mmT6_P12ihipStream_tbEUlT_E_NS1_11comp_targetILNS1_3genE3ELNS1_11target_archE908ELNS1_3gpuE7ELNS1_3repE0EEENS1_30default_config_static_selectorELNS0_4arch9wavefront6targetE1EEEvSL_
; %bb.0:
	.section	.rodata,"a",@progbits
	.p2align	6, 0x0
	.amdhsa_kernel _ZN7rocprim17ROCPRIM_400000_NS6detail17trampoline_kernelINS0_14default_configENS1_21merge_config_selectorIiNS0_10empty_typeEEEZNS1_10merge_implIS3_N6thrust23THRUST_200600_302600_NS10device_ptrIKiEESC_NSA_IiEEPS5_SE_SE_NS9_4lessIiEEEE10hipError_tPvRmT0_T1_T2_T3_T4_T5_mmT6_P12ihipStream_tbEUlT_E_NS1_11comp_targetILNS1_3genE3ELNS1_11target_archE908ELNS1_3gpuE7ELNS1_3repE0EEENS1_30default_config_static_selectorELNS0_4arch9wavefront6targetE1EEEvSL_
		.amdhsa_group_segment_fixed_size 0
		.amdhsa_private_segment_fixed_size 0
		.amdhsa_kernarg_size 48
		.amdhsa_user_sgpr_count 6
		.amdhsa_user_sgpr_private_segment_buffer 1
		.amdhsa_user_sgpr_dispatch_ptr 0
		.amdhsa_user_sgpr_queue_ptr 0
		.amdhsa_user_sgpr_kernarg_segment_ptr 1
		.amdhsa_user_sgpr_dispatch_id 0
		.amdhsa_user_sgpr_flat_scratch_init 0
		.amdhsa_user_sgpr_kernarg_preload_length 0
		.amdhsa_user_sgpr_kernarg_preload_offset 0
		.amdhsa_user_sgpr_private_segment_size 0
		.amdhsa_uses_dynamic_stack 0
		.amdhsa_system_sgpr_private_segment_wavefront_offset 0
		.amdhsa_system_sgpr_workgroup_id_x 1
		.amdhsa_system_sgpr_workgroup_id_y 0
		.amdhsa_system_sgpr_workgroup_id_z 0
		.amdhsa_system_sgpr_workgroup_info 0
		.amdhsa_system_vgpr_workitem_id 0
		.amdhsa_next_free_vgpr 1
		.amdhsa_next_free_sgpr 0
		.amdhsa_accum_offset 4
		.amdhsa_reserve_vcc 0
		.amdhsa_reserve_flat_scratch 0
		.amdhsa_float_round_mode_32 0
		.amdhsa_float_round_mode_16_64 0
		.amdhsa_float_denorm_mode_32 3
		.amdhsa_float_denorm_mode_16_64 3
		.amdhsa_dx10_clamp 1
		.amdhsa_ieee_mode 1
		.amdhsa_fp16_overflow 0
		.amdhsa_tg_split 0
		.amdhsa_exception_fp_ieee_invalid_op 0
		.amdhsa_exception_fp_denorm_src 0
		.amdhsa_exception_fp_ieee_div_zero 0
		.amdhsa_exception_fp_ieee_overflow 0
		.amdhsa_exception_fp_ieee_underflow 0
		.amdhsa_exception_fp_ieee_inexact 0
		.amdhsa_exception_int_div_zero 0
	.end_amdhsa_kernel
	.section	.text._ZN7rocprim17ROCPRIM_400000_NS6detail17trampoline_kernelINS0_14default_configENS1_21merge_config_selectorIiNS0_10empty_typeEEEZNS1_10merge_implIS3_N6thrust23THRUST_200600_302600_NS10device_ptrIKiEESC_NSA_IiEEPS5_SE_SE_NS9_4lessIiEEEE10hipError_tPvRmT0_T1_T2_T3_T4_T5_mmT6_P12ihipStream_tbEUlT_E_NS1_11comp_targetILNS1_3genE3ELNS1_11target_archE908ELNS1_3gpuE7ELNS1_3repE0EEENS1_30default_config_static_selectorELNS0_4arch9wavefront6targetE1EEEvSL_,"axG",@progbits,_ZN7rocprim17ROCPRIM_400000_NS6detail17trampoline_kernelINS0_14default_configENS1_21merge_config_selectorIiNS0_10empty_typeEEEZNS1_10merge_implIS3_N6thrust23THRUST_200600_302600_NS10device_ptrIKiEESC_NSA_IiEEPS5_SE_SE_NS9_4lessIiEEEE10hipError_tPvRmT0_T1_T2_T3_T4_T5_mmT6_P12ihipStream_tbEUlT_E_NS1_11comp_targetILNS1_3genE3ELNS1_11target_archE908ELNS1_3gpuE7ELNS1_3repE0EEENS1_30default_config_static_selectorELNS0_4arch9wavefront6targetE1EEEvSL_,comdat
.Lfunc_end609:
	.size	_ZN7rocprim17ROCPRIM_400000_NS6detail17trampoline_kernelINS0_14default_configENS1_21merge_config_selectorIiNS0_10empty_typeEEEZNS1_10merge_implIS3_N6thrust23THRUST_200600_302600_NS10device_ptrIKiEESC_NSA_IiEEPS5_SE_SE_NS9_4lessIiEEEE10hipError_tPvRmT0_T1_T2_T3_T4_T5_mmT6_P12ihipStream_tbEUlT_E_NS1_11comp_targetILNS1_3genE3ELNS1_11target_archE908ELNS1_3gpuE7ELNS1_3repE0EEENS1_30default_config_static_selectorELNS0_4arch9wavefront6targetE1EEEvSL_, .Lfunc_end609-_ZN7rocprim17ROCPRIM_400000_NS6detail17trampoline_kernelINS0_14default_configENS1_21merge_config_selectorIiNS0_10empty_typeEEEZNS1_10merge_implIS3_N6thrust23THRUST_200600_302600_NS10device_ptrIKiEESC_NSA_IiEEPS5_SE_SE_NS9_4lessIiEEEE10hipError_tPvRmT0_T1_T2_T3_T4_T5_mmT6_P12ihipStream_tbEUlT_E_NS1_11comp_targetILNS1_3genE3ELNS1_11target_archE908ELNS1_3gpuE7ELNS1_3repE0EEENS1_30default_config_static_selectorELNS0_4arch9wavefront6targetE1EEEvSL_
                                        ; -- End function
	.section	.AMDGPU.csdata,"",@progbits
; Kernel info:
; codeLenInByte = 0
; NumSgprs: 4
; NumVgprs: 0
; NumAgprs: 0
; TotalNumVgprs: 0
; ScratchSize: 0
; MemoryBound: 0
; FloatMode: 240
; IeeeMode: 1
; LDSByteSize: 0 bytes/workgroup (compile time only)
; SGPRBlocks: 0
; VGPRBlocks: 0
; NumSGPRsForWavesPerEU: 4
; NumVGPRsForWavesPerEU: 1
; AccumOffset: 4
; Occupancy: 8
; WaveLimiterHint : 0
; COMPUTE_PGM_RSRC2:SCRATCH_EN: 0
; COMPUTE_PGM_RSRC2:USER_SGPR: 6
; COMPUTE_PGM_RSRC2:TRAP_HANDLER: 0
; COMPUTE_PGM_RSRC2:TGID_X_EN: 1
; COMPUTE_PGM_RSRC2:TGID_Y_EN: 0
; COMPUTE_PGM_RSRC2:TGID_Z_EN: 0
; COMPUTE_PGM_RSRC2:TIDIG_COMP_CNT: 0
; COMPUTE_PGM_RSRC3_GFX90A:ACCUM_OFFSET: 0
; COMPUTE_PGM_RSRC3_GFX90A:TG_SPLIT: 0
	.section	.text._ZN7rocprim17ROCPRIM_400000_NS6detail17trampoline_kernelINS0_14default_configENS1_21merge_config_selectorIiNS0_10empty_typeEEEZNS1_10merge_implIS3_N6thrust23THRUST_200600_302600_NS10device_ptrIKiEESC_NSA_IiEEPS5_SE_SE_NS9_4lessIiEEEE10hipError_tPvRmT0_T1_T2_T3_T4_T5_mmT6_P12ihipStream_tbEUlT_E_NS1_11comp_targetILNS1_3genE2ELNS1_11target_archE906ELNS1_3gpuE6ELNS1_3repE0EEENS1_30default_config_static_selectorELNS0_4arch9wavefront6targetE1EEEvSL_,"axG",@progbits,_ZN7rocprim17ROCPRIM_400000_NS6detail17trampoline_kernelINS0_14default_configENS1_21merge_config_selectorIiNS0_10empty_typeEEEZNS1_10merge_implIS3_N6thrust23THRUST_200600_302600_NS10device_ptrIKiEESC_NSA_IiEEPS5_SE_SE_NS9_4lessIiEEEE10hipError_tPvRmT0_T1_T2_T3_T4_T5_mmT6_P12ihipStream_tbEUlT_E_NS1_11comp_targetILNS1_3genE2ELNS1_11target_archE906ELNS1_3gpuE6ELNS1_3repE0EEENS1_30default_config_static_selectorELNS0_4arch9wavefront6targetE1EEEvSL_,comdat
	.protected	_ZN7rocprim17ROCPRIM_400000_NS6detail17trampoline_kernelINS0_14default_configENS1_21merge_config_selectorIiNS0_10empty_typeEEEZNS1_10merge_implIS3_N6thrust23THRUST_200600_302600_NS10device_ptrIKiEESC_NSA_IiEEPS5_SE_SE_NS9_4lessIiEEEE10hipError_tPvRmT0_T1_T2_T3_T4_T5_mmT6_P12ihipStream_tbEUlT_E_NS1_11comp_targetILNS1_3genE2ELNS1_11target_archE906ELNS1_3gpuE6ELNS1_3repE0EEENS1_30default_config_static_selectorELNS0_4arch9wavefront6targetE1EEEvSL_ ; -- Begin function _ZN7rocprim17ROCPRIM_400000_NS6detail17trampoline_kernelINS0_14default_configENS1_21merge_config_selectorIiNS0_10empty_typeEEEZNS1_10merge_implIS3_N6thrust23THRUST_200600_302600_NS10device_ptrIKiEESC_NSA_IiEEPS5_SE_SE_NS9_4lessIiEEEE10hipError_tPvRmT0_T1_T2_T3_T4_T5_mmT6_P12ihipStream_tbEUlT_E_NS1_11comp_targetILNS1_3genE2ELNS1_11target_archE906ELNS1_3gpuE6ELNS1_3repE0EEENS1_30default_config_static_selectorELNS0_4arch9wavefront6targetE1EEEvSL_
	.globl	_ZN7rocprim17ROCPRIM_400000_NS6detail17trampoline_kernelINS0_14default_configENS1_21merge_config_selectorIiNS0_10empty_typeEEEZNS1_10merge_implIS3_N6thrust23THRUST_200600_302600_NS10device_ptrIKiEESC_NSA_IiEEPS5_SE_SE_NS9_4lessIiEEEE10hipError_tPvRmT0_T1_T2_T3_T4_T5_mmT6_P12ihipStream_tbEUlT_E_NS1_11comp_targetILNS1_3genE2ELNS1_11target_archE906ELNS1_3gpuE6ELNS1_3repE0EEENS1_30default_config_static_selectorELNS0_4arch9wavefront6targetE1EEEvSL_
	.p2align	8
	.type	_ZN7rocprim17ROCPRIM_400000_NS6detail17trampoline_kernelINS0_14default_configENS1_21merge_config_selectorIiNS0_10empty_typeEEEZNS1_10merge_implIS3_N6thrust23THRUST_200600_302600_NS10device_ptrIKiEESC_NSA_IiEEPS5_SE_SE_NS9_4lessIiEEEE10hipError_tPvRmT0_T1_T2_T3_T4_T5_mmT6_P12ihipStream_tbEUlT_E_NS1_11comp_targetILNS1_3genE2ELNS1_11target_archE906ELNS1_3gpuE6ELNS1_3repE0EEENS1_30default_config_static_selectorELNS0_4arch9wavefront6targetE1EEEvSL_,@function
_ZN7rocprim17ROCPRIM_400000_NS6detail17trampoline_kernelINS0_14default_configENS1_21merge_config_selectorIiNS0_10empty_typeEEEZNS1_10merge_implIS3_N6thrust23THRUST_200600_302600_NS10device_ptrIKiEESC_NSA_IiEEPS5_SE_SE_NS9_4lessIiEEEE10hipError_tPvRmT0_T1_T2_T3_T4_T5_mmT6_P12ihipStream_tbEUlT_E_NS1_11comp_targetILNS1_3genE2ELNS1_11target_archE906ELNS1_3gpuE6ELNS1_3repE0EEENS1_30default_config_static_selectorELNS0_4arch9wavefront6targetE1EEEvSL_: ; @_ZN7rocprim17ROCPRIM_400000_NS6detail17trampoline_kernelINS0_14default_configENS1_21merge_config_selectorIiNS0_10empty_typeEEEZNS1_10merge_implIS3_N6thrust23THRUST_200600_302600_NS10device_ptrIKiEESC_NSA_IiEEPS5_SE_SE_NS9_4lessIiEEEE10hipError_tPvRmT0_T1_T2_T3_T4_T5_mmT6_P12ihipStream_tbEUlT_E_NS1_11comp_targetILNS1_3genE2ELNS1_11target_archE906ELNS1_3gpuE6ELNS1_3repE0EEENS1_30default_config_static_selectorELNS0_4arch9wavefront6targetE1EEEvSL_
; %bb.0:
	.section	.rodata,"a",@progbits
	.p2align	6, 0x0
	.amdhsa_kernel _ZN7rocprim17ROCPRIM_400000_NS6detail17trampoline_kernelINS0_14default_configENS1_21merge_config_selectorIiNS0_10empty_typeEEEZNS1_10merge_implIS3_N6thrust23THRUST_200600_302600_NS10device_ptrIKiEESC_NSA_IiEEPS5_SE_SE_NS9_4lessIiEEEE10hipError_tPvRmT0_T1_T2_T3_T4_T5_mmT6_P12ihipStream_tbEUlT_E_NS1_11comp_targetILNS1_3genE2ELNS1_11target_archE906ELNS1_3gpuE6ELNS1_3repE0EEENS1_30default_config_static_selectorELNS0_4arch9wavefront6targetE1EEEvSL_
		.amdhsa_group_segment_fixed_size 0
		.amdhsa_private_segment_fixed_size 0
		.amdhsa_kernarg_size 48
		.amdhsa_user_sgpr_count 6
		.amdhsa_user_sgpr_private_segment_buffer 1
		.amdhsa_user_sgpr_dispatch_ptr 0
		.amdhsa_user_sgpr_queue_ptr 0
		.amdhsa_user_sgpr_kernarg_segment_ptr 1
		.amdhsa_user_sgpr_dispatch_id 0
		.amdhsa_user_sgpr_flat_scratch_init 0
		.amdhsa_user_sgpr_kernarg_preload_length 0
		.amdhsa_user_sgpr_kernarg_preload_offset 0
		.amdhsa_user_sgpr_private_segment_size 0
		.amdhsa_uses_dynamic_stack 0
		.amdhsa_system_sgpr_private_segment_wavefront_offset 0
		.amdhsa_system_sgpr_workgroup_id_x 1
		.amdhsa_system_sgpr_workgroup_id_y 0
		.amdhsa_system_sgpr_workgroup_id_z 0
		.amdhsa_system_sgpr_workgroup_info 0
		.amdhsa_system_vgpr_workitem_id 0
		.amdhsa_next_free_vgpr 1
		.amdhsa_next_free_sgpr 0
		.amdhsa_accum_offset 4
		.amdhsa_reserve_vcc 0
		.amdhsa_reserve_flat_scratch 0
		.amdhsa_float_round_mode_32 0
		.amdhsa_float_round_mode_16_64 0
		.amdhsa_float_denorm_mode_32 3
		.amdhsa_float_denorm_mode_16_64 3
		.amdhsa_dx10_clamp 1
		.amdhsa_ieee_mode 1
		.amdhsa_fp16_overflow 0
		.amdhsa_tg_split 0
		.amdhsa_exception_fp_ieee_invalid_op 0
		.amdhsa_exception_fp_denorm_src 0
		.amdhsa_exception_fp_ieee_div_zero 0
		.amdhsa_exception_fp_ieee_overflow 0
		.amdhsa_exception_fp_ieee_underflow 0
		.amdhsa_exception_fp_ieee_inexact 0
		.amdhsa_exception_int_div_zero 0
	.end_amdhsa_kernel
	.section	.text._ZN7rocprim17ROCPRIM_400000_NS6detail17trampoline_kernelINS0_14default_configENS1_21merge_config_selectorIiNS0_10empty_typeEEEZNS1_10merge_implIS3_N6thrust23THRUST_200600_302600_NS10device_ptrIKiEESC_NSA_IiEEPS5_SE_SE_NS9_4lessIiEEEE10hipError_tPvRmT0_T1_T2_T3_T4_T5_mmT6_P12ihipStream_tbEUlT_E_NS1_11comp_targetILNS1_3genE2ELNS1_11target_archE906ELNS1_3gpuE6ELNS1_3repE0EEENS1_30default_config_static_selectorELNS0_4arch9wavefront6targetE1EEEvSL_,"axG",@progbits,_ZN7rocprim17ROCPRIM_400000_NS6detail17trampoline_kernelINS0_14default_configENS1_21merge_config_selectorIiNS0_10empty_typeEEEZNS1_10merge_implIS3_N6thrust23THRUST_200600_302600_NS10device_ptrIKiEESC_NSA_IiEEPS5_SE_SE_NS9_4lessIiEEEE10hipError_tPvRmT0_T1_T2_T3_T4_T5_mmT6_P12ihipStream_tbEUlT_E_NS1_11comp_targetILNS1_3genE2ELNS1_11target_archE906ELNS1_3gpuE6ELNS1_3repE0EEENS1_30default_config_static_selectorELNS0_4arch9wavefront6targetE1EEEvSL_,comdat
.Lfunc_end610:
	.size	_ZN7rocprim17ROCPRIM_400000_NS6detail17trampoline_kernelINS0_14default_configENS1_21merge_config_selectorIiNS0_10empty_typeEEEZNS1_10merge_implIS3_N6thrust23THRUST_200600_302600_NS10device_ptrIKiEESC_NSA_IiEEPS5_SE_SE_NS9_4lessIiEEEE10hipError_tPvRmT0_T1_T2_T3_T4_T5_mmT6_P12ihipStream_tbEUlT_E_NS1_11comp_targetILNS1_3genE2ELNS1_11target_archE906ELNS1_3gpuE6ELNS1_3repE0EEENS1_30default_config_static_selectorELNS0_4arch9wavefront6targetE1EEEvSL_, .Lfunc_end610-_ZN7rocprim17ROCPRIM_400000_NS6detail17trampoline_kernelINS0_14default_configENS1_21merge_config_selectorIiNS0_10empty_typeEEEZNS1_10merge_implIS3_N6thrust23THRUST_200600_302600_NS10device_ptrIKiEESC_NSA_IiEEPS5_SE_SE_NS9_4lessIiEEEE10hipError_tPvRmT0_T1_T2_T3_T4_T5_mmT6_P12ihipStream_tbEUlT_E_NS1_11comp_targetILNS1_3genE2ELNS1_11target_archE906ELNS1_3gpuE6ELNS1_3repE0EEENS1_30default_config_static_selectorELNS0_4arch9wavefront6targetE1EEEvSL_
                                        ; -- End function
	.section	.AMDGPU.csdata,"",@progbits
; Kernel info:
; codeLenInByte = 0
; NumSgprs: 4
; NumVgprs: 0
; NumAgprs: 0
; TotalNumVgprs: 0
; ScratchSize: 0
; MemoryBound: 0
; FloatMode: 240
; IeeeMode: 1
; LDSByteSize: 0 bytes/workgroup (compile time only)
; SGPRBlocks: 0
; VGPRBlocks: 0
; NumSGPRsForWavesPerEU: 4
; NumVGPRsForWavesPerEU: 1
; AccumOffset: 4
; Occupancy: 8
; WaveLimiterHint : 0
; COMPUTE_PGM_RSRC2:SCRATCH_EN: 0
; COMPUTE_PGM_RSRC2:USER_SGPR: 6
; COMPUTE_PGM_RSRC2:TRAP_HANDLER: 0
; COMPUTE_PGM_RSRC2:TGID_X_EN: 1
; COMPUTE_PGM_RSRC2:TGID_Y_EN: 0
; COMPUTE_PGM_RSRC2:TGID_Z_EN: 0
; COMPUTE_PGM_RSRC2:TIDIG_COMP_CNT: 0
; COMPUTE_PGM_RSRC3_GFX90A:ACCUM_OFFSET: 0
; COMPUTE_PGM_RSRC3_GFX90A:TG_SPLIT: 0
	.section	.text._ZN7rocprim17ROCPRIM_400000_NS6detail17trampoline_kernelINS0_14default_configENS1_21merge_config_selectorIiNS0_10empty_typeEEEZNS1_10merge_implIS3_N6thrust23THRUST_200600_302600_NS10device_ptrIKiEESC_NSA_IiEEPS5_SE_SE_NS9_4lessIiEEEE10hipError_tPvRmT0_T1_T2_T3_T4_T5_mmT6_P12ihipStream_tbEUlT_E_NS1_11comp_targetILNS1_3genE10ELNS1_11target_archE1201ELNS1_3gpuE5ELNS1_3repE0EEENS1_30default_config_static_selectorELNS0_4arch9wavefront6targetE1EEEvSL_,"axG",@progbits,_ZN7rocprim17ROCPRIM_400000_NS6detail17trampoline_kernelINS0_14default_configENS1_21merge_config_selectorIiNS0_10empty_typeEEEZNS1_10merge_implIS3_N6thrust23THRUST_200600_302600_NS10device_ptrIKiEESC_NSA_IiEEPS5_SE_SE_NS9_4lessIiEEEE10hipError_tPvRmT0_T1_T2_T3_T4_T5_mmT6_P12ihipStream_tbEUlT_E_NS1_11comp_targetILNS1_3genE10ELNS1_11target_archE1201ELNS1_3gpuE5ELNS1_3repE0EEENS1_30default_config_static_selectorELNS0_4arch9wavefront6targetE1EEEvSL_,comdat
	.protected	_ZN7rocprim17ROCPRIM_400000_NS6detail17trampoline_kernelINS0_14default_configENS1_21merge_config_selectorIiNS0_10empty_typeEEEZNS1_10merge_implIS3_N6thrust23THRUST_200600_302600_NS10device_ptrIKiEESC_NSA_IiEEPS5_SE_SE_NS9_4lessIiEEEE10hipError_tPvRmT0_T1_T2_T3_T4_T5_mmT6_P12ihipStream_tbEUlT_E_NS1_11comp_targetILNS1_3genE10ELNS1_11target_archE1201ELNS1_3gpuE5ELNS1_3repE0EEENS1_30default_config_static_selectorELNS0_4arch9wavefront6targetE1EEEvSL_ ; -- Begin function _ZN7rocprim17ROCPRIM_400000_NS6detail17trampoline_kernelINS0_14default_configENS1_21merge_config_selectorIiNS0_10empty_typeEEEZNS1_10merge_implIS3_N6thrust23THRUST_200600_302600_NS10device_ptrIKiEESC_NSA_IiEEPS5_SE_SE_NS9_4lessIiEEEE10hipError_tPvRmT0_T1_T2_T3_T4_T5_mmT6_P12ihipStream_tbEUlT_E_NS1_11comp_targetILNS1_3genE10ELNS1_11target_archE1201ELNS1_3gpuE5ELNS1_3repE0EEENS1_30default_config_static_selectorELNS0_4arch9wavefront6targetE1EEEvSL_
	.globl	_ZN7rocprim17ROCPRIM_400000_NS6detail17trampoline_kernelINS0_14default_configENS1_21merge_config_selectorIiNS0_10empty_typeEEEZNS1_10merge_implIS3_N6thrust23THRUST_200600_302600_NS10device_ptrIKiEESC_NSA_IiEEPS5_SE_SE_NS9_4lessIiEEEE10hipError_tPvRmT0_T1_T2_T3_T4_T5_mmT6_P12ihipStream_tbEUlT_E_NS1_11comp_targetILNS1_3genE10ELNS1_11target_archE1201ELNS1_3gpuE5ELNS1_3repE0EEENS1_30default_config_static_selectorELNS0_4arch9wavefront6targetE1EEEvSL_
	.p2align	8
	.type	_ZN7rocprim17ROCPRIM_400000_NS6detail17trampoline_kernelINS0_14default_configENS1_21merge_config_selectorIiNS0_10empty_typeEEEZNS1_10merge_implIS3_N6thrust23THRUST_200600_302600_NS10device_ptrIKiEESC_NSA_IiEEPS5_SE_SE_NS9_4lessIiEEEE10hipError_tPvRmT0_T1_T2_T3_T4_T5_mmT6_P12ihipStream_tbEUlT_E_NS1_11comp_targetILNS1_3genE10ELNS1_11target_archE1201ELNS1_3gpuE5ELNS1_3repE0EEENS1_30default_config_static_selectorELNS0_4arch9wavefront6targetE1EEEvSL_,@function
_ZN7rocprim17ROCPRIM_400000_NS6detail17trampoline_kernelINS0_14default_configENS1_21merge_config_selectorIiNS0_10empty_typeEEEZNS1_10merge_implIS3_N6thrust23THRUST_200600_302600_NS10device_ptrIKiEESC_NSA_IiEEPS5_SE_SE_NS9_4lessIiEEEE10hipError_tPvRmT0_T1_T2_T3_T4_T5_mmT6_P12ihipStream_tbEUlT_E_NS1_11comp_targetILNS1_3genE10ELNS1_11target_archE1201ELNS1_3gpuE5ELNS1_3repE0EEENS1_30default_config_static_selectorELNS0_4arch9wavefront6targetE1EEEvSL_: ; @_ZN7rocprim17ROCPRIM_400000_NS6detail17trampoline_kernelINS0_14default_configENS1_21merge_config_selectorIiNS0_10empty_typeEEEZNS1_10merge_implIS3_N6thrust23THRUST_200600_302600_NS10device_ptrIKiEESC_NSA_IiEEPS5_SE_SE_NS9_4lessIiEEEE10hipError_tPvRmT0_T1_T2_T3_T4_T5_mmT6_P12ihipStream_tbEUlT_E_NS1_11comp_targetILNS1_3genE10ELNS1_11target_archE1201ELNS1_3gpuE5ELNS1_3repE0EEENS1_30default_config_static_selectorELNS0_4arch9wavefront6targetE1EEEvSL_
; %bb.0:
	.section	.rodata,"a",@progbits
	.p2align	6, 0x0
	.amdhsa_kernel _ZN7rocprim17ROCPRIM_400000_NS6detail17trampoline_kernelINS0_14default_configENS1_21merge_config_selectorIiNS0_10empty_typeEEEZNS1_10merge_implIS3_N6thrust23THRUST_200600_302600_NS10device_ptrIKiEESC_NSA_IiEEPS5_SE_SE_NS9_4lessIiEEEE10hipError_tPvRmT0_T1_T2_T3_T4_T5_mmT6_P12ihipStream_tbEUlT_E_NS1_11comp_targetILNS1_3genE10ELNS1_11target_archE1201ELNS1_3gpuE5ELNS1_3repE0EEENS1_30default_config_static_selectorELNS0_4arch9wavefront6targetE1EEEvSL_
		.amdhsa_group_segment_fixed_size 0
		.amdhsa_private_segment_fixed_size 0
		.amdhsa_kernarg_size 48
		.amdhsa_user_sgpr_count 6
		.amdhsa_user_sgpr_private_segment_buffer 1
		.amdhsa_user_sgpr_dispatch_ptr 0
		.amdhsa_user_sgpr_queue_ptr 0
		.amdhsa_user_sgpr_kernarg_segment_ptr 1
		.amdhsa_user_sgpr_dispatch_id 0
		.amdhsa_user_sgpr_flat_scratch_init 0
		.amdhsa_user_sgpr_kernarg_preload_length 0
		.amdhsa_user_sgpr_kernarg_preload_offset 0
		.amdhsa_user_sgpr_private_segment_size 0
		.amdhsa_uses_dynamic_stack 0
		.amdhsa_system_sgpr_private_segment_wavefront_offset 0
		.amdhsa_system_sgpr_workgroup_id_x 1
		.amdhsa_system_sgpr_workgroup_id_y 0
		.amdhsa_system_sgpr_workgroup_id_z 0
		.amdhsa_system_sgpr_workgroup_info 0
		.amdhsa_system_vgpr_workitem_id 0
		.amdhsa_next_free_vgpr 1
		.amdhsa_next_free_sgpr 0
		.amdhsa_accum_offset 4
		.amdhsa_reserve_vcc 0
		.amdhsa_reserve_flat_scratch 0
		.amdhsa_float_round_mode_32 0
		.amdhsa_float_round_mode_16_64 0
		.amdhsa_float_denorm_mode_32 3
		.amdhsa_float_denorm_mode_16_64 3
		.amdhsa_dx10_clamp 1
		.amdhsa_ieee_mode 1
		.amdhsa_fp16_overflow 0
		.amdhsa_tg_split 0
		.amdhsa_exception_fp_ieee_invalid_op 0
		.amdhsa_exception_fp_denorm_src 0
		.amdhsa_exception_fp_ieee_div_zero 0
		.amdhsa_exception_fp_ieee_overflow 0
		.amdhsa_exception_fp_ieee_underflow 0
		.amdhsa_exception_fp_ieee_inexact 0
		.amdhsa_exception_int_div_zero 0
	.end_amdhsa_kernel
	.section	.text._ZN7rocprim17ROCPRIM_400000_NS6detail17trampoline_kernelINS0_14default_configENS1_21merge_config_selectorIiNS0_10empty_typeEEEZNS1_10merge_implIS3_N6thrust23THRUST_200600_302600_NS10device_ptrIKiEESC_NSA_IiEEPS5_SE_SE_NS9_4lessIiEEEE10hipError_tPvRmT0_T1_T2_T3_T4_T5_mmT6_P12ihipStream_tbEUlT_E_NS1_11comp_targetILNS1_3genE10ELNS1_11target_archE1201ELNS1_3gpuE5ELNS1_3repE0EEENS1_30default_config_static_selectorELNS0_4arch9wavefront6targetE1EEEvSL_,"axG",@progbits,_ZN7rocprim17ROCPRIM_400000_NS6detail17trampoline_kernelINS0_14default_configENS1_21merge_config_selectorIiNS0_10empty_typeEEEZNS1_10merge_implIS3_N6thrust23THRUST_200600_302600_NS10device_ptrIKiEESC_NSA_IiEEPS5_SE_SE_NS9_4lessIiEEEE10hipError_tPvRmT0_T1_T2_T3_T4_T5_mmT6_P12ihipStream_tbEUlT_E_NS1_11comp_targetILNS1_3genE10ELNS1_11target_archE1201ELNS1_3gpuE5ELNS1_3repE0EEENS1_30default_config_static_selectorELNS0_4arch9wavefront6targetE1EEEvSL_,comdat
.Lfunc_end611:
	.size	_ZN7rocprim17ROCPRIM_400000_NS6detail17trampoline_kernelINS0_14default_configENS1_21merge_config_selectorIiNS0_10empty_typeEEEZNS1_10merge_implIS3_N6thrust23THRUST_200600_302600_NS10device_ptrIKiEESC_NSA_IiEEPS5_SE_SE_NS9_4lessIiEEEE10hipError_tPvRmT0_T1_T2_T3_T4_T5_mmT6_P12ihipStream_tbEUlT_E_NS1_11comp_targetILNS1_3genE10ELNS1_11target_archE1201ELNS1_3gpuE5ELNS1_3repE0EEENS1_30default_config_static_selectorELNS0_4arch9wavefront6targetE1EEEvSL_, .Lfunc_end611-_ZN7rocprim17ROCPRIM_400000_NS6detail17trampoline_kernelINS0_14default_configENS1_21merge_config_selectorIiNS0_10empty_typeEEEZNS1_10merge_implIS3_N6thrust23THRUST_200600_302600_NS10device_ptrIKiEESC_NSA_IiEEPS5_SE_SE_NS9_4lessIiEEEE10hipError_tPvRmT0_T1_T2_T3_T4_T5_mmT6_P12ihipStream_tbEUlT_E_NS1_11comp_targetILNS1_3genE10ELNS1_11target_archE1201ELNS1_3gpuE5ELNS1_3repE0EEENS1_30default_config_static_selectorELNS0_4arch9wavefront6targetE1EEEvSL_
                                        ; -- End function
	.section	.AMDGPU.csdata,"",@progbits
; Kernel info:
; codeLenInByte = 0
; NumSgprs: 4
; NumVgprs: 0
; NumAgprs: 0
; TotalNumVgprs: 0
; ScratchSize: 0
; MemoryBound: 0
; FloatMode: 240
; IeeeMode: 1
; LDSByteSize: 0 bytes/workgroup (compile time only)
; SGPRBlocks: 0
; VGPRBlocks: 0
; NumSGPRsForWavesPerEU: 4
; NumVGPRsForWavesPerEU: 1
; AccumOffset: 4
; Occupancy: 8
; WaveLimiterHint : 0
; COMPUTE_PGM_RSRC2:SCRATCH_EN: 0
; COMPUTE_PGM_RSRC2:USER_SGPR: 6
; COMPUTE_PGM_RSRC2:TRAP_HANDLER: 0
; COMPUTE_PGM_RSRC2:TGID_X_EN: 1
; COMPUTE_PGM_RSRC2:TGID_Y_EN: 0
; COMPUTE_PGM_RSRC2:TGID_Z_EN: 0
; COMPUTE_PGM_RSRC2:TIDIG_COMP_CNT: 0
; COMPUTE_PGM_RSRC3_GFX90A:ACCUM_OFFSET: 0
; COMPUTE_PGM_RSRC3_GFX90A:TG_SPLIT: 0
	.section	.text._ZN7rocprim17ROCPRIM_400000_NS6detail17trampoline_kernelINS0_14default_configENS1_21merge_config_selectorIiNS0_10empty_typeEEEZNS1_10merge_implIS3_N6thrust23THRUST_200600_302600_NS10device_ptrIKiEESC_NSA_IiEEPS5_SE_SE_NS9_4lessIiEEEE10hipError_tPvRmT0_T1_T2_T3_T4_T5_mmT6_P12ihipStream_tbEUlT_E_NS1_11comp_targetILNS1_3genE10ELNS1_11target_archE1200ELNS1_3gpuE4ELNS1_3repE0EEENS1_30default_config_static_selectorELNS0_4arch9wavefront6targetE1EEEvSL_,"axG",@progbits,_ZN7rocprim17ROCPRIM_400000_NS6detail17trampoline_kernelINS0_14default_configENS1_21merge_config_selectorIiNS0_10empty_typeEEEZNS1_10merge_implIS3_N6thrust23THRUST_200600_302600_NS10device_ptrIKiEESC_NSA_IiEEPS5_SE_SE_NS9_4lessIiEEEE10hipError_tPvRmT0_T1_T2_T3_T4_T5_mmT6_P12ihipStream_tbEUlT_E_NS1_11comp_targetILNS1_3genE10ELNS1_11target_archE1200ELNS1_3gpuE4ELNS1_3repE0EEENS1_30default_config_static_selectorELNS0_4arch9wavefront6targetE1EEEvSL_,comdat
	.protected	_ZN7rocprim17ROCPRIM_400000_NS6detail17trampoline_kernelINS0_14default_configENS1_21merge_config_selectorIiNS0_10empty_typeEEEZNS1_10merge_implIS3_N6thrust23THRUST_200600_302600_NS10device_ptrIKiEESC_NSA_IiEEPS5_SE_SE_NS9_4lessIiEEEE10hipError_tPvRmT0_T1_T2_T3_T4_T5_mmT6_P12ihipStream_tbEUlT_E_NS1_11comp_targetILNS1_3genE10ELNS1_11target_archE1200ELNS1_3gpuE4ELNS1_3repE0EEENS1_30default_config_static_selectorELNS0_4arch9wavefront6targetE1EEEvSL_ ; -- Begin function _ZN7rocprim17ROCPRIM_400000_NS6detail17trampoline_kernelINS0_14default_configENS1_21merge_config_selectorIiNS0_10empty_typeEEEZNS1_10merge_implIS3_N6thrust23THRUST_200600_302600_NS10device_ptrIKiEESC_NSA_IiEEPS5_SE_SE_NS9_4lessIiEEEE10hipError_tPvRmT0_T1_T2_T3_T4_T5_mmT6_P12ihipStream_tbEUlT_E_NS1_11comp_targetILNS1_3genE10ELNS1_11target_archE1200ELNS1_3gpuE4ELNS1_3repE0EEENS1_30default_config_static_selectorELNS0_4arch9wavefront6targetE1EEEvSL_
	.globl	_ZN7rocprim17ROCPRIM_400000_NS6detail17trampoline_kernelINS0_14default_configENS1_21merge_config_selectorIiNS0_10empty_typeEEEZNS1_10merge_implIS3_N6thrust23THRUST_200600_302600_NS10device_ptrIKiEESC_NSA_IiEEPS5_SE_SE_NS9_4lessIiEEEE10hipError_tPvRmT0_T1_T2_T3_T4_T5_mmT6_P12ihipStream_tbEUlT_E_NS1_11comp_targetILNS1_3genE10ELNS1_11target_archE1200ELNS1_3gpuE4ELNS1_3repE0EEENS1_30default_config_static_selectorELNS0_4arch9wavefront6targetE1EEEvSL_
	.p2align	8
	.type	_ZN7rocprim17ROCPRIM_400000_NS6detail17trampoline_kernelINS0_14default_configENS1_21merge_config_selectorIiNS0_10empty_typeEEEZNS1_10merge_implIS3_N6thrust23THRUST_200600_302600_NS10device_ptrIKiEESC_NSA_IiEEPS5_SE_SE_NS9_4lessIiEEEE10hipError_tPvRmT0_T1_T2_T3_T4_T5_mmT6_P12ihipStream_tbEUlT_E_NS1_11comp_targetILNS1_3genE10ELNS1_11target_archE1200ELNS1_3gpuE4ELNS1_3repE0EEENS1_30default_config_static_selectorELNS0_4arch9wavefront6targetE1EEEvSL_,@function
_ZN7rocprim17ROCPRIM_400000_NS6detail17trampoline_kernelINS0_14default_configENS1_21merge_config_selectorIiNS0_10empty_typeEEEZNS1_10merge_implIS3_N6thrust23THRUST_200600_302600_NS10device_ptrIKiEESC_NSA_IiEEPS5_SE_SE_NS9_4lessIiEEEE10hipError_tPvRmT0_T1_T2_T3_T4_T5_mmT6_P12ihipStream_tbEUlT_E_NS1_11comp_targetILNS1_3genE10ELNS1_11target_archE1200ELNS1_3gpuE4ELNS1_3repE0EEENS1_30default_config_static_selectorELNS0_4arch9wavefront6targetE1EEEvSL_: ; @_ZN7rocprim17ROCPRIM_400000_NS6detail17trampoline_kernelINS0_14default_configENS1_21merge_config_selectorIiNS0_10empty_typeEEEZNS1_10merge_implIS3_N6thrust23THRUST_200600_302600_NS10device_ptrIKiEESC_NSA_IiEEPS5_SE_SE_NS9_4lessIiEEEE10hipError_tPvRmT0_T1_T2_T3_T4_T5_mmT6_P12ihipStream_tbEUlT_E_NS1_11comp_targetILNS1_3genE10ELNS1_11target_archE1200ELNS1_3gpuE4ELNS1_3repE0EEENS1_30default_config_static_selectorELNS0_4arch9wavefront6targetE1EEEvSL_
; %bb.0:
	.section	.rodata,"a",@progbits
	.p2align	6, 0x0
	.amdhsa_kernel _ZN7rocprim17ROCPRIM_400000_NS6detail17trampoline_kernelINS0_14default_configENS1_21merge_config_selectorIiNS0_10empty_typeEEEZNS1_10merge_implIS3_N6thrust23THRUST_200600_302600_NS10device_ptrIKiEESC_NSA_IiEEPS5_SE_SE_NS9_4lessIiEEEE10hipError_tPvRmT0_T1_T2_T3_T4_T5_mmT6_P12ihipStream_tbEUlT_E_NS1_11comp_targetILNS1_3genE10ELNS1_11target_archE1200ELNS1_3gpuE4ELNS1_3repE0EEENS1_30default_config_static_selectorELNS0_4arch9wavefront6targetE1EEEvSL_
		.amdhsa_group_segment_fixed_size 0
		.amdhsa_private_segment_fixed_size 0
		.amdhsa_kernarg_size 48
		.amdhsa_user_sgpr_count 6
		.amdhsa_user_sgpr_private_segment_buffer 1
		.amdhsa_user_sgpr_dispatch_ptr 0
		.amdhsa_user_sgpr_queue_ptr 0
		.amdhsa_user_sgpr_kernarg_segment_ptr 1
		.amdhsa_user_sgpr_dispatch_id 0
		.amdhsa_user_sgpr_flat_scratch_init 0
		.amdhsa_user_sgpr_kernarg_preload_length 0
		.amdhsa_user_sgpr_kernarg_preload_offset 0
		.amdhsa_user_sgpr_private_segment_size 0
		.amdhsa_uses_dynamic_stack 0
		.amdhsa_system_sgpr_private_segment_wavefront_offset 0
		.amdhsa_system_sgpr_workgroup_id_x 1
		.amdhsa_system_sgpr_workgroup_id_y 0
		.amdhsa_system_sgpr_workgroup_id_z 0
		.amdhsa_system_sgpr_workgroup_info 0
		.amdhsa_system_vgpr_workitem_id 0
		.amdhsa_next_free_vgpr 1
		.amdhsa_next_free_sgpr 0
		.amdhsa_accum_offset 4
		.amdhsa_reserve_vcc 0
		.amdhsa_reserve_flat_scratch 0
		.amdhsa_float_round_mode_32 0
		.amdhsa_float_round_mode_16_64 0
		.amdhsa_float_denorm_mode_32 3
		.amdhsa_float_denorm_mode_16_64 3
		.amdhsa_dx10_clamp 1
		.amdhsa_ieee_mode 1
		.amdhsa_fp16_overflow 0
		.amdhsa_tg_split 0
		.amdhsa_exception_fp_ieee_invalid_op 0
		.amdhsa_exception_fp_denorm_src 0
		.amdhsa_exception_fp_ieee_div_zero 0
		.amdhsa_exception_fp_ieee_overflow 0
		.amdhsa_exception_fp_ieee_underflow 0
		.amdhsa_exception_fp_ieee_inexact 0
		.amdhsa_exception_int_div_zero 0
	.end_amdhsa_kernel
	.section	.text._ZN7rocprim17ROCPRIM_400000_NS6detail17trampoline_kernelINS0_14default_configENS1_21merge_config_selectorIiNS0_10empty_typeEEEZNS1_10merge_implIS3_N6thrust23THRUST_200600_302600_NS10device_ptrIKiEESC_NSA_IiEEPS5_SE_SE_NS9_4lessIiEEEE10hipError_tPvRmT0_T1_T2_T3_T4_T5_mmT6_P12ihipStream_tbEUlT_E_NS1_11comp_targetILNS1_3genE10ELNS1_11target_archE1200ELNS1_3gpuE4ELNS1_3repE0EEENS1_30default_config_static_selectorELNS0_4arch9wavefront6targetE1EEEvSL_,"axG",@progbits,_ZN7rocprim17ROCPRIM_400000_NS6detail17trampoline_kernelINS0_14default_configENS1_21merge_config_selectorIiNS0_10empty_typeEEEZNS1_10merge_implIS3_N6thrust23THRUST_200600_302600_NS10device_ptrIKiEESC_NSA_IiEEPS5_SE_SE_NS9_4lessIiEEEE10hipError_tPvRmT0_T1_T2_T3_T4_T5_mmT6_P12ihipStream_tbEUlT_E_NS1_11comp_targetILNS1_3genE10ELNS1_11target_archE1200ELNS1_3gpuE4ELNS1_3repE0EEENS1_30default_config_static_selectorELNS0_4arch9wavefront6targetE1EEEvSL_,comdat
.Lfunc_end612:
	.size	_ZN7rocprim17ROCPRIM_400000_NS6detail17trampoline_kernelINS0_14default_configENS1_21merge_config_selectorIiNS0_10empty_typeEEEZNS1_10merge_implIS3_N6thrust23THRUST_200600_302600_NS10device_ptrIKiEESC_NSA_IiEEPS5_SE_SE_NS9_4lessIiEEEE10hipError_tPvRmT0_T1_T2_T3_T4_T5_mmT6_P12ihipStream_tbEUlT_E_NS1_11comp_targetILNS1_3genE10ELNS1_11target_archE1200ELNS1_3gpuE4ELNS1_3repE0EEENS1_30default_config_static_selectorELNS0_4arch9wavefront6targetE1EEEvSL_, .Lfunc_end612-_ZN7rocprim17ROCPRIM_400000_NS6detail17trampoline_kernelINS0_14default_configENS1_21merge_config_selectorIiNS0_10empty_typeEEEZNS1_10merge_implIS3_N6thrust23THRUST_200600_302600_NS10device_ptrIKiEESC_NSA_IiEEPS5_SE_SE_NS9_4lessIiEEEE10hipError_tPvRmT0_T1_T2_T3_T4_T5_mmT6_P12ihipStream_tbEUlT_E_NS1_11comp_targetILNS1_3genE10ELNS1_11target_archE1200ELNS1_3gpuE4ELNS1_3repE0EEENS1_30default_config_static_selectorELNS0_4arch9wavefront6targetE1EEEvSL_
                                        ; -- End function
	.section	.AMDGPU.csdata,"",@progbits
; Kernel info:
; codeLenInByte = 0
; NumSgprs: 4
; NumVgprs: 0
; NumAgprs: 0
; TotalNumVgprs: 0
; ScratchSize: 0
; MemoryBound: 0
; FloatMode: 240
; IeeeMode: 1
; LDSByteSize: 0 bytes/workgroup (compile time only)
; SGPRBlocks: 0
; VGPRBlocks: 0
; NumSGPRsForWavesPerEU: 4
; NumVGPRsForWavesPerEU: 1
; AccumOffset: 4
; Occupancy: 8
; WaveLimiterHint : 0
; COMPUTE_PGM_RSRC2:SCRATCH_EN: 0
; COMPUTE_PGM_RSRC2:USER_SGPR: 6
; COMPUTE_PGM_RSRC2:TRAP_HANDLER: 0
; COMPUTE_PGM_RSRC2:TGID_X_EN: 1
; COMPUTE_PGM_RSRC2:TGID_Y_EN: 0
; COMPUTE_PGM_RSRC2:TGID_Z_EN: 0
; COMPUTE_PGM_RSRC2:TIDIG_COMP_CNT: 0
; COMPUTE_PGM_RSRC3_GFX90A:ACCUM_OFFSET: 0
; COMPUTE_PGM_RSRC3_GFX90A:TG_SPLIT: 0
	.section	.text._ZN7rocprim17ROCPRIM_400000_NS6detail17trampoline_kernelINS0_14default_configENS1_21merge_config_selectorIiNS0_10empty_typeEEEZNS1_10merge_implIS3_N6thrust23THRUST_200600_302600_NS10device_ptrIKiEESC_NSA_IiEEPS5_SE_SE_NS9_4lessIiEEEE10hipError_tPvRmT0_T1_T2_T3_T4_T5_mmT6_P12ihipStream_tbEUlT_E_NS1_11comp_targetILNS1_3genE9ELNS1_11target_archE1100ELNS1_3gpuE3ELNS1_3repE0EEENS1_30default_config_static_selectorELNS0_4arch9wavefront6targetE1EEEvSL_,"axG",@progbits,_ZN7rocprim17ROCPRIM_400000_NS6detail17trampoline_kernelINS0_14default_configENS1_21merge_config_selectorIiNS0_10empty_typeEEEZNS1_10merge_implIS3_N6thrust23THRUST_200600_302600_NS10device_ptrIKiEESC_NSA_IiEEPS5_SE_SE_NS9_4lessIiEEEE10hipError_tPvRmT0_T1_T2_T3_T4_T5_mmT6_P12ihipStream_tbEUlT_E_NS1_11comp_targetILNS1_3genE9ELNS1_11target_archE1100ELNS1_3gpuE3ELNS1_3repE0EEENS1_30default_config_static_selectorELNS0_4arch9wavefront6targetE1EEEvSL_,comdat
	.protected	_ZN7rocprim17ROCPRIM_400000_NS6detail17trampoline_kernelINS0_14default_configENS1_21merge_config_selectorIiNS0_10empty_typeEEEZNS1_10merge_implIS3_N6thrust23THRUST_200600_302600_NS10device_ptrIKiEESC_NSA_IiEEPS5_SE_SE_NS9_4lessIiEEEE10hipError_tPvRmT0_T1_T2_T3_T4_T5_mmT6_P12ihipStream_tbEUlT_E_NS1_11comp_targetILNS1_3genE9ELNS1_11target_archE1100ELNS1_3gpuE3ELNS1_3repE0EEENS1_30default_config_static_selectorELNS0_4arch9wavefront6targetE1EEEvSL_ ; -- Begin function _ZN7rocprim17ROCPRIM_400000_NS6detail17trampoline_kernelINS0_14default_configENS1_21merge_config_selectorIiNS0_10empty_typeEEEZNS1_10merge_implIS3_N6thrust23THRUST_200600_302600_NS10device_ptrIKiEESC_NSA_IiEEPS5_SE_SE_NS9_4lessIiEEEE10hipError_tPvRmT0_T1_T2_T3_T4_T5_mmT6_P12ihipStream_tbEUlT_E_NS1_11comp_targetILNS1_3genE9ELNS1_11target_archE1100ELNS1_3gpuE3ELNS1_3repE0EEENS1_30default_config_static_selectorELNS0_4arch9wavefront6targetE1EEEvSL_
	.globl	_ZN7rocprim17ROCPRIM_400000_NS6detail17trampoline_kernelINS0_14default_configENS1_21merge_config_selectorIiNS0_10empty_typeEEEZNS1_10merge_implIS3_N6thrust23THRUST_200600_302600_NS10device_ptrIKiEESC_NSA_IiEEPS5_SE_SE_NS9_4lessIiEEEE10hipError_tPvRmT0_T1_T2_T3_T4_T5_mmT6_P12ihipStream_tbEUlT_E_NS1_11comp_targetILNS1_3genE9ELNS1_11target_archE1100ELNS1_3gpuE3ELNS1_3repE0EEENS1_30default_config_static_selectorELNS0_4arch9wavefront6targetE1EEEvSL_
	.p2align	8
	.type	_ZN7rocprim17ROCPRIM_400000_NS6detail17trampoline_kernelINS0_14default_configENS1_21merge_config_selectorIiNS0_10empty_typeEEEZNS1_10merge_implIS3_N6thrust23THRUST_200600_302600_NS10device_ptrIKiEESC_NSA_IiEEPS5_SE_SE_NS9_4lessIiEEEE10hipError_tPvRmT0_T1_T2_T3_T4_T5_mmT6_P12ihipStream_tbEUlT_E_NS1_11comp_targetILNS1_3genE9ELNS1_11target_archE1100ELNS1_3gpuE3ELNS1_3repE0EEENS1_30default_config_static_selectorELNS0_4arch9wavefront6targetE1EEEvSL_,@function
_ZN7rocprim17ROCPRIM_400000_NS6detail17trampoline_kernelINS0_14default_configENS1_21merge_config_selectorIiNS0_10empty_typeEEEZNS1_10merge_implIS3_N6thrust23THRUST_200600_302600_NS10device_ptrIKiEESC_NSA_IiEEPS5_SE_SE_NS9_4lessIiEEEE10hipError_tPvRmT0_T1_T2_T3_T4_T5_mmT6_P12ihipStream_tbEUlT_E_NS1_11comp_targetILNS1_3genE9ELNS1_11target_archE1100ELNS1_3gpuE3ELNS1_3repE0EEENS1_30default_config_static_selectorELNS0_4arch9wavefront6targetE1EEEvSL_: ; @_ZN7rocprim17ROCPRIM_400000_NS6detail17trampoline_kernelINS0_14default_configENS1_21merge_config_selectorIiNS0_10empty_typeEEEZNS1_10merge_implIS3_N6thrust23THRUST_200600_302600_NS10device_ptrIKiEESC_NSA_IiEEPS5_SE_SE_NS9_4lessIiEEEE10hipError_tPvRmT0_T1_T2_T3_T4_T5_mmT6_P12ihipStream_tbEUlT_E_NS1_11comp_targetILNS1_3genE9ELNS1_11target_archE1100ELNS1_3gpuE3ELNS1_3repE0EEENS1_30default_config_static_selectorELNS0_4arch9wavefront6targetE1EEEvSL_
; %bb.0:
	.section	.rodata,"a",@progbits
	.p2align	6, 0x0
	.amdhsa_kernel _ZN7rocprim17ROCPRIM_400000_NS6detail17trampoline_kernelINS0_14default_configENS1_21merge_config_selectorIiNS0_10empty_typeEEEZNS1_10merge_implIS3_N6thrust23THRUST_200600_302600_NS10device_ptrIKiEESC_NSA_IiEEPS5_SE_SE_NS9_4lessIiEEEE10hipError_tPvRmT0_T1_T2_T3_T4_T5_mmT6_P12ihipStream_tbEUlT_E_NS1_11comp_targetILNS1_3genE9ELNS1_11target_archE1100ELNS1_3gpuE3ELNS1_3repE0EEENS1_30default_config_static_selectorELNS0_4arch9wavefront6targetE1EEEvSL_
		.amdhsa_group_segment_fixed_size 0
		.amdhsa_private_segment_fixed_size 0
		.amdhsa_kernarg_size 48
		.amdhsa_user_sgpr_count 6
		.amdhsa_user_sgpr_private_segment_buffer 1
		.amdhsa_user_sgpr_dispatch_ptr 0
		.amdhsa_user_sgpr_queue_ptr 0
		.amdhsa_user_sgpr_kernarg_segment_ptr 1
		.amdhsa_user_sgpr_dispatch_id 0
		.amdhsa_user_sgpr_flat_scratch_init 0
		.amdhsa_user_sgpr_kernarg_preload_length 0
		.amdhsa_user_sgpr_kernarg_preload_offset 0
		.amdhsa_user_sgpr_private_segment_size 0
		.amdhsa_uses_dynamic_stack 0
		.amdhsa_system_sgpr_private_segment_wavefront_offset 0
		.amdhsa_system_sgpr_workgroup_id_x 1
		.amdhsa_system_sgpr_workgroup_id_y 0
		.amdhsa_system_sgpr_workgroup_id_z 0
		.amdhsa_system_sgpr_workgroup_info 0
		.amdhsa_system_vgpr_workitem_id 0
		.amdhsa_next_free_vgpr 1
		.amdhsa_next_free_sgpr 0
		.amdhsa_accum_offset 4
		.amdhsa_reserve_vcc 0
		.amdhsa_reserve_flat_scratch 0
		.amdhsa_float_round_mode_32 0
		.amdhsa_float_round_mode_16_64 0
		.amdhsa_float_denorm_mode_32 3
		.amdhsa_float_denorm_mode_16_64 3
		.amdhsa_dx10_clamp 1
		.amdhsa_ieee_mode 1
		.amdhsa_fp16_overflow 0
		.amdhsa_tg_split 0
		.amdhsa_exception_fp_ieee_invalid_op 0
		.amdhsa_exception_fp_denorm_src 0
		.amdhsa_exception_fp_ieee_div_zero 0
		.amdhsa_exception_fp_ieee_overflow 0
		.amdhsa_exception_fp_ieee_underflow 0
		.amdhsa_exception_fp_ieee_inexact 0
		.amdhsa_exception_int_div_zero 0
	.end_amdhsa_kernel
	.section	.text._ZN7rocprim17ROCPRIM_400000_NS6detail17trampoline_kernelINS0_14default_configENS1_21merge_config_selectorIiNS0_10empty_typeEEEZNS1_10merge_implIS3_N6thrust23THRUST_200600_302600_NS10device_ptrIKiEESC_NSA_IiEEPS5_SE_SE_NS9_4lessIiEEEE10hipError_tPvRmT0_T1_T2_T3_T4_T5_mmT6_P12ihipStream_tbEUlT_E_NS1_11comp_targetILNS1_3genE9ELNS1_11target_archE1100ELNS1_3gpuE3ELNS1_3repE0EEENS1_30default_config_static_selectorELNS0_4arch9wavefront6targetE1EEEvSL_,"axG",@progbits,_ZN7rocprim17ROCPRIM_400000_NS6detail17trampoline_kernelINS0_14default_configENS1_21merge_config_selectorIiNS0_10empty_typeEEEZNS1_10merge_implIS3_N6thrust23THRUST_200600_302600_NS10device_ptrIKiEESC_NSA_IiEEPS5_SE_SE_NS9_4lessIiEEEE10hipError_tPvRmT0_T1_T2_T3_T4_T5_mmT6_P12ihipStream_tbEUlT_E_NS1_11comp_targetILNS1_3genE9ELNS1_11target_archE1100ELNS1_3gpuE3ELNS1_3repE0EEENS1_30default_config_static_selectorELNS0_4arch9wavefront6targetE1EEEvSL_,comdat
.Lfunc_end613:
	.size	_ZN7rocprim17ROCPRIM_400000_NS6detail17trampoline_kernelINS0_14default_configENS1_21merge_config_selectorIiNS0_10empty_typeEEEZNS1_10merge_implIS3_N6thrust23THRUST_200600_302600_NS10device_ptrIKiEESC_NSA_IiEEPS5_SE_SE_NS9_4lessIiEEEE10hipError_tPvRmT0_T1_T2_T3_T4_T5_mmT6_P12ihipStream_tbEUlT_E_NS1_11comp_targetILNS1_3genE9ELNS1_11target_archE1100ELNS1_3gpuE3ELNS1_3repE0EEENS1_30default_config_static_selectorELNS0_4arch9wavefront6targetE1EEEvSL_, .Lfunc_end613-_ZN7rocprim17ROCPRIM_400000_NS6detail17trampoline_kernelINS0_14default_configENS1_21merge_config_selectorIiNS0_10empty_typeEEEZNS1_10merge_implIS3_N6thrust23THRUST_200600_302600_NS10device_ptrIKiEESC_NSA_IiEEPS5_SE_SE_NS9_4lessIiEEEE10hipError_tPvRmT0_T1_T2_T3_T4_T5_mmT6_P12ihipStream_tbEUlT_E_NS1_11comp_targetILNS1_3genE9ELNS1_11target_archE1100ELNS1_3gpuE3ELNS1_3repE0EEENS1_30default_config_static_selectorELNS0_4arch9wavefront6targetE1EEEvSL_
                                        ; -- End function
	.section	.AMDGPU.csdata,"",@progbits
; Kernel info:
; codeLenInByte = 0
; NumSgprs: 4
; NumVgprs: 0
; NumAgprs: 0
; TotalNumVgprs: 0
; ScratchSize: 0
; MemoryBound: 0
; FloatMode: 240
; IeeeMode: 1
; LDSByteSize: 0 bytes/workgroup (compile time only)
; SGPRBlocks: 0
; VGPRBlocks: 0
; NumSGPRsForWavesPerEU: 4
; NumVGPRsForWavesPerEU: 1
; AccumOffset: 4
; Occupancy: 8
; WaveLimiterHint : 0
; COMPUTE_PGM_RSRC2:SCRATCH_EN: 0
; COMPUTE_PGM_RSRC2:USER_SGPR: 6
; COMPUTE_PGM_RSRC2:TRAP_HANDLER: 0
; COMPUTE_PGM_RSRC2:TGID_X_EN: 1
; COMPUTE_PGM_RSRC2:TGID_Y_EN: 0
; COMPUTE_PGM_RSRC2:TGID_Z_EN: 0
; COMPUTE_PGM_RSRC2:TIDIG_COMP_CNT: 0
; COMPUTE_PGM_RSRC3_GFX90A:ACCUM_OFFSET: 0
; COMPUTE_PGM_RSRC3_GFX90A:TG_SPLIT: 0
	.section	.text._ZN7rocprim17ROCPRIM_400000_NS6detail17trampoline_kernelINS0_14default_configENS1_21merge_config_selectorIiNS0_10empty_typeEEEZNS1_10merge_implIS3_N6thrust23THRUST_200600_302600_NS10device_ptrIKiEESC_NSA_IiEEPS5_SE_SE_NS9_4lessIiEEEE10hipError_tPvRmT0_T1_T2_T3_T4_T5_mmT6_P12ihipStream_tbEUlT_E_NS1_11comp_targetILNS1_3genE8ELNS1_11target_archE1030ELNS1_3gpuE2ELNS1_3repE0EEENS1_30default_config_static_selectorELNS0_4arch9wavefront6targetE1EEEvSL_,"axG",@progbits,_ZN7rocprim17ROCPRIM_400000_NS6detail17trampoline_kernelINS0_14default_configENS1_21merge_config_selectorIiNS0_10empty_typeEEEZNS1_10merge_implIS3_N6thrust23THRUST_200600_302600_NS10device_ptrIKiEESC_NSA_IiEEPS5_SE_SE_NS9_4lessIiEEEE10hipError_tPvRmT0_T1_T2_T3_T4_T5_mmT6_P12ihipStream_tbEUlT_E_NS1_11comp_targetILNS1_3genE8ELNS1_11target_archE1030ELNS1_3gpuE2ELNS1_3repE0EEENS1_30default_config_static_selectorELNS0_4arch9wavefront6targetE1EEEvSL_,comdat
	.protected	_ZN7rocprim17ROCPRIM_400000_NS6detail17trampoline_kernelINS0_14default_configENS1_21merge_config_selectorIiNS0_10empty_typeEEEZNS1_10merge_implIS3_N6thrust23THRUST_200600_302600_NS10device_ptrIKiEESC_NSA_IiEEPS5_SE_SE_NS9_4lessIiEEEE10hipError_tPvRmT0_T1_T2_T3_T4_T5_mmT6_P12ihipStream_tbEUlT_E_NS1_11comp_targetILNS1_3genE8ELNS1_11target_archE1030ELNS1_3gpuE2ELNS1_3repE0EEENS1_30default_config_static_selectorELNS0_4arch9wavefront6targetE1EEEvSL_ ; -- Begin function _ZN7rocprim17ROCPRIM_400000_NS6detail17trampoline_kernelINS0_14default_configENS1_21merge_config_selectorIiNS0_10empty_typeEEEZNS1_10merge_implIS3_N6thrust23THRUST_200600_302600_NS10device_ptrIKiEESC_NSA_IiEEPS5_SE_SE_NS9_4lessIiEEEE10hipError_tPvRmT0_T1_T2_T3_T4_T5_mmT6_P12ihipStream_tbEUlT_E_NS1_11comp_targetILNS1_3genE8ELNS1_11target_archE1030ELNS1_3gpuE2ELNS1_3repE0EEENS1_30default_config_static_selectorELNS0_4arch9wavefront6targetE1EEEvSL_
	.globl	_ZN7rocprim17ROCPRIM_400000_NS6detail17trampoline_kernelINS0_14default_configENS1_21merge_config_selectorIiNS0_10empty_typeEEEZNS1_10merge_implIS3_N6thrust23THRUST_200600_302600_NS10device_ptrIKiEESC_NSA_IiEEPS5_SE_SE_NS9_4lessIiEEEE10hipError_tPvRmT0_T1_T2_T3_T4_T5_mmT6_P12ihipStream_tbEUlT_E_NS1_11comp_targetILNS1_3genE8ELNS1_11target_archE1030ELNS1_3gpuE2ELNS1_3repE0EEENS1_30default_config_static_selectorELNS0_4arch9wavefront6targetE1EEEvSL_
	.p2align	8
	.type	_ZN7rocprim17ROCPRIM_400000_NS6detail17trampoline_kernelINS0_14default_configENS1_21merge_config_selectorIiNS0_10empty_typeEEEZNS1_10merge_implIS3_N6thrust23THRUST_200600_302600_NS10device_ptrIKiEESC_NSA_IiEEPS5_SE_SE_NS9_4lessIiEEEE10hipError_tPvRmT0_T1_T2_T3_T4_T5_mmT6_P12ihipStream_tbEUlT_E_NS1_11comp_targetILNS1_3genE8ELNS1_11target_archE1030ELNS1_3gpuE2ELNS1_3repE0EEENS1_30default_config_static_selectorELNS0_4arch9wavefront6targetE1EEEvSL_,@function
_ZN7rocprim17ROCPRIM_400000_NS6detail17trampoline_kernelINS0_14default_configENS1_21merge_config_selectorIiNS0_10empty_typeEEEZNS1_10merge_implIS3_N6thrust23THRUST_200600_302600_NS10device_ptrIKiEESC_NSA_IiEEPS5_SE_SE_NS9_4lessIiEEEE10hipError_tPvRmT0_T1_T2_T3_T4_T5_mmT6_P12ihipStream_tbEUlT_E_NS1_11comp_targetILNS1_3genE8ELNS1_11target_archE1030ELNS1_3gpuE2ELNS1_3repE0EEENS1_30default_config_static_selectorELNS0_4arch9wavefront6targetE1EEEvSL_: ; @_ZN7rocprim17ROCPRIM_400000_NS6detail17trampoline_kernelINS0_14default_configENS1_21merge_config_selectorIiNS0_10empty_typeEEEZNS1_10merge_implIS3_N6thrust23THRUST_200600_302600_NS10device_ptrIKiEESC_NSA_IiEEPS5_SE_SE_NS9_4lessIiEEEE10hipError_tPvRmT0_T1_T2_T3_T4_T5_mmT6_P12ihipStream_tbEUlT_E_NS1_11comp_targetILNS1_3genE8ELNS1_11target_archE1030ELNS1_3gpuE2ELNS1_3repE0EEENS1_30default_config_static_selectorELNS0_4arch9wavefront6targetE1EEEvSL_
; %bb.0:
	.section	.rodata,"a",@progbits
	.p2align	6, 0x0
	.amdhsa_kernel _ZN7rocprim17ROCPRIM_400000_NS6detail17trampoline_kernelINS0_14default_configENS1_21merge_config_selectorIiNS0_10empty_typeEEEZNS1_10merge_implIS3_N6thrust23THRUST_200600_302600_NS10device_ptrIKiEESC_NSA_IiEEPS5_SE_SE_NS9_4lessIiEEEE10hipError_tPvRmT0_T1_T2_T3_T4_T5_mmT6_P12ihipStream_tbEUlT_E_NS1_11comp_targetILNS1_3genE8ELNS1_11target_archE1030ELNS1_3gpuE2ELNS1_3repE0EEENS1_30default_config_static_selectorELNS0_4arch9wavefront6targetE1EEEvSL_
		.amdhsa_group_segment_fixed_size 0
		.amdhsa_private_segment_fixed_size 0
		.amdhsa_kernarg_size 48
		.amdhsa_user_sgpr_count 6
		.amdhsa_user_sgpr_private_segment_buffer 1
		.amdhsa_user_sgpr_dispatch_ptr 0
		.amdhsa_user_sgpr_queue_ptr 0
		.amdhsa_user_sgpr_kernarg_segment_ptr 1
		.amdhsa_user_sgpr_dispatch_id 0
		.amdhsa_user_sgpr_flat_scratch_init 0
		.amdhsa_user_sgpr_kernarg_preload_length 0
		.amdhsa_user_sgpr_kernarg_preload_offset 0
		.amdhsa_user_sgpr_private_segment_size 0
		.amdhsa_uses_dynamic_stack 0
		.amdhsa_system_sgpr_private_segment_wavefront_offset 0
		.amdhsa_system_sgpr_workgroup_id_x 1
		.amdhsa_system_sgpr_workgroup_id_y 0
		.amdhsa_system_sgpr_workgroup_id_z 0
		.amdhsa_system_sgpr_workgroup_info 0
		.amdhsa_system_vgpr_workitem_id 0
		.amdhsa_next_free_vgpr 1
		.amdhsa_next_free_sgpr 0
		.amdhsa_accum_offset 4
		.amdhsa_reserve_vcc 0
		.amdhsa_reserve_flat_scratch 0
		.amdhsa_float_round_mode_32 0
		.amdhsa_float_round_mode_16_64 0
		.amdhsa_float_denorm_mode_32 3
		.amdhsa_float_denorm_mode_16_64 3
		.amdhsa_dx10_clamp 1
		.amdhsa_ieee_mode 1
		.amdhsa_fp16_overflow 0
		.amdhsa_tg_split 0
		.amdhsa_exception_fp_ieee_invalid_op 0
		.amdhsa_exception_fp_denorm_src 0
		.amdhsa_exception_fp_ieee_div_zero 0
		.amdhsa_exception_fp_ieee_overflow 0
		.amdhsa_exception_fp_ieee_underflow 0
		.amdhsa_exception_fp_ieee_inexact 0
		.amdhsa_exception_int_div_zero 0
	.end_amdhsa_kernel
	.section	.text._ZN7rocprim17ROCPRIM_400000_NS6detail17trampoline_kernelINS0_14default_configENS1_21merge_config_selectorIiNS0_10empty_typeEEEZNS1_10merge_implIS3_N6thrust23THRUST_200600_302600_NS10device_ptrIKiEESC_NSA_IiEEPS5_SE_SE_NS9_4lessIiEEEE10hipError_tPvRmT0_T1_T2_T3_T4_T5_mmT6_P12ihipStream_tbEUlT_E_NS1_11comp_targetILNS1_3genE8ELNS1_11target_archE1030ELNS1_3gpuE2ELNS1_3repE0EEENS1_30default_config_static_selectorELNS0_4arch9wavefront6targetE1EEEvSL_,"axG",@progbits,_ZN7rocprim17ROCPRIM_400000_NS6detail17trampoline_kernelINS0_14default_configENS1_21merge_config_selectorIiNS0_10empty_typeEEEZNS1_10merge_implIS3_N6thrust23THRUST_200600_302600_NS10device_ptrIKiEESC_NSA_IiEEPS5_SE_SE_NS9_4lessIiEEEE10hipError_tPvRmT0_T1_T2_T3_T4_T5_mmT6_P12ihipStream_tbEUlT_E_NS1_11comp_targetILNS1_3genE8ELNS1_11target_archE1030ELNS1_3gpuE2ELNS1_3repE0EEENS1_30default_config_static_selectorELNS0_4arch9wavefront6targetE1EEEvSL_,comdat
.Lfunc_end614:
	.size	_ZN7rocprim17ROCPRIM_400000_NS6detail17trampoline_kernelINS0_14default_configENS1_21merge_config_selectorIiNS0_10empty_typeEEEZNS1_10merge_implIS3_N6thrust23THRUST_200600_302600_NS10device_ptrIKiEESC_NSA_IiEEPS5_SE_SE_NS9_4lessIiEEEE10hipError_tPvRmT0_T1_T2_T3_T4_T5_mmT6_P12ihipStream_tbEUlT_E_NS1_11comp_targetILNS1_3genE8ELNS1_11target_archE1030ELNS1_3gpuE2ELNS1_3repE0EEENS1_30default_config_static_selectorELNS0_4arch9wavefront6targetE1EEEvSL_, .Lfunc_end614-_ZN7rocprim17ROCPRIM_400000_NS6detail17trampoline_kernelINS0_14default_configENS1_21merge_config_selectorIiNS0_10empty_typeEEEZNS1_10merge_implIS3_N6thrust23THRUST_200600_302600_NS10device_ptrIKiEESC_NSA_IiEEPS5_SE_SE_NS9_4lessIiEEEE10hipError_tPvRmT0_T1_T2_T3_T4_T5_mmT6_P12ihipStream_tbEUlT_E_NS1_11comp_targetILNS1_3genE8ELNS1_11target_archE1030ELNS1_3gpuE2ELNS1_3repE0EEENS1_30default_config_static_selectorELNS0_4arch9wavefront6targetE1EEEvSL_
                                        ; -- End function
	.section	.AMDGPU.csdata,"",@progbits
; Kernel info:
; codeLenInByte = 0
; NumSgprs: 4
; NumVgprs: 0
; NumAgprs: 0
; TotalNumVgprs: 0
; ScratchSize: 0
; MemoryBound: 0
; FloatMode: 240
; IeeeMode: 1
; LDSByteSize: 0 bytes/workgroup (compile time only)
; SGPRBlocks: 0
; VGPRBlocks: 0
; NumSGPRsForWavesPerEU: 4
; NumVGPRsForWavesPerEU: 1
; AccumOffset: 4
; Occupancy: 8
; WaveLimiterHint : 0
; COMPUTE_PGM_RSRC2:SCRATCH_EN: 0
; COMPUTE_PGM_RSRC2:USER_SGPR: 6
; COMPUTE_PGM_RSRC2:TRAP_HANDLER: 0
; COMPUTE_PGM_RSRC2:TGID_X_EN: 1
; COMPUTE_PGM_RSRC2:TGID_Y_EN: 0
; COMPUTE_PGM_RSRC2:TGID_Z_EN: 0
; COMPUTE_PGM_RSRC2:TIDIG_COMP_CNT: 0
; COMPUTE_PGM_RSRC3_GFX90A:ACCUM_OFFSET: 0
; COMPUTE_PGM_RSRC3_GFX90A:TG_SPLIT: 0
	.section	.text._ZN7rocprim17ROCPRIM_400000_NS6detail17trampoline_kernelINS0_14default_configENS1_21merge_config_selectorIiNS0_10empty_typeEEEZNS1_10merge_implIS3_N6thrust23THRUST_200600_302600_NS10device_ptrIKiEESC_NSA_IiEEPS5_SE_SE_NS9_4lessIiEEEE10hipError_tPvRmT0_T1_T2_T3_T4_T5_mmT6_P12ihipStream_tbEUlT_E0_NS1_11comp_targetILNS1_3genE0ELNS1_11target_archE4294967295ELNS1_3gpuE0ELNS1_3repE0EEENS1_30default_config_static_selectorELNS0_4arch9wavefront6targetE1EEEvSL_,"axG",@progbits,_ZN7rocprim17ROCPRIM_400000_NS6detail17trampoline_kernelINS0_14default_configENS1_21merge_config_selectorIiNS0_10empty_typeEEEZNS1_10merge_implIS3_N6thrust23THRUST_200600_302600_NS10device_ptrIKiEESC_NSA_IiEEPS5_SE_SE_NS9_4lessIiEEEE10hipError_tPvRmT0_T1_T2_T3_T4_T5_mmT6_P12ihipStream_tbEUlT_E0_NS1_11comp_targetILNS1_3genE0ELNS1_11target_archE4294967295ELNS1_3gpuE0ELNS1_3repE0EEENS1_30default_config_static_selectorELNS0_4arch9wavefront6targetE1EEEvSL_,comdat
	.protected	_ZN7rocprim17ROCPRIM_400000_NS6detail17trampoline_kernelINS0_14default_configENS1_21merge_config_selectorIiNS0_10empty_typeEEEZNS1_10merge_implIS3_N6thrust23THRUST_200600_302600_NS10device_ptrIKiEESC_NSA_IiEEPS5_SE_SE_NS9_4lessIiEEEE10hipError_tPvRmT0_T1_T2_T3_T4_T5_mmT6_P12ihipStream_tbEUlT_E0_NS1_11comp_targetILNS1_3genE0ELNS1_11target_archE4294967295ELNS1_3gpuE0ELNS1_3repE0EEENS1_30default_config_static_selectorELNS0_4arch9wavefront6targetE1EEEvSL_ ; -- Begin function _ZN7rocprim17ROCPRIM_400000_NS6detail17trampoline_kernelINS0_14default_configENS1_21merge_config_selectorIiNS0_10empty_typeEEEZNS1_10merge_implIS3_N6thrust23THRUST_200600_302600_NS10device_ptrIKiEESC_NSA_IiEEPS5_SE_SE_NS9_4lessIiEEEE10hipError_tPvRmT0_T1_T2_T3_T4_T5_mmT6_P12ihipStream_tbEUlT_E0_NS1_11comp_targetILNS1_3genE0ELNS1_11target_archE4294967295ELNS1_3gpuE0ELNS1_3repE0EEENS1_30default_config_static_selectorELNS0_4arch9wavefront6targetE1EEEvSL_
	.globl	_ZN7rocprim17ROCPRIM_400000_NS6detail17trampoline_kernelINS0_14default_configENS1_21merge_config_selectorIiNS0_10empty_typeEEEZNS1_10merge_implIS3_N6thrust23THRUST_200600_302600_NS10device_ptrIKiEESC_NSA_IiEEPS5_SE_SE_NS9_4lessIiEEEE10hipError_tPvRmT0_T1_T2_T3_T4_T5_mmT6_P12ihipStream_tbEUlT_E0_NS1_11comp_targetILNS1_3genE0ELNS1_11target_archE4294967295ELNS1_3gpuE0ELNS1_3repE0EEENS1_30default_config_static_selectorELNS0_4arch9wavefront6targetE1EEEvSL_
	.p2align	8
	.type	_ZN7rocprim17ROCPRIM_400000_NS6detail17trampoline_kernelINS0_14default_configENS1_21merge_config_selectorIiNS0_10empty_typeEEEZNS1_10merge_implIS3_N6thrust23THRUST_200600_302600_NS10device_ptrIKiEESC_NSA_IiEEPS5_SE_SE_NS9_4lessIiEEEE10hipError_tPvRmT0_T1_T2_T3_T4_T5_mmT6_P12ihipStream_tbEUlT_E0_NS1_11comp_targetILNS1_3genE0ELNS1_11target_archE4294967295ELNS1_3gpuE0ELNS1_3repE0EEENS1_30default_config_static_selectorELNS0_4arch9wavefront6targetE1EEEvSL_,@function
_ZN7rocprim17ROCPRIM_400000_NS6detail17trampoline_kernelINS0_14default_configENS1_21merge_config_selectorIiNS0_10empty_typeEEEZNS1_10merge_implIS3_N6thrust23THRUST_200600_302600_NS10device_ptrIKiEESC_NSA_IiEEPS5_SE_SE_NS9_4lessIiEEEE10hipError_tPvRmT0_T1_T2_T3_T4_T5_mmT6_P12ihipStream_tbEUlT_E0_NS1_11comp_targetILNS1_3genE0ELNS1_11target_archE4294967295ELNS1_3gpuE0ELNS1_3repE0EEENS1_30default_config_static_selectorELNS0_4arch9wavefront6targetE1EEEvSL_: ; @_ZN7rocprim17ROCPRIM_400000_NS6detail17trampoline_kernelINS0_14default_configENS1_21merge_config_selectorIiNS0_10empty_typeEEEZNS1_10merge_implIS3_N6thrust23THRUST_200600_302600_NS10device_ptrIKiEESC_NSA_IiEEPS5_SE_SE_NS9_4lessIiEEEE10hipError_tPvRmT0_T1_T2_T3_T4_T5_mmT6_P12ihipStream_tbEUlT_E0_NS1_11comp_targetILNS1_3genE0ELNS1_11target_archE4294967295ELNS1_3gpuE0ELNS1_3repE0EEENS1_30default_config_static_selectorELNS0_4arch9wavefront6targetE1EEEvSL_
; %bb.0:
	.section	.rodata,"a",@progbits
	.p2align	6, 0x0
	.amdhsa_kernel _ZN7rocprim17ROCPRIM_400000_NS6detail17trampoline_kernelINS0_14default_configENS1_21merge_config_selectorIiNS0_10empty_typeEEEZNS1_10merge_implIS3_N6thrust23THRUST_200600_302600_NS10device_ptrIKiEESC_NSA_IiEEPS5_SE_SE_NS9_4lessIiEEEE10hipError_tPvRmT0_T1_T2_T3_T4_T5_mmT6_P12ihipStream_tbEUlT_E0_NS1_11comp_targetILNS1_3genE0ELNS1_11target_archE4294967295ELNS1_3gpuE0ELNS1_3repE0EEENS1_30default_config_static_selectorELNS0_4arch9wavefront6targetE1EEEvSL_
		.amdhsa_group_segment_fixed_size 0
		.amdhsa_private_segment_fixed_size 0
		.amdhsa_kernarg_size 88
		.amdhsa_user_sgpr_count 6
		.amdhsa_user_sgpr_private_segment_buffer 1
		.amdhsa_user_sgpr_dispatch_ptr 0
		.amdhsa_user_sgpr_queue_ptr 0
		.amdhsa_user_sgpr_kernarg_segment_ptr 1
		.amdhsa_user_sgpr_dispatch_id 0
		.amdhsa_user_sgpr_flat_scratch_init 0
		.amdhsa_user_sgpr_kernarg_preload_length 0
		.amdhsa_user_sgpr_kernarg_preload_offset 0
		.amdhsa_user_sgpr_private_segment_size 0
		.amdhsa_uses_dynamic_stack 0
		.amdhsa_system_sgpr_private_segment_wavefront_offset 0
		.amdhsa_system_sgpr_workgroup_id_x 1
		.amdhsa_system_sgpr_workgroup_id_y 0
		.amdhsa_system_sgpr_workgroup_id_z 0
		.amdhsa_system_sgpr_workgroup_info 0
		.amdhsa_system_vgpr_workitem_id 0
		.amdhsa_next_free_vgpr 1
		.amdhsa_next_free_sgpr 0
		.amdhsa_accum_offset 4
		.amdhsa_reserve_vcc 0
		.amdhsa_reserve_flat_scratch 0
		.amdhsa_float_round_mode_32 0
		.amdhsa_float_round_mode_16_64 0
		.amdhsa_float_denorm_mode_32 3
		.amdhsa_float_denorm_mode_16_64 3
		.amdhsa_dx10_clamp 1
		.amdhsa_ieee_mode 1
		.amdhsa_fp16_overflow 0
		.amdhsa_tg_split 0
		.amdhsa_exception_fp_ieee_invalid_op 0
		.amdhsa_exception_fp_denorm_src 0
		.amdhsa_exception_fp_ieee_div_zero 0
		.amdhsa_exception_fp_ieee_overflow 0
		.amdhsa_exception_fp_ieee_underflow 0
		.amdhsa_exception_fp_ieee_inexact 0
		.amdhsa_exception_int_div_zero 0
	.end_amdhsa_kernel
	.section	.text._ZN7rocprim17ROCPRIM_400000_NS6detail17trampoline_kernelINS0_14default_configENS1_21merge_config_selectorIiNS0_10empty_typeEEEZNS1_10merge_implIS3_N6thrust23THRUST_200600_302600_NS10device_ptrIKiEESC_NSA_IiEEPS5_SE_SE_NS9_4lessIiEEEE10hipError_tPvRmT0_T1_T2_T3_T4_T5_mmT6_P12ihipStream_tbEUlT_E0_NS1_11comp_targetILNS1_3genE0ELNS1_11target_archE4294967295ELNS1_3gpuE0ELNS1_3repE0EEENS1_30default_config_static_selectorELNS0_4arch9wavefront6targetE1EEEvSL_,"axG",@progbits,_ZN7rocprim17ROCPRIM_400000_NS6detail17trampoline_kernelINS0_14default_configENS1_21merge_config_selectorIiNS0_10empty_typeEEEZNS1_10merge_implIS3_N6thrust23THRUST_200600_302600_NS10device_ptrIKiEESC_NSA_IiEEPS5_SE_SE_NS9_4lessIiEEEE10hipError_tPvRmT0_T1_T2_T3_T4_T5_mmT6_P12ihipStream_tbEUlT_E0_NS1_11comp_targetILNS1_3genE0ELNS1_11target_archE4294967295ELNS1_3gpuE0ELNS1_3repE0EEENS1_30default_config_static_selectorELNS0_4arch9wavefront6targetE1EEEvSL_,comdat
.Lfunc_end615:
	.size	_ZN7rocprim17ROCPRIM_400000_NS6detail17trampoline_kernelINS0_14default_configENS1_21merge_config_selectorIiNS0_10empty_typeEEEZNS1_10merge_implIS3_N6thrust23THRUST_200600_302600_NS10device_ptrIKiEESC_NSA_IiEEPS5_SE_SE_NS9_4lessIiEEEE10hipError_tPvRmT0_T1_T2_T3_T4_T5_mmT6_P12ihipStream_tbEUlT_E0_NS1_11comp_targetILNS1_3genE0ELNS1_11target_archE4294967295ELNS1_3gpuE0ELNS1_3repE0EEENS1_30default_config_static_selectorELNS0_4arch9wavefront6targetE1EEEvSL_, .Lfunc_end615-_ZN7rocprim17ROCPRIM_400000_NS6detail17trampoline_kernelINS0_14default_configENS1_21merge_config_selectorIiNS0_10empty_typeEEEZNS1_10merge_implIS3_N6thrust23THRUST_200600_302600_NS10device_ptrIKiEESC_NSA_IiEEPS5_SE_SE_NS9_4lessIiEEEE10hipError_tPvRmT0_T1_T2_T3_T4_T5_mmT6_P12ihipStream_tbEUlT_E0_NS1_11comp_targetILNS1_3genE0ELNS1_11target_archE4294967295ELNS1_3gpuE0ELNS1_3repE0EEENS1_30default_config_static_selectorELNS0_4arch9wavefront6targetE1EEEvSL_
                                        ; -- End function
	.section	.AMDGPU.csdata,"",@progbits
; Kernel info:
; codeLenInByte = 0
; NumSgprs: 4
; NumVgprs: 0
; NumAgprs: 0
; TotalNumVgprs: 0
; ScratchSize: 0
; MemoryBound: 0
; FloatMode: 240
; IeeeMode: 1
; LDSByteSize: 0 bytes/workgroup (compile time only)
; SGPRBlocks: 0
; VGPRBlocks: 0
; NumSGPRsForWavesPerEU: 4
; NumVGPRsForWavesPerEU: 1
; AccumOffset: 4
; Occupancy: 8
; WaveLimiterHint : 0
; COMPUTE_PGM_RSRC2:SCRATCH_EN: 0
; COMPUTE_PGM_RSRC2:USER_SGPR: 6
; COMPUTE_PGM_RSRC2:TRAP_HANDLER: 0
; COMPUTE_PGM_RSRC2:TGID_X_EN: 1
; COMPUTE_PGM_RSRC2:TGID_Y_EN: 0
; COMPUTE_PGM_RSRC2:TGID_Z_EN: 0
; COMPUTE_PGM_RSRC2:TIDIG_COMP_CNT: 0
; COMPUTE_PGM_RSRC3_GFX90A:ACCUM_OFFSET: 0
; COMPUTE_PGM_RSRC3_GFX90A:TG_SPLIT: 0
	.section	.text._ZN7rocprim17ROCPRIM_400000_NS6detail17trampoline_kernelINS0_14default_configENS1_21merge_config_selectorIiNS0_10empty_typeEEEZNS1_10merge_implIS3_N6thrust23THRUST_200600_302600_NS10device_ptrIKiEESC_NSA_IiEEPS5_SE_SE_NS9_4lessIiEEEE10hipError_tPvRmT0_T1_T2_T3_T4_T5_mmT6_P12ihipStream_tbEUlT_E0_NS1_11comp_targetILNS1_3genE5ELNS1_11target_archE942ELNS1_3gpuE9ELNS1_3repE0EEENS1_30default_config_static_selectorELNS0_4arch9wavefront6targetE1EEEvSL_,"axG",@progbits,_ZN7rocprim17ROCPRIM_400000_NS6detail17trampoline_kernelINS0_14default_configENS1_21merge_config_selectorIiNS0_10empty_typeEEEZNS1_10merge_implIS3_N6thrust23THRUST_200600_302600_NS10device_ptrIKiEESC_NSA_IiEEPS5_SE_SE_NS9_4lessIiEEEE10hipError_tPvRmT0_T1_T2_T3_T4_T5_mmT6_P12ihipStream_tbEUlT_E0_NS1_11comp_targetILNS1_3genE5ELNS1_11target_archE942ELNS1_3gpuE9ELNS1_3repE0EEENS1_30default_config_static_selectorELNS0_4arch9wavefront6targetE1EEEvSL_,comdat
	.protected	_ZN7rocprim17ROCPRIM_400000_NS6detail17trampoline_kernelINS0_14default_configENS1_21merge_config_selectorIiNS0_10empty_typeEEEZNS1_10merge_implIS3_N6thrust23THRUST_200600_302600_NS10device_ptrIKiEESC_NSA_IiEEPS5_SE_SE_NS9_4lessIiEEEE10hipError_tPvRmT0_T1_T2_T3_T4_T5_mmT6_P12ihipStream_tbEUlT_E0_NS1_11comp_targetILNS1_3genE5ELNS1_11target_archE942ELNS1_3gpuE9ELNS1_3repE0EEENS1_30default_config_static_selectorELNS0_4arch9wavefront6targetE1EEEvSL_ ; -- Begin function _ZN7rocprim17ROCPRIM_400000_NS6detail17trampoline_kernelINS0_14default_configENS1_21merge_config_selectorIiNS0_10empty_typeEEEZNS1_10merge_implIS3_N6thrust23THRUST_200600_302600_NS10device_ptrIKiEESC_NSA_IiEEPS5_SE_SE_NS9_4lessIiEEEE10hipError_tPvRmT0_T1_T2_T3_T4_T5_mmT6_P12ihipStream_tbEUlT_E0_NS1_11comp_targetILNS1_3genE5ELNS1_11target_archE942ELNS1_3gpuE9ELNS1_3repE0EEENS1_30default_config_static_selectorELNS0_4arch9wavefront6targetE1EEEvSL_
	.globl	_ZN7rocprim17ROCPRIM_400000_NS6detail17trampoline_kernelINS0_14default_configENS1_21merge_config_selectorIiNS0_10empty_typeEEEZNS1_10merge_implIS3_N6thrust23THRUST_200600_302600_NS10device_ptrIKiEESC_NSA_IiEEPS5_SE_SE_NS9_4lessIiEEEE10hipError_tPvRmT0_T1_T2_T3_T4_T5_mmT6_P12ihipStream_tbEUlT_E0_NS1_11comp_targetILNS1_3genE5ELNS1_11target_archE942ELNS1_3gpuE9ELNS1_3repE0EEENS1_30default_config_static_selectorELNS0_4arch9wavefront6targetE1EEEvSL_
	.p2align	8
	.type	_ZN7rocprim17ROCPRIM_400000_NS6detail17trampoline_kernelINS0_14default_configENS1_21merge_config_selectorIiNS0_10empty_typeEEEZNS1_10merge_implIS3_N6thrust23THRUST_200600_302600_NS10device_ptrIKiEESC_NSA_IiEEPS5_SE_SE_NS9_4lessIiEEEE10hipError_tPvRmT0_T1_T2_T3_T4_T5_mmT6_P12ihipStream_tbEUlT_E0_NS1_11comp_targetILNS1_3genE5ELNS1_11target_archE942ELNS1_3gpuE9ELNS1_3repE0EEENS1_30default_config_static_selectorELNS0_4arch9wavefront6targetE1EEEvSL_,@function
_ZN7rocprim17ROCPRIM_400000_NS6detail17trampoline_kernelINS0_14default_configENS1_21merge_config_selectorIiNS0_10empty_typeEEEZNS1_10merge_implIS3_N6thrust23THRUST_200600_302600_NS10device_ptrIKiEESC_NSA_IiEEPS5_SE_SE_NS9_4lessIiEEEE10hipError_tPvRmT0_T1_T2_T3_T4_T5_mmT6_P12ihipStream_tbEUlT_E0_NS1_11comp_targetILNS1_3genE5ELNS1_11target_archE942ELNS1_3gpuE9ELNS1_3repE0EEENS1_30default_config_static_selectorELNS0_4arch9wavefront6targetE1EEEvSL_: ; @_ZN7rocprim17ROCPRIM_400000_NS6detail17trampoline_kernelINS0_14default_configENS1_21merge_config_selectorIiNS0_10empty_typeEEEZNS1_10merge_implIS3_N6thrust23THRUST_200600_302600_NS10device_ptrIKiEESC_NSA_IiEEPS5_SE_SE_NS9_4lessIiEEEE10hipError_tPvRmT0_T1_T2_T3_T4_T5_mmT6_P12ihipStream_tbEUlT_E0_NS1_11comp_targetILNS1_3genE5ELNS1_11target_archE942ELNS1_3gpuE9ELNS1_3repE0EEENS1_30default_config_static_selectorELNS0_4arch9wavefront6targetE1EEEvSL_
; %bb.0:
	.section	.rodata,"a",@progbits
	.p2align	6, 0x0
	.amdhsa_kernel _ZN7rocprim17ROCPRIM_400000_NS6detail17trampoline_kernelINS0_14default_configENS1_21merge_config_selectorIiNS0_10empty_typeEEEZNS1_10merge_implIS3_N6thrust23THRUST_200600_302600_NS10device_ptrIKiEESC_NSA_IiEEPS5_SE_SE_NS9_4lessIiEEEE10hipError_tPvRmT0_T1_T2_T3_T4_T5_mmT6_P12ihipStream_tbEUlT_E0_NS1_11comp_targetILNS1_3genE5ELNS1_11target_archE942ELNS1_3gpuE9ELNS1_3repE0EEENS1_30default_config_static_selectorELNS0_4arch9wavefront6targetE1EEEvSL_
		.amdhsa_group_segment_fixed_size 0
		.amdhsa_private_segment_fixed_size 0
		.amdhsa_kernarg_size 88
		.amdhsa_user_sgpr_count 6
		.amdhsa_user_sgpr_private_segment_buffer 1
		.amdhsa_user_sgpr_dispatch_ptr 0
		.amdhsa_user_sgpr_queue_ptr 0
		.amdhsa_user_sgpr_kernarg_segment_ptr 1
		.amdhsa_user_sgpr_dispatch_id 0
		.amdhsa_user_sgpr_flat_scratch_init 0
		.amdhsa_user_sgpr_kernarg_preload_length 0
		.amdhsa_user_sgpr_kernarg_preload_offset 0
		.amdhsa_user_sgpr_private_segment_size 0
		.amdhsa_uses_dynamic_stack 0
		.amdhsa_system_sgpr_private_segment_wavefront_offset 0
		.amdhsa_system_sgpr_workgroup_id_x 1
		.amdhsa_system_sgpr_workgroup_id_y 0
		.amdhsa_system_sgpr_workgroup_id_z 0
		.amdhsa_system_sgpr_workgroup_info 0
		.amdhsa_system_vgpr_workitem_id 0
		.amdhsa_next_free_vgpr 1
		.amdhsa_next_free_sgpr 0
		.amdhsa_accum_offset 4
		.amdhsa_reserve_vcc 0
		.amdhsa_reserve_flat_scratch 0
		.amdhsa_float_round_mode_32 0
		.amdhsa_float_round_mode_16_64 0
		.amdhsa_float_denorm_mode_32 3
		.amdhsa_float_denorm_mode_16_64 3
		.amdhsa_dx10_clamp 1
		.amdhsa_ieee_mode 1
		.amdhsa_fp16_overflow 0
		.amdhsa_tg_split 0
		.amdhsa_exception_fp_ieee_invalid_op 0
		.amdhsa_exception_fp_denorm_src 0
		.amdhsa_exception_fp_ieee_div_zero 0
		.amdhsa_exception_fp_ieee_overflow 0
		.amdhsa_exception_fp_ieee_underflow 0
		.amdhsa_exception_fp_ieee_inexact 0
		.amdhsa_exception_int_div_zero 0
	.end_amdhsa_kernel
	.section	.text._ZN7rocprim17ROCPRIM_400000_NS6detail17trampoline_kernelINS0_14default_configENS1_21merge_config_selectorIiNS0_10empty_typeEEEZNS1_10merge_implIS3_N6thrust23THRUST_200600_302600_NS10device_ptrIKiEESC_NSA_IiEEPS5_SE_SE_NS9_4lessIiEEEE10hipError_tPvRmT0_T1_T2_T3_T4_T5_mmT6_P12ihipStream_tbEUlT_E0_NS1_11comp_targetILNS1_3genE5ELNS1_11target_archE942ELNS1_3gpuE9ELNS1_3repE0EEENS1_30default_config_static_selectorELNS0_4arch9wavefront6targetE1EEEvSL_,"axG",@progbits,_ZN7rocprim17ROCPRIM_400000_NS6detail17trampoline_kernelINS0_14default_configENS1_21merge_config_selectorIiNS0_10empty_typeEEEZNS1_10merge_implIS3_N6thrust23THRUST_200600_302600_NS10device_ptrIKiEESC_NSA_IiEEPS5_SE_SE_NS9_4lessIiEEEE10hipError_tPvRmT0_T1_T2_T3_T4_T5_mmT6_P12ihipStream_tbEUlT_E0_NS1_11comp_targetILNS1_3genE5ELNS1_11target_archE942ELNS1_3gpuE9ELNS1_3repE0EEENS1_30default_config_static_selectorELNS0_4arch9wavefront6targetE1EEEvSL_,comdat
.Lfunc_end616:
	.size	_ZN7rocprim17ROCPRIM_400000_NS6detail17trampoline_kernelINS0_14default_configENS1_21merge_config_selectorIiNS0_10empty_typeEEEZNS1_10merge_implIS3_N6thrust23THRUST_200600_302600_NS10device_ptrIKiEESC_NSA_IiEEPS5_SE_SE_NS9_4lessIiEEEE10hipError_tPvRmT0_T1_T2_T3_T4_T5_mmT6_P12ihipStream_tbEUlT_E0_NS1_11comp_targetILNS1_3genE5ELNS1_11target_archE942ELNS1_3gpuE9ELNS1_3repE0EEENS1_30default_config_static_selectorELNS0_4arch9wavefront6targetE1EEEvSL_, .Lfunc_end616-_ZN7rocprim17ROCPRIM_400000_NS6detail17trampoline_kernelINS0_14default_configENS1_21merge_config_selectorIiNS0_10empty_typeEEEZNS1_10merge_implIS3_N6thrust23THRUST_200600_302600_NS10device_ptrIKiEESC_NSA_IiEEPS5_SE_SE_NS9_4lessIiEEEE10hipError_tPvRmT0_T1_T2_T3_T4_T5_mmT6_P12ihipStream_tbEUlT_E0_NS1_11comp_targetILNS1_3genE5ELNS1_11target_archE942ELNS1_3gpuE9ELNS1_3repE0EEENS1_30default_config_static_selectorELNS0_4arch9wavefront6targetE1EEEvSL_
                                        ; -- End function
	.section	.AMDGPU.csdata,"",@progbits
; Kernel info:
; codeLenInByte = 0
; NumSgprs: 4
; NumVgprs: 0
; NumAgprs: 0
; TotalNumVgprs: 0
; ScratchSize: 0
; MemoryBound: 0
; FloatMode: 240
; IeeeMode: 1
; LDSByteSize: 0 bytes/workgroup (compile time only)
; SGPRBlocks: 0
; VGPRBlocks: 0
; NumSGPRsForWavesPerEU: 4
; NumVGPRsForWavesPerEU: 1
; AccumOffset: 4
; Occupancy: 8
; WaveLimiterHint : 0
; COMPUTE_PGM_RSRC2:SCRATCH_EN: 0
; COMPUTE_PGM_RSRC2:USER_SGPR: 6
; COMPUTE_PGM_RSRC2:TRAP_HANDLER: 0
; COMPUTE_PGM_RSRC2:TGID_X_EN: 1
; COMPUTE_PGM_RSRC2:TGID_Y_EN: 0
; COMPUTE_PGM_RSRC2:TGID_Z_EN: 0
; COMPUTE_PGM_RSRC2:TIDIG_COMP_CNT: 0
; COMPUTE_PGM_RSRC3_GFX90A:ACCUM_OFFSET: 0
; COMPUTE_PGM_RSRC3_GFX90A:TG_SPLIT: 0
	.section	.text._ZN7rocprim17ROCPRIM_400000_NS6detail17trampoline_kernelINS0_14default_configENS1_21merge_config_selectorIiNS0_10empty_typeEEEZNS1_10merge_implIS3_N6thrust23THRUST_200600_302600_NS10device_ptrIKiEESC_NSA_IiEEPS5_SE_SE_NS9_4lessIiEEEE10hipError_tPvRmT0_T1_T2_T3_T4_T5_mmT6_P12ihipStream_tbEUlT_E0_NS1_11comp_targetILNS1_3genE4ELNS1_11target_archE910ELNS1_3gpuE8ELNS1_3repE0EEENS1_30default_config_static_selectorELNS0_4arch9wavefront6targetE1EEEvSL_,"axG",@progbits,_ZN7rocprim17ROCPRIM_400000_NS6detail17trampoline_kernelINS0_14default_configENS1_21merge_config_selectorIiNS0_10empty_typeEEEZNS1_10merge_implIS3_N6thrust23THRUST_200600_302600_NS10device_ptrIKiEESC_NSA_IiEEPS5_SE_SE_NS9_4lessIiEEEE10hipError_tPvRmT0_T1_T2_T3_T4_T5_mmT6_P12ihipStream_tbEUlT_E0_NS1_11comp_targetILNS1_3genE4ELNS1_11target_archE910ELNS1_3gpuE8ELNS1_3repE0EEENS1_30default_config_static_selectorELNS0_4arch9wavefront6targetE1EEEvSL_,comdat
	.protected	_ZN7rocprim17ROCPRIM_400000_NS6detail17trampoline_kernelINS0_14default_configENS1_21merge_config_selectorIiNS0_10empty_typeEEEZNS1_10merge_implIS3_N6thrust23THRUST_200600_302600_NS10device_ptrIKiEESC_NSA_IiEEPS5_SE_SE_NS9_4lessIiEEEE10hipError_tPvRmT0_T1_T2_T3_T4_T5_mmT6_P12ihipStream_tbEUlT_E0_NS1_11comp_targetILNS1_3genE4ELNS1_11target_archE910ELNS1_3gpuE8ELNS1_3repE0EEENS1_30default_config_static_selectorELNS0_4arch9wavefront6targetE1EEEvSL_ ; -- Begin function _ZN7rocprim17ROCPRIM_400000_NS6detail17trampoline_kernelINS0_14default_configENS1_21merge_config_selectorIiNS0_10empty_typeEEEZNS1_10merge_implIS3_N6thrust23THRUST_200600_302600_NS10device_ptrIKiEESC_NSA_IiEEPS5_SE_SE_NS9_4lessIiEEEE10hipError_tPvRmT0_T1_T2_T3_T4_T5_mmT6_P12ihipStream_tbEUlT_E0_NS1_11comp_targetILNS1_3genE4ELNS1_11target_archE910ELNS1_3gpuE8ELNS1_3repE0EEENS1_30default_config_static_selectorELNS0_4arch9wavefront6targetE1EEEvSL_
	.globl	_ZN7rocprim17ROCPRIM_400000_NS6detail17trampoline_kernelINS0_14default_configENS1_21merge_config_selectorIiNS0_10empty_typeEEEZNS1_10merge_implIS3_N6thrust23THRUST_200600_302600_NS10device_ptrIKiEESC_NSA_IiEEPS5_SE_SE_NS9_4lessIiEEEE10hipError_tPvRmT0_T1_T2_T3_T4_T5_mmT6_P12ihipStream_tbEUlT_E0_NS1_11comp_targetILNS1_3genE4ELNS1_11target_archE910ELNS1_3gpuE8ELNS1_3repE0EEENS1_30default_config_static_selectorELNS0_4arch9wavefront6targetE1EEEvSL_
	.p2align	8
	.type	_ZN7rocprim17ROCPRIM_400000_NS6detail17trampoline_kernelINS0_14default_configENS1_21merge_config_selectorIiNS0_10empty_typeEEEZNS1_10merge_implIS3_N6thrust23THRUST_200600_302600_NS10device_ptrIKiEESC_NSA_IiEEPS5_SE_SE_NS9_4lessIiEEEE10hipError_tPvRmT0_T1_T2_T3_T4_T5_mmT6_P12ihipStream_tbEUlT_E0_NS1_11comp_targetILNS1_3genE4ELNS1_11target_archE910ELNS1_3gpuE8ELNS1_3repE0EEENS1_30default_config_static_selectorELNS0_4arch9wavefront6targetE1EEEvSL_,@function
_ZN7rocprim17ROCPRIM_400000_NS6detail17trampoline_kernelINS0_14default_configENS1_21merge_config_selectorIiNS0_10empty_typeEEEZNS1_10merge_implIS3_N6thrust23THRUST_200600_302600_NS10device_ptrIKiEESC_NSA_IiEEPS5_SE_SE_NS9_4lessIiEEEE10hipError_tPvRmT0_T1_T2_T3_T4_T5_mmT6_P12ihipStream_tbEUlT_E0_NS1_11comp_targetILNS1_3genE4ELNS1_11target_archE910ELNS1_3gpuE8ELNS1_3repE0EEENS1_30default_config_static_selectorELNS0_4arch9wavefront6targetE1EEEvSL_: ; @_ZN7rocprim17ROCPRIM_400000_NS6detail17trampoline_kernelINS0_14default_configENS1_21merge_config_selectorIiNS0_10empty_typeEEEZNS1_10merge_implIS3_N6thrust23THRUST_200600_302600_NS10device_ptrIKiEESC_NSA_IiEEPS5_SE_SE_NS9_4lessIiEEEE10hipError_tPvRmT0_T1_T2_T3_T4_T5_mmT6_P12ihipStream_tbEUlT_E0_NS1_11comp_targetILNS1_3genE4ELNS1_11target_archE910ELNS1_3gpuE8ELNS1_3repE0EEENS1_30default_config_static_selectorELNS0_4arch9wavefront6targetE1EEEvSL_
; %bb.0:
	s_load_dwordx4 s[0:3], s[4:5], 0x40
	s_load_dwordx8 s[12:19], s[4:5], 0x8
	s_mul_i32 s20, s6, 0xa00
	s_mov_b32 s23, 0
	s_waitcnt lgkmcnt(0)
	s_mov_b32 s3, s23
	s_add_i32 s21, s2, s0
	s_add_i32 s0, s21, 0x9ff
	s_mul_hi_u32 s0, s0, 0xcccccccd
	s_lshr_b32 s0, s0, 11
	s_min_u32 s1, s6, s0
	s_lshl_b32 s1, s1, 2
	s_load_dword s22, s[12:13], s1 offset:0x0
	s_add_i32 s6, s6, 1
	s_min_u32 s0, s6, s0
	s_lshl_b32 s0, s0, 2
	s_load_dword s6, s[12:13], s0 offset:0x0
	s_add_i32 s0, s20, 0xa00
	s_min_u32 s7, s21, s0
	s_waitcnt lgkmcnt(0)
	s_sub_i32 s2, s20, s22
	s_lshl_b64 s[0:1], s[22:23], 2
	s_add_u32 s0, s14, s0
	s_addc_u32 s1, s15, s1
	s_lshl_b64 s[4:5], s[2:3], 2
	s_add_u32 s9, s16, s4
	s_addc_u32 s10, s17, s5
	s_add_i32 s2, s2, s6
	s_sub_i32 s22, s6, s22
	s_sub_i32 s8, s7, s2
	s_add_u32 s2, s8, s22
	s_addc_u32 s3, 0, 0
	v_mov_b32_e32 v1, 0
	v_cmp_le_u32_e32 vcc, s22, v0
	s_and_saveexec_b64 s[4:5], vcc
	s_xor_b64 s[4:5], exec, s[4:5]
	s_cbranch_execz .LBB617_4
; %bb.1:
	v_cmp_gt_u64_e32 vcc, s[2:3], v[0:1]
	s_and_saveexec_b64 s[6:7], vcc
	s_cbranch_execz .LBB617_3
; %bb.2:
	v_mov_b32_e32 v1, s23
	v_subrev_co_u32_e32 v2, vcc, s22, v0
	v_subb_co_u32_e32 v3, vcc, 0, v1, vcc
	v_lshlrev_b64 v[2:3], 2, v[2:3]
	v_mov_b32_e32 v1, s10
	v_add_co_u32_e32 v2, vcc, s9, v2
	v_addc_co_u32_e32 v3, vcc, v1, v3, vcc
	global_load_dword v1, v[2:3], off
	v_lshlrev_b32_e32 v2, 2, v0
	s_waitcnt vmcnt(0)
	ds_write_b32 v2, v1
.LBB617_3:
	s_or_b64 exec, exec, s[6:7]
.LBB617_4:
	s_or_saveexec_b64 s[4:5], s[4:5]
	v_lshlrev_b32_e32 v1, 2, v0
	s_xor_b64 exec, exec, s[4:5]
	s_cbranch_execz .LBB617_6
; %bb.5:
	global_load_dword v2, v1, s[0:1]
	s_waitcnt vmcnt(0)
	ds_write_b32 v1, v2
.LBB617_6:
	s_or_b64 exec, exec, s[4:5]
	v_or_b32_e32 v10, 0x100, v0
	v_mov_b32_e32 v11, 0
	v_cmp_le_u32_e32 vcc, s22, v10
	s_and_saveexec_b64 s[4:5], vcc
	s_xor_b64 s[4:5], exec, s[4:5]
	s_cbranch_execz .LBB617_10
; %bb.7:
	v_cmp_gt_u64_e32 vcc, s[2:3], v[10:11]
	s_and_saveexec_b64 s[6:7], vcc
	s_cbranch_execz .LBB617_9
; %bb.8:
	v_mov_b32_e32 v3, s23
	v_subrev_co_u32_e32 v2, vcc, s22, v0
	v_subb_co_u32_e32 v3, vcc, 0, v3, vcc
	v_lshlrev_b64 v[2:3], 2, v[2:3]
	v_mov_b32_e32 v4, s10
	v_add_co_u32_e32 v2, vcc, s9, v2
	v_addc_co_u32_e32 v3, vcc, v4, v3, vcc
	global_load_dword v2, v[2:3], off offset:1024
	s_waitcnt vmcnt(0)
	ds_write_b32 v1, v2 offset:1024
.LBB617_9:
	s_or_b64 exec, exec, s[6:7]
.LBB617_10:
	s_andn2_saveexec_b64 s[4:5], s[4:5]
	s_cbranch_execz .LBB617_12
; %bb.11:
	global_load_dword v2, v1, s[0:1] offset:1024
	s_waitcnt vmcnt(0)
	ds_write_b32 v1, v2 offset:1024
.LBB617_12:
	s_or_b64 exec, exec, s[4:5]
	v_or_b32_e32 v12, 0x200, v0
	v_mov_b32_e32 v13, 0
	v_cmp_le_u32_e32 vcc, s22, v12
	s_and_saveexec_b64 s[4:5], vcc
	s_xor_b64 s[4:5], exec, s[4:5]
	s_cbranch_execz .LBB617_16
; %bb.13:
	v_cmp_gt_u64_e32 vcc, s[2:3], v[12:13]
	s_and_saveexec_b64 s[6:7], vcc
	s_cbranch_execz .LBB617_15
; %bb.14:
	v_mov_b32_e32 v3, s23
	v_subrev_co_u32_e32 v2, vcc, s22, v0
	v_subb_co_u32_e32 v3, vcc, 0, v3, vcc
	v_lshlrev_b64 v[2:3], 2, v[2:3]
	v_mov_b32_e32 v4, s10
	v_add_co_u32_e32 v2, vcc, s9, v2
	v_addc_co_u32_e32 v3, vcc, v4, v3, vcc
	global_load_dword v2, v[2:3], off offset:2048
	s_waitcnt vmcnt(0)
	ds_write_b32 v1, v2 offset:2048
.LBB617_15:
	s_or_b64 exec, exec, s[6:7]
.LBB617_16:
	s_andn2_saveexec_b64 s[4:5], s[4:5]
	s_cbranch_execz .LBB617_18
; %bb.17:
	global_load_dword v2, v1, s[0:1] offset:2048
	s_waitcnt vmcnt(0)
	ds_write_b32 v1, v2 offset:2048
.LBB617_18:
	;; [unrolled: 32-line block ×3, first 2 shown]
	s_or_b64 exec, exec, s[4:5]
	v_or_b32_e32 v16, 0x400, v0
	v_mov_b32_e32 v17, 0
	v_cmp_le_u32_e32 vcc, s22, v16
	s_and_saveexec_b64 s[4:5], vcc
	s_xor_b64 s[4:5], exec, s[4:5]
	s_cbranch_execz .LBB617_28
; %bb.25:
	v_cmp_gt_u64_e32 vcc, s[2:3], v[16:17]
	s_and_saveexec_b64 s[6:7], vcc
	s_cbranch_execz .LBB617_27
; %bb.26:
	v_mov_b32_e32 v3, s23
	v_subrev_co_u32_e32 v2, vcc, s22, v16
	v_subb_co_u32_e32 v3, vcc, 0, v3, vcc
	v_lshlrev_b64 v[2:3], 2, v[2:3]
	v_mov_b32_e32 v4, s10
	v_add_co_u32_e32 v2, vcc, s9, v2
	v_addc_co_u32_e32 v3, vcc, v4, v3, vcc
	global_load_dword v2, v[2:3], off
	s_waitcnt vmcnt(0)
	ds_write_b32 v1, v2 offset:4096
.LBB617_27:
	s_or_b64 exec, exec, s[6:7]
.LBB617_28:
	s_andn2_saveexec_b64 s[4:5], s[4:5]
	s_cbranch_execz .LBB617_30
; %bb.29:
	v_lshlrev_b32_e32 v2, 2, v16
	global_load_dword v2, v2, s[0:1]
	s_waitcnt vmcnt(0)
	ds_write_b32 v1, v2 offset:4096
.LBB617_30:
	s_or_b64 exec, exec, s[4:5]
	v_or_b32_e32 v18, 0x500, v0
	v_mov_b32_e32 v19, 0
	v_cmp_le_u32_e32 vcc, s22, v18
	s_and_saveexec_b64 s[4:5], vcc
	s_xor_b64 s[4:5], exec, s[4:5]
	s_cbranch_execz .LBB617_34
; %bb.31:
	v_cmp_gt_u64_e32 vcc, s[2:3], v[18:19]
	s_and_saveexec_b64 s[6:7], vcc
	s_cbranch_execz .LBB617_33
; %bb.32:
	v_mov_b32_e32 v3, s23
	v_subrev_co_u32_e32 v2, vcc, s22, v18
	v_subb_co_u32_e32 v3, vcc, 0, v3, vcc
	v_lshlrev_b64 v[2:3], 2, v[2:3]
	v_mov_b32_e32 v4, s10
	v_add_co_u32_e32 v2, vcc, s9, v2
	v_addc_co_u32_e32 v3, vcc, v4, v3, vcc
	global_load_dword v2, v[2:3], off
	s_waitcnt vmcnt(0)
	ds_write_b32 v1, v2 offset:5120
.LBB617_33:
	s_or_b64 exec, exec, s[6:7]
.LBB617_34:
	s_andn2_saveexec_b64 s[4:5], s[4:5]
	s_cbranch_execz .LBB617_36
; %bb.35:
	v_lshlrev_b32_e32 v2, 2, v18
	global_load_dword v2, v2, s[0:1]
	s_waitcnt vmcnt(0)
	ds_write_b32 v1, v2 offset:5120
.LBB617_36:
	s_or_b64 exec, exec, s[4:5]
	v_or_b32_e32 v20, 0x600, v0
	v_mov_b32_e32 v21, 0
	v_cmp_le_u32_e32 vcc, s22, v20
	s_and_saveexec_b64 s[4:5], vcc
	s_xor_b64 s[4:5], exec, s[4:5]
	s_cbranch_execz .LBB617_40
; %bb.37:
	v_cmp_gt_u64_e32 vcc, s[2:3], v[20:21]
	s_and_saveexec_b64 s[6:7], vcc
	s_cbranch_execz .LBB617_39
; %bb.38:
	v_mov_b32_e32 v3, s23
	v_subrev_co_u32_e32 v2, vcc, s22, v20
	v_subb_co_u32_e32 v3, vcc, 0, v3, vcc
	v_lshlrev_b64 v[2:3], 2, v[2:3]
	v_mov_b32_e32 v4, s10
	v_add_co_u32_e32 v2, vcc, s9, v2
	v_addc_co_u32_e32 v3, vcc, v4, v3, vcc
	global_load_dword v2, v[2:3], off
	s_waitcnt vmcnt(0)
	ds_write_b32 v1, v2 offset:6144
.LBB617_39:
	s_or_b64 exec, exec, s[6:7]
.LBB617_40:
	s_andn2_saveexec_b64 s[4:5], s[4:5]
	s_cbranch_execz .LBB617_42
; %bb.41:
	v_lshlrev_b32_e32 v2, 2, v20
	global_load_dword v2, v2, s[0:1]
	s_waitcnt vmcnt(0)
	ds_write_b32 v1, v2 offset:6144
.LBB617_42:
	s_or_b64 exec, exec, s[4:5]
	v_or_b32_e32 v22, 0x700, v0
	v_mov_b32_e32 v23, 0
	v_cmp_le_u32_e32 vcc, s22, v22
	s_and_saveexec_b64 s[4:5], vcc
	s_xor_b64 s[4:5], exec, s[4:5]
	s_cbranch_execz .LBB617_46
; %bb.43:
	v_cmp_gt_u64_e32 vcc, s[2:3], v[22:23]
	s_and_saveexec_b64 s[6:7], vcc
	s_cbranch_execz .LBB617_45
; %bb.44:
	v_mov_b32_e32 v3, s23
	v_subrev_co_u32_e32 v2, vcc, s22, v22
	v_subb_co_u32_e32 v3, vcc, 0, v3, vcc
	v_lshlrev_b64 v[2:3], 2, v[2:3]
	v_mov_b32_e32 v4, s10
	v_add_co_u32_e32 v2, vcc, s9, v2
	v_addc_co_u32_e32 v3, vcc, v4, v3, vcc
	global_load_dword v2, v[2:3], off
	s_waitcnt vmcnt(0)
	ds_write_b32 v1, v2 offset:7168
.LBB617_45:
	s_or_b64 exec, exec, s[6:7]
.LBB617_46:
	s_andn2_saveexec_b64 s[4:5], s[4:5]
	s_cbranch_execz .LBB617_48
; %bb.47:
	v_lshlrev_b32_e32 v2, 2, v22
	global_load_dword v2, v2, s[0:1]
	s_waitcnt vmcnt(0)
	ds_write_b32 v1, v2 offset:7168
.LBB617_48:
	s_or_b64 exec, exec, s[4:5]
	v_or_b32_e32 v24, 0x800, v0
	v_mov_b32_e32 v25, 0
	v_cmp_le_u32_e32 vcc, s22, v24
	s_and_saveexec_b64 s[4:5], vcc
	s_xor_b64 s[4:5], exec, s[4:5]
	s_cbranch_execz .LBB617_52
; %bb.49:
	v_cmp_gt_u64_e32 vcc, s[2:3], v[24:25]
	s_and_saveexec_b64 s[6:7], vcc
	s_cbranch_execz .LBB617_51
; %bb.50:
	v_mov_b32_e32 v3, s23
	v_subrev_co_u32_e32 v2, vcc, s22, v24
	v_subb_co_u32_e32 v3, vcc, 0, v3, vcc
	v_lshlrev_b64 v[2:3], 2, v[2:3]
	v_mov_b32_e32 v4, s10
	v_add_co_u32_e32 v2, vcc, s9, v2
	v_addc_co_u32_e32 v3, vcc, v4, v3, vcc
	global_load_dword v2, v[2:3], off
	s_waitcnt vmcnt(0)
	ds_write_b32 v1, v2 offset:8192
.LBB617_51:
	s_or_b64 exec, exec, s[6:7]
.LBB617_52:
	s_andn2_saveexec_b64 s[4:5], s[4:5]
	s_cbranch_execz .LBB617_54
; %bb.53:
	v_lshlrev_b32_e32 v2, 2, v24
	global_load_dword v2, v2, s[0:1]
	s_waitcnt vmcnt(0)
	ds_write_b32 v1, v2 offset:8192
.LBB617_54:
	s_or_b64 exec, exec, s[4:5]
	v_or_b32_e32 v26, 0x900, v0
	v_mov_b32_e32 v27, 0
	v_cmp_le_u32_e32 vcc, s22, v26
	s_and_saveexec_b64 s[4:5], vcc
	s_xor_b64 s[4:5], exec, s[4:5]
	s_cbranch_execz .LBB617_58
; %bb.55:
	v_cmp_gt_u64_e32 vcc, s[2:3], v[26:27]
	s_and_saveexec_b64 s[2:3], vcc
	s_cbranch_execz .LBB617_57
; %bb.56:
	v_mov_b32_e32 v3, s23
	v_subrev_co_u32_e32 v2, vcc, s22, v26
	v_subb_co_u32_e32 v3, vcc, 0, v3, vcc
	v_lshlrev_b64 v[2:3], 2, v[2:3]
	v_mov_b32_e32 v4, s10
	v_add_co_u32_e32 v2, vcc, s9, v2
	v_addc_co_u32_e32 v3, vcc, v4, v3, vcc
	global_load_dword v2, v[2:3], off
	s_waitcnt vmcnt(0)
	ds_write_b32 v1, v2 offset:9216
.LBB617_57:
	s_or_b64 exec, exec, s[2:3]
.LBB617_58:
	s_andn2_saveexec_b64 s[2:3], s[4:5]
	s_cbranch_execz .LBB617_60
; %bb.59:
	v_lshlrev_b32_e32 v2, 2, v26
	global_load_dword v2, v2, s[0:1]
	s_waitcnt vmcnt(0)
	ds_write_b32 v1, v2 offset:9216
.LBB617_60:
	s_or_b64 exec, exec, s[2:3]
	v_mul_u32_u24_e32 v2, 10, v0
	v_sub_u32_e64 v13, v2, s8 clamp
	v_min_u32_e32 v3, s22, v2
	v_cmp_lt_u32_e32 vcc, v13, v3
	v_lshlrev_b32_e32 v11, 2, v2
	s_waitcnt lgkmcnt(0)
	s_barrier
	s_and_saveexec_b64 s[0:1], vcc
	s_cbranch_execz .LBB617_64
; %bb.61:
	v_lshl_add_u32 v4, s22, 2, v11
	s_mov_b64 s[2:3], 0
.LBB617_62:                             ; =>This Inner Loop Header: Depth=1
	v_add_u32_e32 v5, v3, v13
	v_lshrrev_b32_e32 v5, 1, v5
	v_not_b32_e32 v6, v5
	v_lshlrev_b32_e32 v7, 2, v5
	v_lshl_add_u32 v6, v6, 2, v4
	ds_read_b32 v7, v7
	ds_read_b32 v6, v6
	v_add_u32_e32 v8, 1, v5
	s_waitcnt lgkmcnt(0)
	v_cmp_lt_i32_e32 vcc, v6, v7
	v_cndmask_b32_e32 v3, v3, v5, vcc
	v_cndmask_b32_e32 v13, v8, v13, vcc
	v_cmp_ge_u32_e32 vcc, v13, v3
	s_or_b64 s[2:3], vcc, s[2:3]
	s_andn2_b64 exec, exec, s[2:3]
	s_cbranch_execnz .LBB617_62
; %bb.63:
	s_or_b64 exec, exec, s[2:3]
.LBB617_64:
	s_or_b64 exec, exec, s[0:1]
	v_add_u32_e32 v2, s22, v2
	s_add_i32 s23, s8, s22
	v_sub_u32_e32 v15, v2, v13
	v_cmp_ge_u32_e32 vcc, s22, v13
	v_cmp_ge_u32_e64 s[0:1], s23, v15
	s_or_b64 s[0:1], vcc, s[0:1]
                                        ; implicit-def: $vgpr31
                                        ; implicit-def: $vgpr33
                                        ; implicit-def: $vgpr29
	s_and_saveexec_b64 s[16:17], s[0:1]
                                        ; implicit-def: $vgpr6_vgpr7_vgpr8_vgpr9
                                        ; implicit-def: $vgpr2_vgpr3_vgpr4_vgpr5
	s_cbranch_execz .LBB617_70
; %bb.65:
	v_cmp_gt_u32_e32 vcc, s22, v13
                                        ; implicit-def: $vgpr2
	s_and_saveexec_b64 s[0:1], vcc
	s_cbranch_execz .LBB617_67
; %bb.66:
	v_lshlrev_b32_e32 v2, 2, v13
	ds_read_b32 v2, v2
.LBB617_67:
	s_or_b64 exec, exec, s[0:1]
	v_cmp_le_u32_e64 s[0:1], s23, v15
	v_cmp_gt_u32_e64 s[2:3], s23, v15
                                        ; implicit-def: $vgpr3
	s_and_saveexec_b64 s[4:5], s[2:3]
	s_cbranch_execz .LBB617_69
; %bb.68:
	v_lshlrev_b32_e32 v3, 2, v15
	ds_read_b32 v3, v3
.LBB617_69:
	s_or_b64 exec, exec, s[4:5]
	s_waitcnt lgkmcnt(0)
	v_cmp_ge_i32_e64 s[2:3], v3, v2
	s_and_b64 s[2:3], vcc, s[2:3]
	s_or_b64 vcc, s[0:1], s[2:3]
	v_mov_b32_e32 v5, s23
	v_mov_b32_e32 v7, s22
	v_cndmask_b32_e32 v4, v15, v13, vcc
	v_cndmask_b32_e32 v6, v5, v7, vcc
	v_add_u32_e32 v4, 1, v4
	v_add_u32_e32 v6, -1, v6
	v_min_u32_e32 v6, v4, v6
	v_lshlrev_b32_e32 v6, 2, v6
	ds_read_b32 v6, v6
	v_cndmask_b32_e32 v9, v4, v15, vcc
	v_cndmask_b32_e32 v4, v13, v4, vcc
	v_cmp_gt_u32_e64 s[2:3], s22, v4
	v_cmp_le_u32_e64 s[0:1], s23, v9
	s_waitcnt lgkmcnt(0)
	v_cndmask_b32_e32 v8, v6, v3, vcc
	v_cndmask_b32_e32 v6, v2, v6, vcc
	v_cmp_ge_i32_e64 s[4:5], v8, v6
	s_and_b64 s[2:3], s[2:3], s[4:5]
	s_or_b64 s[0:1], s[0:1], s[2:3]
	v_cndmask_b32_e64 v13, v9, v4, s[0:1]
	v_cndmask_b32_e64 v15, v5, v7, s[0:1]
	v_add_u32_e32 v13, 1, v13
	v_add_u32_e32 v15, -1, v15
	v_min_u32_e32 v15, v13, v15
	v_lshlrev_b32_e32 v15, 2, v15
	ds_read_b32 v15, v15
	v_cndmask_b32_e64 v4, v4, v13, s[0:1]
	v_cndmask_b32_e64 v9, v13, v9, s[0:1]
	v_cmp_gt_u32_e64 s[4:5], s22, v4
	v_cmp_le_u32_e64 s[2:3], s23, v9
	s_waitcnt lgkmcnt(0)
	v_cndmask_b32_e64 v17, v15, v8, s[0:1]
	v_cndmask_b32_e64 v15, v6, v15, s[0:1]
	v_cmp_ge_i32_e64 s[6:7], v17, v15
	s_and_b64 s[4:5], s[4:5], s[6:7]
	s_or_b64 s[2:3], s[2:3], s[4:5]
	v_cndmask_b32_e64 v13, v9, v4, s[2:3]
	v_cndmask_b32_e64 v19, v5, v7, s[2:3]
	v_add_u32_e32 v13, 1, v13
	v_add_u32_e32 v19, -1, v19
	v_min_u32_e32 v19, v13, v19
	v_lshlrev_b32_e32 v19, 2, v19
	ds_read_b32 v19, v19
	v_cndmask_b32_e64 v4, v4, v13, s[2:3]
	v_cndmask_b32_e64 v9, v13, v9, s[2:3]
	v_cmp_gt_u32_e64 s[6:7], s22, v4
	v_cmp_le_u32_e64 s[4:5], s23, v9
	s_waitcnt lgkmcnt(0)
	v_cndmask_b32_e64 v21, v19, v17, s[2:3]
	v_cndmask_b32_e64 v19, v15, v19, s[2:3]
	;; [unrolled: 17-line block ×5, first 2 shown]
	v_cmp_ge_i32_e64 s[14:15], v31, v32
	s_and_b64 s[12:13], s[12:13], s[14:15]
	s_or_b64 s[10:11], s[10:11], s[12:13]
	v_cndmask_b32_e64 v13, v9, v4, s[10:11]
	v_cndmask_b32_e64 v28, v5, v7, s[10:11]
	v_add_u32_e32 v13, 1, v13
	v_add_u32_e32 v28, -1, v28
	v_min_u32_e32 v28, v13, v28
	v_lshlrev_b32_e32 v28, 2, v28
	ds_read_b32 v28, v28
	v_cndmask_b32_e64 v4, v4, v13, s[10:11]
	v_cndmask_b32_e64 v9, v13, v9, s[10:11]
	v_cmp_gt_u32_e64 s[12:13], s22, v4
	v_cndmask_b32_e32 v2, v3, v2, vcc
	s_waitcnt lgkmcnt(0)
	v_cndmask_b32_e64 v33, v28, v31, s[10:11]
	v_cndmask_b32_e64 v34, v32, v28, s[10:11]
	v_cmp_ge_i32_e64 s[14:15], v33, v34
	v_cmp_le_u32_e32 vcc, s23, v9
	s_and_b64 s[12:13], s[12:13], s[14:15]
	s_or_b64 vcc, vcc, s[12:13]
	v_cndmask_b32_e32 v3, v9, v4, vcc
	v_cndmask_b32_e32 v13, v5, v7, vcc
	v_add_u32_e32 v35, 1, v3
	v_add_u32_e32 v3, -1, v13
	v_min_u32_e32 v3, v35, v3
	v_lshlrev_b32_e32 v3, 2, v3
	ds_read_b32 v13, v3
	v_cndmask_b32_e64 v3, v8, v6, s[0:1]
	v_cndmask_b32_e32 v4, v4, v35, vcc
	v_cndmask_b32_e64 v28, v17, v15, s[2:3]
	v_cndmask_b32_e64 v29, v21, v19, s[4:5]
	s_waitcnt lgkmcnt(0)
	v_cndmask_b32_e32 v8, v13, v33, vcc
	v_cndmask_b32_e32 v13, v34, v13, vcc
	;; [unrolled: 1-line block ×3, first 2 shown]
	v_cmp_gt_u32_e64 s[2:3], s22, v4
	v_cmp_ge_i32_e64 s[4:5], v8, v13
	v_cmp_le_u32_e64 s[0:1], s23, v9
	s_and_b64 s[2:3], s[2:3], s[4:5]
	s_or_b64 s[0:1], s[0:1], s[2:3]
	v_cndmask_b32_e64 v15, v9, v4, s[0:1]
	v_cndmask_b32_e64 v5, v5, v7, s[0:1]
	v_add_u32_e32 v15, 1, v15
	v_add_u32_e32 v5, -1, v5
	v_min_u32_e32 v5, v15, v5
	v_lshlrev_b32_e32 v5, 2, v5
	ds_read_b32 v5, v5
	v_cndmask_b32_e64 v7, v30, v27, s[8:9]
	v_cndmask_b32_e64 v30, v8, v13, s[0:1]
	;; [unrolled: 1-line block ×4, first 2 shown]
	s_waitcnt lgkmcnt(0)
	v_cndmask_b32_e64 v8, v5, v8, s[0:1]
	v_cndmask_b32_e64 v5, v13, v5, s[0:1]
	v_cmp_gt_u32_e64 s[0:1], s22, v4
	v_cmp_ge_i32_e64 s[2:3], v8, v5
	v_cndmask_b32_e32 v33, v33, v34, vcc
	v_cmp_le_u32_e32 vcc, s23, v9
	s_and_b64 s[0:1], s[0:1], s[2:3]
	s_or_b64 vcc, vcc, s[0:1]
	v_cndmask_b32_e64 v6, v25, v23, s[6:7]
	v_cndmask_b32_e64 v32, v31, v32, s[10:11]
	v_cndmask_b32_e32 v31, v8, v5, vcc
.LBB617_70:
	s_or_b64 exec, exec, s[16:17]
	s_sub_i32 s6, s21, s20
	s_mov_b32 s21, 0
	s_lshl_b64 s[0:1], s[20:21], 2
	s_add_u32 s0, s18, s0
	s_addc_u32 s1, s19, s1
	s_cmpk_gt_u32 s6, 0x9ff
	s_barrier
	ds_write2_b64 v11, v[2:3], v[28:29] offset1:1
	ds_write2_b64 v11, v[6:7], v[32:33] offset0:2 offset1:3
	ds_write_b64 v11, v[30:31] offset:32
	s_waitcnt lgkmcnt(0)
	s_cbranch_scc0 .LBB617_72
; %bb.71:
	s_movk_i32 s2, 0xffdc
	v_mad_i32_i24 v2, v0, s2, v11
	s_barrier
	ds_read2st64_b32 v[4:5], v2 offset1:4
	ds_read2st64_b32 v[6:7], v2 offset0:8 offset1:12
	ds_read2st64_b32 v[8:9], v2 offset0:16 offset1:20
	;; [unrolled: 1-line block ×4, first 2 shown]
	v_mov_b32_e32 v13, s1
	v_add_co_u32_e32 v15, vcc, s0, v1
	v_addc_co_u32_e32 v13, vcc, 0, v13, vcc
	s_movk_i32 s2, 0x1000
	s_waitcnt lgkmcnt(4)
	global_store_dword v1, v4, s[0:1]
	global_store_dword v1, v5, s[0:1] offset:1024
	s_waitcnt lgkmcnt(3)
	global_store_dword v1, v6, s[0:1] offset:2048
	global_store_dword v1, v7, s[0:1] offset:3072
	v_add_co_u32_e32 v4, vcc, s2, v15
	v_addc_co_u32_e32 v5, vcc, 0, v13, vcc
	s_waitcnt lgkmcnt(2)
	global_store_dword v[4:5], v8, off
	global_store_dword v[4:5], v9, off offset:1024
	s_waitcnt lgkmcnt(1)
	global_store_dword v[4:5], v28, off offset:2048
	global_store_dword v[4:5], v29, off offset:3072
	v_add_co_u32_e32 v4, vcc, 0x2000, v15
	v_addc_co_u32_e32 v5, vcc, 0, v13, vcc
	s_waitcnt lgkmcnt(0)
	global_store_dword v[4:5], v2, off
	s_mov_b64 s[2:3], -1
	s_cbranch_execz .LBB617_73
	s_branch .LBB617_84
.LBB617_72:
	s_mov_b64 s[2:3], 0
                                        ; implicit-def: $vgpr3
.LBB617_73:
	s_movk_i32 s2, 0xffdc
	v_mad_i32_i24 v2, v0, s2, v11
	s_barrier
	ds_read2st64_b32 v[30:31], v2 offset0:4 offset1:8
	ds_read2st64_b32 v[28:29], v2 offset0:12 offset1:16
	ds_read2st64_b32 v[8:9], v2 offset0:20 offset1:24
	ds_read2st64_b32 v[4:5], v2 offset0:28 offset1:32
	ds_read_b32 v3, v2 offset:9216
	v_mov_b32_e32 v2, s1
	v_add_co_u32_e32 v6, vcc, s0, v1
	v_addc_co_u32_e32 v7, vcc, 0, v2, vcc
	v_cmp_gt_u32_e32 vcc, s6, v0
	s_and_saveexec_b64 s[2:3], vcc
	s_cbranch_execnz .LBB617_87
; %bb.74:
	s_or_b64 exec, exec, s[2:3]
	v_cmp_gt_u32_e32 vcc, s6, v10
	s_and_saveexec_b64 s[2:3], vcc
	s_cbranch_execnz .LBB617_88
.LBB617_75:
	s_or_b64 exec, exec, s[2:3]
	v_cmp_gt_u32_e32 vcc, s6, v12
	s_and_saveexec_b64 s[2:3], vcc
	s_cbranch_execnz .LBB617_89
.LBB617_76:
	s_or_b64 exec, exec, s[2:3]
	v_cmp_gt_u32_e32 vcc, s6, v14
	s_and_saveexec_b64 s[2:3], vcc
	s_cbranch_execnz .LBB617_90
.LBB617_77:
	s_or_b64 exec, exec, s[2:3]
	v_cmp_gt_u32_e32 vcc, s6, v16
	s_and_saveexec_b64 s[2:3], vcc
	s_cbranch_execnz .LBB617_91
.LBB617_78:
	s_or_b64 exec, exec, s[2:3]
	v_cmp_gt_u32_e32 vcc, s6, v18
	s_and_saveexec_b64 s[2:3], vcc
	s_cbranch_execnz .LBB617_92
.LBB617_79:
	s_or_b64 exec, exec, s[2:3]
	v_cmp_gt_u32_e32 vcc, s6, v20
	s_and_saveexec_b64 s[2:3], vcc
	s_cbranch_execnz .LBB617_93
.LBB617_80:
	s_or_b64 exec, exec, s[2:3]
	v_cmp_gt_u32_e32 vcc, s6, v22
	s_and_saveexec_b64 s[2:3], vcc
	s_cbranch_execnz .LBB617_94
.LBB617_81:
	s_or_b64 exec, exec, s[2:3]
	v_cmp_gt_u32_e32 vcc, s6, v24
	s_and_saveexec_b64 s[2:3], vcc
	s_cbranch_execz .LBB617_83
.LBB617_82:
	v_add_co_u32_e32 v6, vcc, 0x2000, v6
	v_addc_co_u32_e32 v7, vcc, 0, v7, vcc
	s_waitcnt lgkmcnt(1)
	global_store_dword v[6:7], v5, off
.LBB617_83:
	s_or_b64 exec, exec, s[2:3]
	v_cmp_gt_u32_e64 s[2:3], s6, v26
.LBB617_84:
	s_and_saveexec_b64 s[4:5], s[2:3]
	s_cbranch_execnz .LBB617_86
; %bb.85:
	s_endpgm
.LBB617_86:
	v_mov_b32_e32 v0, s1
	v_add_co_u32_e32 v1, vcc, s0, v1
	v_addc_co_u32_e32 v2, vcc, 0, v0, vcc
	v_add_co_u32_e32 v0, vcc, 0x2000, v1
	v_addc_co_u32_e32 v1, vcc, 0, v2, vcc
	s_waitcnt lgkmcnt(0)
	global_store_dword v[0:1], v3, off offset:1024
	s_endpgm
.LBB617_87:
	v_mul_i32_i24_e32 v0, 0xffffffdc, v0
	v_add_u32_e32 v0, v11, v0
	ds_read_b32 v0, v0
	s_waitcnt lgkmcnt(0)
	global_store_dword v[6:7], v0, off
	s_or_b64 exec, exec, s[2:3]
	v_cmp_gt_u32_e32 vcc, s6, v10
	s_and_saveexec_b64 s[2:3], vcc
	s_cbranch_execz .LBB617_75
.LBB617_88:
	s_waitcnt lgkmcnt(4)
	global_store_dword v[6:7], v30, off offset:1024
	s_or_b64 exec, exec, s[2:3]
	v_cmp_gt_u32_e32 vcc, s6, v12
	s_and_saveexec_b64 s[2:3], vcc
	s_cbranch_execz .LBB617_76
.LBB617_89:
	s_waitcnt lgkmcnt(4)
	global_store_dword v[6:7], v31, off offset:2048
	s_or_b64 exec, exec, s[2:3]
	v_cmp_gt_u32_e32 vcc, s6, v14
	s_and_saveexec_b64 s[2:3], vcc
	s_cbranch_execz .LBB617_77
.LBB617_90:
	s_waitcnt lgkmcnt(3)
	global_store_dword v[6:7], v28, off offset:3072
	s_or_b64 exec, exec, s[2:3]
	v_cmp_gt_u32_e32 vcc, s6, v16
	s_and_saveexec_b64 s[2:3], vcc
	s_cbranch_execz .LBB617_78
.LBB617_91:
	v_add_co_u32_e32 v10, vcc, 0x1000, v6
	v_addc_co_u32_e32 v11, vcc, 0, v7, vcc
	s_waitcnt lgkmcnt(3)
	global_store_dword v[10:11], v29, off
	s_or_b64 exec, exec, s[2:3]
	v_cmp_gt_u32_e32 vcc, s6, v18
	s_and_saveexec_b64 s[2:3], vcc
	s_cbranch_execz .LBB617_79
.LBB617_92:
	v_add_co_u32_e32 v10, vcc, 0x1000, v6
	v_addc_co_u32_e32 v11, vcc, 0, v7, vcc
	s_waitcnt lgkmcnt(2)
	global_store_dword v[10:11], v8, off offset:1024
	s_or_b64 exec, exec, s[2:3]
	v_cmp_gt_u32_e32 vcc, s6, v20
	s_and_saveexec_b64 s[2:3], vcc
	s_cbranch_execz .LBB617_80
.LBB617_93:
	v_add_co_u32_e32 v10, vcc, 0x1000, v6
	v_addc_co_u32_e32 v11, vcc, 0, v7, vcc
	s_waitcnt lgkmcnt(2)
	global_store_dword v[10:11], v9, off offset:2048
	s_or_b64 exec, exec, s[2:3]
	v_cmp_gt_u32_e32 vcc, s6, v22
	s_and_saveexec_b64 s[2:3], vcc
	s_cbranch_execz .LBB617_81
.LBB617_94:
	s_waitcnt lgkmcnt(2)
	v_add_co_u32_e32 v8, vcc, 0x1000, v6
	v_addc_co_u32_e32 v9, vcc, 0, v7, vcc
	s_waitcnt lgkmcnt(1)
	global_store_dword v[8:9], v4, off offset:3072
	s_or_b64 exec, exec, s[2:3]
	v_cmp_gt_u32_e32 vcc, s6, v24
	s_and_saveexec_b64 s[2:3], vcc
	s_cbranch_execnz .LBB617_82
	s_branch .LBB617_83
	.section	.rodata,"a",@progbits
	.p2align	6, 0x0
	.amdhsa_kernel _ZN7rocprim17ROCPRIM_400000_NS6detail17trampoline_kernelINS0_14default_configENS1_21merge_config_selectorIiNS0_10empty_typeEEEZNS1_10merge_implIS3_N6thrust23THRUST_200600_302600_NS10device_ptrIKiEESC_NSA_IiEEPS5_SE_SE_NS9_4lessIiEEEE10hipError_tPvRmT0_T1_T2_T3_T4_T5_mmT6_P12ihipStream_tbEUlT_E0_NS1_11comp_targetILNS1_3genE4ELNS1_11target_archE910ELNS1_3gpuE8ELNS1_3repE0EEENS1_30default_config_static_selectorELNS0_4arch9wavefront6targetE1EEEvSL_
		.amdhsa_group_segment_fixed_size 10256
		.amdhsa_private_segment_fixed_size 0
		.amdhsa_kernarg_size 88
		.amdhsa_user_sgpr_count 6
		.amdhsa_user_sgpr_private_segment_buffer 1
		.amdhsa_user_sgpr_dispatch_ptr 0
		.amdhsa_user_sgpr_queue_ptr 0
		.amdhsa_user_sgpr_kernarg_segment_ptr 1
		.amdhsa_user_sgpr_dispatch_id 0
		.amdhsa_user_sgpr_flat_scratch_init 0
		.amdhsa_user_sgpr_kernarg_preload_length 0
		.amdhsa_user_sgpr_kernarg_preload_offset 0
		.amdhsa_user_sgpr_private_segment_size 0
		.amdhsa_uses_dynamic_stack 0
		.amdhsa_system_sgpr_private_segment_wavefront_offset 0
		.amdhsa_system_sgpr_workgroup_id_x 1
		.amdhsa_system_sgpr_workgroup_id_y 0
		.amdhsa_system_sgpr_workgroup_id_z 0
		.amdhsa_system_sgpr_workgroup_info 0
		.amdhsa_system_vgpr_workitem_id 0
		.amdhsa_next_free_vgpr 36
		.amdhsa_next_free_sgpr 24
		.amdhsa_accum_offset 36
		.amdhsa_reserve_vcc 1
		.amdhsa_reserve_flat_scratch 0
		.amdhsa_float_round_mode_32 0
		.amdhsa_float_round_mode_16_64 0
		.amdhsa_float_denorm_mode_32 3
		.amdhsa_float_denorm_mode_16_64 3
		.amdhsa_dx10_clamp 1
		.amdhsa_ieee_mode 1
		.amdhsa_fp16_overflow 0
		.amdhsa_tg_split 0
		.amdhsa_exception_fp_ieee_invalid_op 0
		.amdhsa_exception_fp_denorm_src 0
		.amdhsa_exception_fp_ieee_div_zero 0
		.amdhsa_exception_fp_ieee_overflow 0
		.amdhsa_exception_fp_ieee_underflow 0
		.amdhsa_exception_fp_ieee_inexact 0
		.amdhsa_exception_int_div_zero 0
	.end_amdhsa_kernel
	.section	.text._ZN7rocprim17ROCPRIM_400000_NS6detail17trampoline_kernelINS0_14default_configENS1_21merge_config_selectorIiNS0_10empty_typeEEEZNS1_10merge_implIS3_N6thrust23THRUST_200600_302600_NS10device_ptrIKiEESC_NSA_IiEEPS5_SE_SE_NS9_4lessIiEEEE10hipError_tPvRmT0_T1_T2_T3_T4_T5_mmT6_P12ihipStream_tbEUlT_E0_NS1_11comp_targetILNS1_3genE4ELNS1_11target_archE910ELNS1_3gpuE8ELNS1_3repE0EEENS1_30default_config_static_selectorELNS0_4arch9wavefront6targetE1EEEvSL_,"axG",@progbits,_ZN7rocprim17ROCPRIM_400000_NS6detail17trampoline_kernelINS0_14default_configENS1_21merge_config_selectorIiNS0_10empty_typeEEEZNS1_10merge_implIS3_N6thrust23THRUST_200600_302600_NS10device_ptrIKiEESC_NSA_IiEEPS5_SE_SE_NS9_4lessIiEEEE10hipError_tPvRmT0_T1_T2_T3_T4_T5_mmT6_P12ihipStream_tbEUlT_E0_NS1_11comp_targetILNS1_3genE4ELNS1_11target_archE910ELNS1_3gpuE8ELNS1_3repE0EEENS1_30default_config_static_selectorELNS0_4arch9wavefront6targetE1EEEvSL_,comdat
.Lfunc_end617:
	.size	_ZN7rocprim17ROCPRIM_400000_NS6detail17trampoline_kernelINS0_14default_configENS1_21merge_config_selectorIiNS0_10empty_typeEEEZNS1_10merge_implIS3_N6thrust23THRUST_200600_302600_NS10device_ptrIKiEESC_NSA_IiEEPS5_SE_SE_NS9_4lessIiEEEE10hipError_tPvRmT0_T1_T2_T3_T4_T5_mmT6_P12ihipStream_tbEUlT_E0_NS1_11comp_targetILNS1_3genE4ELNS1_11target_archE910ELNS1_3gpuE8ELNS1_3repE0EEENS1_30default_config_static_selectorELNS0_4arch9wavefront6targetE1EEEvSL_, .Lfunc_end617-_ZN7rocprim17ROCPRIM_400000_NS6detail17trampoline_kernelINS0_14default_configENS1_21merge_config_selectorIiNS0_10empty_typeEEEZNS1_10merge_implIS3_N6thrust23THRUST_200600_302600_NS10device_ptrIKiEESC_NSA_IiEEPS5_SE_SE_NS9_4lessIiEEEE10hipError_tPvRmT0_T1_T2_T3_T4_T5_mmT6_P12ihipStream_tbEUlT_E0_NS1_11comp_targetILNS1_3genE4ELNS1_11target_archE910ELNS1_3gpuE8ELNS1_3repE0EEENS1_30default_config_static_selectorELNS0_4arch9wavefront6targetE1EEEvSL_
                                        ; -- End function
	.section	.AMDGPU.csdata,"",@progbits
; Kernel info:
; codeLenInByte = 3580
; NumSgprs: 28
; NumVgprs: 36
; NumAgprs: 0
; TotalNumVgprs: 36
; ScratchSize: 0
; MemoryBound: 0
; FloatMode: 240
; IeeeMode: 1
; LDSByteSize: 10256 bytes/workgroup (compile time only)
; SGPRBlocks: 3
; VGPRBlocks: 4
; NumSGPRsForWavesPerEU: 28
; NumVGPRsForWavesPerEU: 36
; AccumOffset: 36
; Occupancy: 6
; WaveLimiterHint : 1
; COMPUTE_PGM_RSRC2:SCRATCH_EN: 0
; COMPUTE_PGM_RSRC2:USER_SGPR: 6
; COMPUTE_PGM_RSRC2:TRAP_HANDLER: 0
; COMPUTE_PGM_RSRC2:TGID_X_EN: 1
; COMPUTE_PGM_RSRC2:TGID_Y_EN: 0
; COMPUTE_PGM_RSRC2:TGID_Z_EN: 0
; COMPUTE_PGM_RSRC2:TIDIG_COMP_CNT: 0
; COMPUTE_PGM_RSRC3_GFX90A:ACCUM_OFFSET: 8
; COMPUTE_PGM_RSRC3_GFX90A:TG_SPLIT: 0
	.section	.text._ZN7rocprim17ROCPRIM_400000_NS6detail17trampoline_kernelINS0_14default_configENS1_21merge_config_selectorIiNS0_10empty_typeEEEZNS1_10merge_implIS3_N6thrust23THRUST_200600_302600_NS10device_ptrIKiEESC_NSA_IiEEPS5_SE_SE_NS9_4lessIiEEEE10hipError_tPvRmT0_T1_T2_T3_T4_T5_mmT6_P12ihipStream_tbEUlT_E0_NS1_11comp_targetILNS1_3genE3ELNS1_11target_archE908ELNS1_3gpuE7ELNS1_3repE0EEENS1_30default_config_static_selectorELNS0_4arch9wavefront6targetE1EEEvSL_,"axG",@progbits,_ZN7rocprim17ROCPRIM_400000_NS6detail17trampoline_kernelINS0_14default_configENS1_21merge_config_selectorIiNS0_10empty_typeEEEZNS1_10merge_implIS3_N6thrust23THRUST_200600_302600_NS10device_ptrIKiEESC_NSA_IiEEPS5_SE_SE_NS9_4lessIiEEEE10hipError_tPvRmT0_T1_T2_T3_T4_T5_mmT6_P12ihipStream_tbEUlT_E0_NS1_11comp_targetILNS1_3genE3ELNS1_11target_archE908ELNS1_3gpuE7ELNS1_3repE0EEENS1_30default_config_static_selectorELNS0_4arch9wavefront6targetE1EEEvSL_,comdat
	.protected	_ZN7rocprim17ROCPRIM_400000_NS6detail17trampoline_kernelINS0_14default_configENS1_21merge_config_selectorIiNS0_10empty_typeEEEZNS1_10merge_implIS3_N6thrust23THRUST_200600_302600_NS10device_ptrIKiEESC_NSA_IiEEPS5_SE_SE_NS9_4lessIiEEEE10hipError_tPvRmT0_T1_T2_T3_T4_T5_mmT6_P12ihipStream_tbEUlT_E0_NS1_11comp_targetILNS1_3genE3ELNS1_11target_archE908ELNS1_3gpuE7ELNS1_3repE0EEENS1_30default_config_static_selectorELNS0_4arch9wavefront6targetE1EEEvSL_ ; -- Begin function _ZN7rocprim17ROCPRIM_400000_NS6detail17trampoline_kernelINS0_14default_configENS1_21merge_config_selectorIiNS0_10empty_typeEEEZNS1_10merge_implIS3_N6thrust23THRUST_200600_302600_NS10device_ptrIKiEESC_NSA_IiEEPS5_SE_SE_NS9_4lessIiEEEE10hipError_tPvRmT0_T1_T2_T3_T4_T5_mmT6_P12ihipStream_tbEUlT_E0_NS1_11comp_targetILNS1_3genE3ELNS1_11target_archE908ELNS1_3gpuE7ELNS1_3repE0EEENS1_30default_config_static_selectorELNS0_4arch9wavefront6targetE1EEEvSL_
	.globl	_ZN7rocprim17ROCPRIM_400000_NS6detail17trampoline_kernelINS0_14default_configENS1_21merge_config_selectorIiNS0_10empty_typeEEEZNS1_10merge_implIS3_N6thrust23THRUST_200600_302600_NS10device_ptrIKiEESC_NSA_IiEEPS5_SE_SE_NS9_4lessIiEEEE10hipError_tPvRmT0_T1_T2_T3_T4_T5_mmT6_P12ihipStream_tbEUlT_E0_NS1_11comp_targetILNS1_3genE3ELNS1_11target_archE908ELNS1_3gpuE7ELNS1_3repE0EEENS1_30default_config_static_selectorELNS0_4arch9wavefront6targetE1EEEvSL_
	.p2align	8
	.type	_ZN7rocprim17ROCPRIM_400000_NS6detail17trampoline_kernelINS0_14default_configENS1_21merge_config_selectorIiNS0_10empty_typeEEEZNS1_10merge_implIS3_N6thrust23THRUST_200600_302600_NS10device_ptrIKiEESC_NSA_IiEEPS5_SE_SE_NS9_4lessIiEEEE10hipError_tPvRmT0_T1_T2_T3_T4_T5_mmT6_P12ihipStream_tbEUlT_E0_NS1_11comp_targetILNS1_3genE3ELNS1_11target_archE908ELNS1_3gpuE7ELNS1_3repE0EEENS1_30default_config_static_selectorELNS0_4arch9wavefront6targetE1EEEvSL_,@function
_ZN7rocprim17ROCPRIM_400000_NS6detail17trampoline_kernelINS0_14default_configENS1_21merge_config_selectorIiNS0_10empty_typeEEEZNS1_10merge_implIS3_N6thrust23THRUST_200600_302600_NS10device_ptrIKiEESC_NSA_IiEEPS5_SE_SE_NS9_4lessIiEEEE10hipError_tPvRmT0_T1_T2_T3_T4_T5_mmT6_P12ihipStream_tbEUlT_E0_NS1_11comp_targetILNS1_3genE3ELNS1_11target_archE908ELNS1_3gpuE7ELNS1_3repE0EEENS1_30default_config_static_selectorELNS0_4arch9wavefront6targetE1EEEvSL_: ; @_ZN7rocprim17ROCPRIM_400000_NS6detail17trampoline_kernelINS0_14default_configENS1_21merge_config_selectorIiNS0_10empty_typeEEEZNS1_10merge_implIS3_N6thrust23THRUST_200600_302600_NS10device_ptrIKiEESC_NSA_IiEEPS5_SE_SE_NS9_4lessIiEEEE10hipError_tPvRmT0_T1_T2_T3_T4_T5_mmT6_P12ihipStream_tbEUlT_E0_NS1_11comp_targetILNS1_3genE3ELNS1_11target_archE908ELNS1_3gpuE7ELNS1_3repE0EEENS1_30default_config_static_selectorELNS0_4arch9wavefront6targetE1EEEvSL_
; %bb.0:
	.section	.rodata,"a",@progbits
	.p2align	6, 0x0
	.amdhsa_kernel _ZN7rocprim17ROCPRIM_400000_NS6detail17trampoline_kernelINS0_14default_configENS1_21merge_config_selectorIiNS0_10empty_typeEEEZNS1_10merge_implIS3_N6thrust23THRUST_200600_302600_NS10device_ptrIKiEESC_NSA_IiEEPS5_SE_SE_NS9_4lessIiEEEE10hipError_tPvRmT0_T1_T2_T3_T4_T5_mmT6_P12ihipStream_tbEUlT_E0_NS1_11comp_targetILNS1_3genE3ELNS1_11target_archE908ELNS1_3gpuE7ELNS1_3repE0EEENS1_30default_config_static_selectorELNS0_4arch9wavefront6targetE1EEEvSL_
		.amdhsa_group_segment_fixed_size 0
		.amdhsa_private_segment_fixed_size 0
		.amdhsa_kernarg_size 88
		.amdhsa_user_sgpr_count 6
		.amdhsa_user_sgpr_private_segment_buffer 1
		.amdhsa_user_sgpr_dispatch_ptr 0
		.amdhsa_user_sgpr_queue_ptr 0
		.amdhsa_user_sgpr_kernarg_segment_ptr 1
		.amdhsa_user_sgpr_dispatch_id 0
		.amdhsa_user_sgpr_flat_scratch_init 0
		.amdhsa_user_sgpr_kernarg_preload_length 0
		.amdhsa_user_sgpr_kernarg_preload_offset 0
		.amdhsa_user_sgpr_private_segment_size 0
		.amdhsa_uses_dynamic_stack 0
		.amdhsa_system_sgpr_private_segment_wavefront_offset 0
		.amdhsa_system_sgpr_workgroup_id_x 1
		.amdhsa_system_sgpr_workgroup_id_y 0
		.amdhsa_system_sgpr_workgroup_id_z 0
		.amdhsa_system_sgpr_workgroup_info 0
		.amdhsa_system_vgpr_workitem_id 0
		.amdhsa_next_free_vgpr 1
		.amdhsa_next_free_sgpr 0
		.amdhsa_accum_offset 4
		.amdhsa_reserve_vcc 0
		.amdhsa_reserve_flat_scratch 0
		.amdhsa_float_round_mode_32 0
		.amdhsa_float_round_mode_16_64 0
		.amdhsa_float_denorm_mode_32 3
		.amdhsa_float_denorm_mode_16_64 3
		.amdhsa_dx10_clamp 1
		.amdhsa_ieee_mode 1
		.amdhsa_fp16_overflow 0
		.amdhsa_tg_split 0
		.amdhsa_exception_fp_ieee_invalid_op 0
		.amdhsa_exception_fp_denorm_src 0
		.amdhsa_exception_fp_ieee_div_zero 0
		.amdhsa_exception_fp_ieee_overflow 0
		.amdhsa_exception_fp_ieee_underflow 0
		.amdhsa_exception_fp_ieee_inexact 0
		.amdhsa_exception_int_div_zero 0
	.end_amdhsa_kernel
	.section	.text._ZN7rocprim17ROCPRIM_400000_NS6detail17trampoline_kernelINS0_14default_configENS1_21merge_config_selectorIiNS0_10empty_typeEEEZNS1_10merge_implIS3_N6thrust23THRUST_200600_302600_NS10device_ptrIKiEESC_NSA_IiEEPS5_SE_SE_NS9_4lessIiEEEE10hipError_tPvRmT0_T1_T2_T3_T4_T5_mmT6_P12ihipStream_tbEUlT_E0_NS1_11comp_targetILNS1_3genE3ELNS1_11target_archE908ELNS1_3gpuE7ELNS1_3repE0EEENS1_30default_config_static_selectorELNS0_4arch9wavefront6targetE1EEEvSL_,"axG",@progbits,_ZN7rocprim17ROCPRIM_400000_NS6detail17trampoline_kernelINS0_14default_configENS1_21merge_config_selectorIiNS0_10empty_typeEEEZNS1_10merge_implIS3_N6thrust23THRUST_200600_302600_NS10device_ptrIKiEESC_NSA_IiEEPS5_SE_SE_NS9_4lessIiEEEE10hipError_tPvRmT0_T1_T2_T3_T4_T5_mmT6_P12ihipStream_tbEUlT_E0_NS1_11comp_targetILNS1_3genE3ELNS1_11target_archE908ELNS1_3gpuE7ELNS1_3repE0EEENS1_30default_config_static_selectorELNS0_4arch9wavefront6targetE1EEEvSL_,comdat
.Lfunc_end618:
	.size	_ZN7rocprim17ROCPRIM_400000_NS6detail17trampoline_kernelINS0_14default_configENS1_21merge_config_selectorIiNS0_10empty_typeEEEZNS1_10merge_implIS3_N6thrust23THRUST_200600_302600_NS10device_ptrIKiEESC_NSA_IiEEPS5_SE_SE_NS9_4lessIiEEEE10hipError_tPvRmT0_T1_T2_T3_T4_T5_mmT6_P12ihipStream_tbEUlT_E0_NS1_11comp_targetILNS1_3genE3ELNS1_11target_archE908ELNS1_3gpuE7ELNS1_3repE0EEENS1_30default_config_static_selectorELNS0_4arch9wavefront6targetE1EEEvSL_, .Lfunc_end618-_ZN7rocprim17ROCPRIM_400000_NS6detail17trampoline_kernelINS0_14default_configENS1_21merge_config_selectorIiNS0_10empty_typeEEEZNS1_10merge_implIS3_N6thrust23THRUST_200600_302600_NS10device_ptrIKiEESC_NSA_IiEEPS5_SE_SE_NS9_4lessIiEEEE10hipError_tPvRmT0_T1_T2_T3_T4_T5_mmT6_P12ihipStream_tbEUlT_E0_NS1_11comp_targetILNS1_3genE3ELNS1_11target_archE908ELNS1_3gpuE7ELNS1_3repE0EEENS1_30default_config_static_selectorELNS0_4arch9wavefront6targetE1EEEvSL_
                                        ; -- End function
	.section	.AMDGPU.csdata,"",@progbits
; Kernel info:
; codeLenInByte = 0
; NumSgprs: 4
; NumVgprs: 0
; NumAgprs: 0
; TotalNumVgprs: 0
; ScratchSize: 0
; MemoryBound: 0
; FloatMode: 240
; IeeeMode: 1
; LDSByteSize: 0 bytes/workgroup (compile time only)
; SGPRBlocks: 0
; VGPRBlocks: 0
; NumSGPRsForWavesPerEU: 4
; NumVGPRsForWavesPerEU: 1
; AccumOffset: 4
; Occupancy: 8
; WaveLimiterHint : 0
; COMPUTE_PGM_RSRC2:SCRATCH_EN: 0
; COMPUTE_PGM_RSRC2:USER_SGPR: 6
; COMPUTE_PGM_RSRC2:TRAP_HANDLER: 0
; COMPUTE_PGM_RSRC2:TGID_X_EN: 1
; COMPUTE_PGM_RSRC2:TGID_Y_EN: 0
; COMPUTE_PGM_RSRC2:TGID_Z_EN: 0
; COMPUTE_PGM_RSRC2:TIDIG_COMP_CNT: 0
; COMPUTE_PGM_RSRC3_GFX90A:ACCUM_OFFSET: 0
; COMPUTE_PGM_RSRC3_GFX90A:TG_SPLIT: 0
	.section	.text._ZN7rocprim17ROCPRIM_400000_NS6detail17trampoline_kernelINS0_14default_configENS1_21merge_config_selectorIiNS0_10empty_typeEEEZNS1_10merge_implIS3_N6thrust23THRUST_200600_302600_NS10device_ptrIKiEESC_NSA_IiEEPS5_SE_SE_NS9_4lessIiEEEE10hipError_tPvRmT0_T1_T2_T3_T4_T5_mmT6_P12ihipStream_tbEUlT_E0_NS1_11comp_targetILNS1_3genE2ELNS1_11target_archE906ELNS1_3gpuE6ELNS1_3repE0EEENS1_30default_config_static_selectorELNS0_4arch9wavefront6targetE1EEEvSL_,"axG",@progbits,_ZN7rocprim17ROCPRIM_400000_NS6detail17trampoline_kernelINS0_14default_configENS1_21merge_config_selectorIiNS0_10empty_typeEEEZNS1_10merge_implIS3_N6thrust23THRUST_200600_302600_NS10device_ptrIKiEESC_NSA_IiEEPS5_SE_SE_NS9_4lessIiEEEE10hipError_tPvRmT0_T1_T2_T3_T4_T5_mmT6_P12ihipStream_tbEUlT_E0_NS1_11comp_targetILNS1_3genE2ELNS1_11target_archE906ELNS1_3gpuE6ELNS1_3repE0EEENS1_30default_config_static_selectorELNS0_4arch9wavefront6targetE1EEEvSL_,comdat
	.protected	_ZN7rocprim17ROCPRIM_400000_NS6detail17trampoline_kernelINS0_14default_configENS1_21merge_config_selectorIiNS0_10empty_typeEEEZNS1_10merge_implIS3_N6thrust23THRUST_200600_302600_NS10device_ptrIKiEESC_NSA_IiEEPS5_SE_SE_NS9_4lessIiEEEE10hipError_tPvRmT0_T1_T2_T3_T4_T5_mmT6_P12ihipStream_tbEUlT_E0_NS1_11comp_targetILNS1_3genE2ELNS1_11target_archE906ELNS1_3gpuE6ELNS1_3repE0EEENS1_30default_config_static_selectorELNS0_4arch9wavefront6targetE1EEEvSL_ ; -- Begin function _ZN7rocprim17ROCPRIM_400000_NS6detail17trampoline_kernelINS0_14default_configENS1_21merge_config_selectorIiNS0_10empty_typeEEEZNS1_10merge_implIS3_N6thrust23THRUST_200600_302600_NS10device_ptrIKiEESC_NSA_IiEEPS5_SE_SE_NS9_4lessIiEEEE10hipError_tPvRmT0_T1_T2_T3_T4_T5_mmT6_P12ihipStream_tbEUlT_E0_NS1_11comp_targetILNS1_3genE2ELNS1_11target_archE906ELNS1_3gpuE6ELNS1_3repE0EEENS1_30default_config_static_selectorELNS0_4arch9wavefront6targetE1EEEvSL_
	.globl	_ZN7rocprim17ROCPRIM_400000_NS6detail17trampoline_kernelINS0_14default_configENS1_21merge_config_selectorIiNS0_10empty_typeEEEZNS1_10merge_implIS3_N6thrust23THRUST_200600_302600_NS10device_ptrIKiEESC_NSA_IiEEPS5_SE_SE_NS9_4lessIiEEEE10hipError_tPvRmT0_T1_T2_T3_T4_T5_mmT6_P12ihipStream_tbEUlT_E0_NS1_11comp_targetILNS1_3genE2ELNS1_11target_archE906ELNS1_3gpuE6ELNS1_3repE0EEENS1_30default_config_static_selectorELNS0_4arch9wavefront6targetE1EEEvSL_
	.p2align	8
	.type	_ZN7rocprim17ROCPRIM_400000_NS6detail17trampoline_kernelINS0_14default_configENS1_21merge_config_selectorIiNS0_10empty_typeEEEZNS1_10merge_implIS3_N6thrust23THRUST_200600_302600_NS10device_ptrIKiEESC_NSA_IiEEPS5_SE_SE_NS9_4lessIiEEEE10hipError_tPvRmT0_T1_T2_T3_T4_T5_mmT6_P12ihipStream_tbEUlT_E0_NS1_11comp_targetILNS1_3genE2ELNS1_11target_archE906ELNS1_3gpuE6ELNS1_3repE0EEENS1_30default_config_static_selectorELNS0_4arch9wavefront6targetE1EEEvSL_,@function
_ZN7rocprim17ROCPRIM_400000_NS6detail17trampoline_kernelINS0_14default_configENS1_21merge_config_selectorIiNS0_10empty_typeEEEZNS1_10merge_implIS3_N6thrust23THRUST_200600_302600_NS10device_ptrIKiEESC_NSA_IiEEPS5_SE_SE_NS9_4lessIiEEEE10hipError_tPvRmT0_T1_T2_T3_T4_T5_mmT6_P12ihipStream_tbEUlT_E0_NS1_11comp_targetILNS1_3genE2ELNS1_11target_archE906ELNS1_3gpuE6ELNS1_3repE0EEENS1_30default_config_static_selectorELNS0_4arch9wavefront6targetE1EEEvSL_: ; @_ZN7rocprim17ROCPRIM_400000_NS6detail17trampoline_kernelINS0_14default_configENS1_21merge_config_selectorIiNS0_10empty_typeEEEZNS1_10merge_implIS3_N6thrust23THRUST_200600_302600_NS10device_ptrIKiEESC_NSA_IiEEPS5_SE_SE_NS9_4lessIiEEEE10hipError_tPvRmT0_T1_T2_T3_T4_T5_mmT6_P12ihipStream_tbEUlT_E0_NS1_11comp_targetILNS1_3genE2ELNS1_11target_archE906ELNS1_3gpuE6ELNS1_3repE0EEENS1_30default_config_static_selectorELNS0_4arch9wavefront6targetE1EEEvSL_
; %bb.0:
	.section	.rodata,"a",@progbits
	.p2align	6, 0x0
	.amdhsa_kernel _ZN7rocprim17ROCPRIM_400000_NS6detail17trampoline_kernelINS0_14default_configENS1_21merge_config_selectorIiNS0_10empty_typeEEEZNS1_10merge_implIS3_N6thrust23THRUST_200600_302600_NS10device_ptrIKiEESC_NSA_IiEEPS5_SE_SE_NS9_4lessIiEEEE10hipError_tPvRmT0_T1_T2_T3_T4_T5_mmT6_P12ihipStream_tbEUlT_E0_NS1_11comp_targetILNS1_3genE2ELNS1_11target_archE906ELNS1_3gpuE6ELNS1_3repE0EEENS1_30default_config_static_selectorELNS0_4arch9wavefront6targetE1EEEvSL_
		.amdhsa_group_segment_fixed_size 0
		.amdhsa_private_segment_fixed_size 0
		.amdhsa_kernarg_size 88
		.amdhsa_user_sgpr_count 6
		.amdhsa_user_sgpr_private_segment_buffer 1
		.amdhsa_user_sgpr_dispatch_ptr 0
		.amdhsa_user_sgpr_queue_ptr 0
		.amdhsa_user_sgpr_kernarg_segment_ptr 1
		.amdhsa_user_sgpr_dispatch_id 0
		.amdhsa_user_sgpr_flat_scratch_init 0
		.amdhsa_user_sgpr_kernarg_preload_length 0
		.amdhsa_user_sgpr_kernarg_preload_offset 0
		.amdhsa_user_sgpr_private_segment_size 0
		.amdhsa_uses_dynamic_stack 0
		.amdhsa_system_sgpr_private_segment_wavefront_offset 0
		.amdhsa_system_sgpr_workgroup_id_x 1
		.amdhsa_system_sgpr_workgroup_id_y 0
		.amdhsa_system_sgpr_workgroup_id_z 0
		.amdhsa_system_sgpr_workgroup_info 0
		.amdhsa_system_vgpr_workitem_id 0
		.amdhsa_next_free_vgpr 1
		.amdhsa_next_free_sgpr 0
		.amdhsa_accum_offset 4
		.amdhsa_reserve_vcc 0
		.amdhsa_reserve_flat_scratch 0
		.amdhsa_float_round_mode_32 0
		.amdhsa_float_round_mode_16_64 0
		.amdhsa_float_denorm_mode_32 3
		.amdhsa_float_denorm_mode_16_64 3
		.amdhsa_dx10_clamp 1
		.amdhsa_ieee_mode 1
		.amdhsa_fp16_overflow 0
		.amdhsa_tg_split 0
		.amdhsa_exception_fp_ieee_invalid_op 0
		.amdhsa_exception_fp_denorm_src 0
		.amdhsa_exception_fp_ieee_div_zero 0
		.amdhsa_exception_fp_ieee_overflow 0
		.amdhsa_exception_fp_ieee_underflow 0
		.amdhsa_exception_fp_ieee_inexact 0
		.amdhsa_exception_int_div_zero 0
	.end_amdhsa_kernel
	.section	.text._ZN7rocprim17ROCPRIM_400000_NS6detail17trampoline_kernelINS0_14default_configENS1_21merge_config_selectorIiNS0_10empty_typeEEEZNS1_10merge_implIS3_N6thrust23THRUST_200600_302600_NS10device_ptrIKiEESC_NSA_IiEEPS5_SE_SE_NS9_4lessIiEEEE10hipError_tPvRmT0_T1_T2_T3_T4_T5_mmT6_P12ihipStream_tbEUlT_E0_NS1_11comp_targetILNS1_3genE2ELNS1_11target_archE906ELNS1_3gpuE6ELNS1_3repE0EEENS1_30default_config_static_selectorELNS0_4arch9wavefront6targetE1EEEvSL_,"axG",@progbits,_ZN7rocprim17ROCPRIM_400000_NS6detail17trampoline_kernelINS0_14default_configENS1_21merge_config_selectorIiNS0_10empty_typeEEEZNS1_10merge_implIS3_N6thrust23THRUST_200600_302600_NS10device_ptrIKiEESC_NSA_IiEEPS5_SE_SE_NS9_4lessIiEEEE10hipError_tPvRmT0_T1_T2_T3_T4_T5_mmT6_P12ihipStream_tbEUlT_E0_NS1_11comp_targetILNS1_3genE2ELNS1_11target_archE906ELNS1_3gpuE6ELNS1_3repE0EEENS1_30default_config_static_selectorELNS0_4arch9wavefront6targetE1EEEvSL_,comdat
.Lfunc_end619:
	.size	_ZN7rocprim17ROCPRIM_400000_NS6detail17trampoline_kernelINS0_14default_configENS1_21merge_config_selectorIiNS0_10empty_typeEEEZNS1_10merge_implIS3_N6thrust23THRUST_200600_302600_NS10device_ptrIKiEESC_NSA_IiEEPS5_SE_SE_NS9_4lessIiEEEE10hipError_tPvRmT0_T1_T2_T3_T4_T5_mmT6_P12ihipStream_tbEUlT_E0_NS1_11comp_targetILNS1_3genE2ELNS1_11target_archE906ELNS1_3gpuE6ELNS1_3repE0EEENS1_30default_config_static_selectorELNS0_4arch9wavefront6targetE1EEEvSL_, .Lfunc_end619-_ZN7rocprim17ROCPRIM_400000_NS6detail17trampoline_kernelINS0_14default_configENS1_21merge_config_selectorIiNS0_10empty_typeEEEZNS1_10merge_implIS3_N6thrust23THRUST_200600_302600_NS10device_ptrIKiEESC_NSA_IiEEPS5_SE_SE_NS9_4lessIiEEEE10hipError_tPvRmT0_T1_T2_T3_T4_T5_mmT6_P12ihipStream_tbEUlT_E0_NS1_11comp_targetILNS1_3genE2ELNS1_11target_archE906ELNS1_3gpuE6ELNS1_3repE0EEENS1_30default_config_static_selectorELNS0_4arch9wavefront6targetE1EEEvSL_
                                        ; -- End function
	.section	.AMDGPU.csdata,"",@progbits
; Kernel info:
; codeLenInByte = 0
; NumSgprs: 4
; NumVgprs: 0
; NumAgprs: 0
; TotalNumVgprs: 0
; ScratchSize: 0
; MemoryBound: 0
; FloatMode: 240
; IeeeMode: 1
; LDSByteSize: 0 bytes/workgroup (compile time only)
; SGPRBlocks: 0
; VGPRBlocks: 0
; NumSGPRsForWavesPerEU: 4
; NumVGPRsForWavesPerEU: 1
; AccumOffset: 4
; Occupancy: 8
; WaveLimiterHint : 0
; COMPUTE_PGM_RSRC2:SCRATCH_EN: 0
; COMPUTE_PGM_RSRC2:USER_SGPR: 6
; COMPUTE_PGM_RSRC2:TRAP_HANDLER: 0
; COMPUTE_PGM_RSRC2:TGID_X_EN: 1
; COMPUTE_PGM_RSRC2:TGID_Y_EN: 0
; COMPUTE_PGM_RSRC2:TGID_Z_EN: 0
; COMPUTE_PGM_RSRC2:TIDIG_COMP_CNT: 0
; COMPUTE_PGM_RSRC3_GFX90A:ACCUM_OFFSET: 0
; COMPUTE_PGM_RSRC3_GFX90A:TG_SPLIT: 0
	.section	.text._ZN7rocprim17ROCPRIM_400000_NS6detail17trampoline_kernelINS0_14default_configENS1_21merge_config_selectorIiNS0_10empty_typeEEEZNS1_10merge_implIS3_N6thrust23THRUST_200600_302600_NS10device_ptrIKiEESC_NSA_IiEEPS5_SE_SE_NS9_4lessIiEEEE10hipError_tPvRmT0_T1_T2_T3_T4_T5_mmT6_P12ihipStream_tbEUlT_E0_NS1_11comp_targetILNS1_3genE10ELNS1_11target_archE1201ELNS1_3gpuE5ELNS1_3repE0EEENS1_30default_config_static_selectorELNS0_4arch9wavefront6targetE1EEEvSL_,"axG",@progbits,_ZN7rocprim17ROCPRIM_400000_NS6detail17trampoline_kernelINS0_14default_configENS1_21merge_config_selectorIiNS0_10empty_typeEEEZNS1_10merge_implIS3_N6thrust23THRUST_200600_302600_NS10device_ptrIKiEESC_NSA_IiEEPS5_SE_SE_NS9_4lessIiEEEE10hipError_tPvRmT0_T1_T2_T3_T4_T5_mmT6_P12ihipStream_tbEUlT_E0_NS1_11comp_targetILNS1_3genE10ELNS1_11target_archE1201ELNS1_3gpuE5ELNS1_3repE0EEENS1_30default_config_static_selectorELNS0_4arch9wavefront6targetE1EEEvSL_,comdat
	.protected	_ZN7rocprim17ROCPRIM_400000_NS6detail17trampoline_kernelINS0_14default_configENS1_21merge_config_selectorIiNS0_10empty_typeEEEZNS1_10merge_implIS3_N6thrust23THRUST_200600_302600_NS10device_ptrIKiEESC_NSA_IiEEPS5_SE_SE_NS9_4lessIiEEEE10hipError_tPvRmT0_T1_T2_T3_T4_T5_mmT6_P12ihipStream_tbEUlT_E0_NS1_11comp_targetILNS1_3genE10ELNS1_11target_archE1201ELNS1_3gpuE5ELNS1_3repE0EEENS1_30default_config_static_selectorELNS0_4arch9wavefront6targetE1EEEvSL_ ; -- Begin function _ZN7rocprim17ROCPRIM_400000_NS6detail17trampoline_kernelINS0_14default_configENS1_21merge_config_selectorIiNS0_10empty_typeEEEZNS1_10merge_implIS3_N6thrust23THRUST_200600_302600_NS10device_ptrIKiEESC_NSA_IiEEPS5_SE_SE_NS9_4lessIiEEEE10hipError_tPvRmT0_T1_T2_T3_T4_T5_mmT6_P12ihipStream_tbEUlT_E0_NS1_11comp_targetILNS1_3genE10ELNS1_11target_archE1201ELNS1_3gpuE5ELNS1_3repE0EEENS1_30default_config_static_selectorELNS0_4arch9wavefront6targetE1EEEvSL_
	.globl	_ZN7rocprim17ROCPRIM_400000_NS6detail17trampoline_kernelINS0_14default_configENS1_21merge_config_selectorIiNS0_10empty_typeEEEZNS1_10merge_implIS3_N6thrust23THRUST_200600_302600_NS10device_ptrIKiEESC_NSA_IiEEPS5_SE_SE_NS9_4lessIiEEEE10hipError_tPvRmT0_T1_T2_T3_T4_T5_mmT6_P12ihipStream_tbEUlT_E0_NS1_11comp_targetILNS1_3genE10ELNS1_11target_archE1201ELNS1_3gpuE5ELNS1_3repE0EEENS1_30default_config_static_selectorELNS0_4arch9wavefront6targetE1EEEvSL_
	.p2align	8
	.type	_ZN7rocprim17ROCPRIM_400000_NS6detail17trampoline_kernelINS0_14default_configENS1_21merge_config_selectorIiNS0_10empty_typeEEEZNS1_10merge_implIS3_N6thrust23THRUST_200600_302600_NS10device_ptrIKiEESC_NSA_IiEEPS5_SE_SE_NS9_4lessIiEEEE10hipError_tPvRmT0_T1_T2_T3_T4_T5_mmT6_P12ihipStream_tbEUlT_E0_NS1_11comp_targetILNS1_3genE10ELNS1_11target_archE1201ELNS1_3gpuE5ELNS1_3repE0EEENS1_30default_config_static_selectorELNS0_4arch9wavefront6targetE1EEEvSL_,@function
_ZN7rocprim17ROCPRIM_400000_NS6detail17trampoline_kernelINS0_14default_configENS1_21merge_config_selectorIiNS0_10empty_typeEEEZNS1_10merge_implIS3_N6thrust23THRUST_200600_302600_NS10device_ptrIKiEESC_NSA_IiEEPS5_SE_SE_NS9_4lessIiEEEE10hipError_tPvRmT0_T1_T2_T3_T4_T5_mmT6_P12ihipStream_tbEUlT_E0_NS1_11comp_targetILNS1_3genE10ELNS1_11target_archE1201ELNS1_3gpuE5ELNS1_3repE0EEENS1_30default_config_static_selectorELNS0_4arch9wavefront6targetE1EEEvSL_: ; @_ZN7rocprim17ROCPRIM_400000_NS6detail17trampoline_kernelINS0_14default_configENS1_21merge_config_selectorIiNS0_10empty_typeEEEZNS1_10merge_implIS3_N6thrust23THRUST_200600_302600_NS10device_ptrIKiEESC_NSA_IiEEPS5_SE_SE_NS9_4lessIiEEEE10hipError_tPvRmT0_T1_T2_T3_T4_T5_mmT6_P12ihipStream_tbEUlT_E0_NS1_11comp_targetILNS1_3genE10ELNS1_11target_archE1201ELNS1_3gpuE5ELNS1_3repE0EEENS1_30default_config_static_selectorELNS0_4arch9wavefront6targetE1EEEvSL_
; %bb.0:
	.section	.rodata,"a",@progbits
	.p2align	6, 0x0
	.amdhsa_kernel _ZN7rocprim17ROCPRIM_400000_NS6detail17trampoline_kernelINS0_14default_configENS1_21merge_config_selectorIiNS0_10empty_typeEEEZNS1_10merge_implIS3_N6thrust23THRUST_200600_302600_NS10device_ptrIKiEESC_NSA_IiEEPS5_SE_SE_NS9_4lessIiEEEE10hipError_tPvRmT0_T1_T2_T3_T4_T5_mmT6_P12ihipStream_tbEUlT_E0_NS1_11comp_targetILNS1_3genE10ELNS1_11target_archE1201ELNS1_3gpuE5ELNS1_3repE0EEENS1_30default_config_static_selectorELNS0_4arch9wavefront6targetE1EEEvSL_
		.amdhsa_group_segment_fixed_size 0
		.amdhsa_private_segment_fixed_size 0
		.amdhsa_kernarg_size 88
		.amdhsa_user_sgpr_count 6
		.amdhsa_user_sgpr_private_segment_buffer 1
		.amdhsa_user_sgpr_dispatch_ptr 0
		.amdhsa_user_sgpr_queue_ptr 0
		.amdhsa_user_sgpr_kernarg_segment_ptr 1
		.amdhsa_user_sgpr_dispatch_id 0
		.amdhsa_user_sgpr_flat_scratch_init 0
		.amdhsa_user_sgpr_kernarg_preload_length 0
		.amdhsa_user_sgpr_kernarg_preload_offset 0
		.amdhsa_user_sgpr_private_segment_size 0
		.amdhsa_uses_dynamic_stack 0
		.amdhsa_system_sgpr_private_segment_wavefront_offset 0
		.amdhsa_system_sgpr_workgroup_id_x 1
		.amdhsa_system_sgpr_workgroup_id_y 0
		.amdhsa_system_sgpr_workgroup_id_z 0
		.amdhsa_system_sgpr_workgroup_info 0
		.amdhsa_system_vgpr_workitem_id 0
		.amdhsa_next_free_vgpr 1
		.amdhsa_next_free_sgpr 0
		.amdhsa_accum_offset 4
		.amdhsa_reserve_vcc 0
		.amdhsa_reserve_flat_scratch 0
		.amdhsa_float_round_mode_32 0
		.amdhsa_float_round_mode_16_64 0
		.amdhsa_float_denorm_mode_32 3
		.amdhsa_float_denorm_mode_16_64 3
		.amdhsa_dx10_clamp 1
		.amdhsa_ieee_mode 1
		.amdhsa_fp16_overflow 0
		.amdhsa_tg_split 0
		.amdhsa_exception_fp_ieee_invalid_op 0
		.amdhsa_exception_fp_denorm_src 0
		.amdhsa_exception_fp_ieee_div_zero 0
		.amdhsa_exception_fp_ieee_overflow 0
		.amdhsa_exception_fp_ieee_underflow 0
		.amdhsa_exception_fp_ieee_inexact 0
		.amdhsa_exception_int_div_zero 0
	.end_amdhsa_kernel
	.section	.text._ZN7rocprim17ROCPRIM_400000_NS6detail17trampoline_kernelINS0_14default_configENS1_21merge_config_selectorIiNS0_10empty_typeEEEZNS1_10merge_implIS3_N6thrust23THRUST_200600_302600_NS10device_ptrIKiEESC_NSA_IiEEPS5_SE_SE_NS9_4lessIiEEEE10hipError_tPvRmT0_T1_T2_T3_T4_T5_mmT6_P12ihipStream_tbEUlT_E0_NS1_11comp_targetILNS1_3genE10ELNS1_11target_archE1201ELNS1_3gpuE5ELNS1_3repE0EEENS1_30default_config_static_selectorELNS0_4arch9wavefront6targetE1EEEvSL_,"axG",@progbits,_ZN7rocprim17ROCPRIM_400000_NS6detail17trampoline_kernelINS0_14default_configENS1_21merge_config_selectorIiNS0_10empty_typeEEEZNS1_10merge_implIS3_N6thrust23THRUST_200600_302600_NS10device_ptrIKiEESC_NSA_IiEEPS5_SE_SE_NS9_4lessIiEEEE10hipError_tPvRmT0_T1_T2_T3_T4_T5_mmT6_P12ihipStream_tbEUlT_E0_NS1_11comp_targetILNS1_3genE10ELNS1_11target_archE1201ELNS1_3gpuE5ELNS1_3repE0EEENS1_30default_config_static_selectorELNS0_4arch9wavefront6targetE1EEEvSL_,comdat
.Lfunc_end620:
	.size	_ZN7rocprim17ROCPRIM_400000_NS6detail17trampoline_kernelINS0_14default_configENS1_21merge_config_selectorIiNS0_10empty_typeEEEZNS1_10merge_implIS3_N6thrust23THRUST_200600_302600_NS10device_ptrIKiEESC_NSA_IiEEPS5_SE_SE_NS9_4lessIiEEEE10hipError_tPvRmT0_T1_T2_T3_T4_T5_mmT6_P12ihipStream_tbEUlT_E0_NS1_11comp_targetILNS1_3genE10ELNS1_11target_archE1201ELNS1_3gpuE5ELNS1_3repE0EEENS1_30default_config_static_selectorELNS0_4arch9wavefront6targetE1EEEvSL_, .Lfunc_end620-_ZN7rocprim17ROCPRIM_400000_NS6detail17trampoline_kernelINS0_14default_configENS1_21merge_config_selectorIiNS0_10empty_typeEEEZNS1_10merge_implIS3_N6thrust23THRUST_200600_302600_NS10device_ptrIKiEESC_NSA_IiEEPS5_SE_SE_NS9_4lessIiEEEE10hipError_tPvRmT0_T1_T2_T3_T4_T5_mmT6_P12ihipStream_tbEUlT_E0_NS1_11comp_targetILNS1_3genE10ELNS1_11target_archE1201ELNS1_3gpuE5ELNS1_3repE0EEENS1_30default_config_static_selectorELNS0_4arch9wavefront6targetE1EEEvSL_
                                        ; -- End function
	.section	.AMDGPU.csdata,"",@progbits
; Kernel info:
; codeLenInByte = 0
; NumSgprs: 4
; NumVgprs: 0
; NumAgprs: 0
; TotalNumVgprs: 0
; ScratchSize: 0
; MemoryBound: 0
; FloatMode: 240
; IeeeMode: 1
; LDSByteSize: 0 bytes/workgroup (compile time only)
; SGPRBlocks: 0
; VGPRBlocks: 0
; NumSGPRsForWavesPerEU: 4
; NumVGPRsForWavesPerEU: 1
; AccumOffset: 4
; Occupancy: 8
; WaveLimiterHint : 0
; COMPUTE_PGM_RSRC2:SCRATCH_EN: 0
; COMPUTE_PGM_RSRC2:USER_SGPR: 6
; COMPUTE_PGM_RSRC2:TRAP_HANDLER: 0
; COMPUTE_PGM_RSRC2:TGID_X_EN: 1
; COMPUTE_PGM_RSRC2:TGID_Y_EN: 0
; COMPUTE_PGM_RSRC2:TGID_Z_EN: 0
; COMPUTE_PGM_RSRC2:TIDIG_COMP_CNT: 0
; COMPUTE_PGM_RSRC3_GFX90A:ACCUM_OFFSET: 0
; COMPUTE_PGM_RSRC3_GFX90A:TG_SPLIT: 0
	.section	.text._ZN7rocprim17ROCPRIM_400000_NS6detail17trampoline_kernelINS0_14default_configENS1_21merge_config_selectorIiNS0_10empty_typeEEEZNS1_10merge_implIS3_N6thrust23THRUST_200600_302600_NS10device_ptrIKiEESC_NSA_IiEEPS5_SE_SE_NS9_4lessIiEEEE10hipError_tPvRmT0_T1_T2_T3_T4_T5_mmT6_P12ihipStream_tbEUlT_E0_NS1_11comp_targetILNS1_3genE10ELNS1_11target_archE1200ELNS1_3gpuE4ELNS1_3repE0EEENS1_30default_config_static_selectorELNS0_4arch9wavefront6targetE1EEEvSL_,"axG",@progbits,_ZN7rocprim17ROCPRIM_400000_NS6detail17trampoline_kernelINS0_14default_configENS1_21merge_config_selectorIiNS0_10empty_typeEEEZNS1_10merge_implIS3_N6thrust23THRUST_200600_302600_NS10device_ptrIKiEESC_NSA_IiEEPS5_SE_SE_NS9_4lessIiEEEE10hipError_tPvRmT0_T1_T2_T3_T4_T5_mmT6_P12ihipStream_tbEUlT_E0_NS1_11comp_targetILNS1_3genE10ELNS1_11target_archE1200ELNS1_3gpuE4ELNS1_3repE0EEENS1_30default_config_static_selectorELNS0_4arch9wavefront6targetE1EEEvSL_,comdat
	.protected	_ZN7rocprim17ROCPRIM_400000_NS6detail17trampoline_kernelINS0_14default_configENS1_21merge_config_selectorIiNS0_10empty_typeEEEZNS1_10merge_implIS3_N6thrust23THRUST_200600_302600_NS10device_ptrIKiEESC_NSA_IiEEPS5_SE_SE_NS9_4lessIiEEEE10hipError_tPvRmT0_T1_T2_T3_T4_T5_mmT6_P12ihipStream_tbEUlT_E0_NS1_11comp_targetILNS1_3genE10ELNS1_11target_archE1200ELNS1_3gpuE4ELNS1_3repE0EEENS1_30default_config_static_selectorELNS0_4arch9wavefront6targetE1EEEvSL_ ; -- Begin function _ZN7rocprim17ROCPRIM_400000_NS6detail17trampoline_kernelINS0_14default_configENS1_21merge_config_selectorIiNS0_10empty_typeEEEZNS1_10merge_implIS3_N6thrust23THRUST_200600_302600_NS10device_ptrIKiEESC_NSA_IiEEPS5_SE_SE_NS9_4lessIiEEEE10hipError_tPvRmT0_T1_T2_T3_T4_T5_mmT6_P12ihipStream_tbEUlT_E0_NS1_11comp_targetILNS1_3genE10ELNS1_11target_archE1200ELNS1_3gpuE4ELNS1_3repE0EEENS1_30default_config_static_selectorELNS0_4arch9wavefront6targetE1EEEvSL_
	.globl	_ZN7rocprim17ROCPRIM_400000_NS6detail17trampoline_kernelINS0_14default_configENS1_21merge_config_selectorIiNS0_10empty_typeEEEZNS1_10merge_implIS3_N6thrust23THRUST_200600_302600_NS10device_ptrIKiEESC_NSA_IiEEPS5_SE_SE_NS9_4lessIiEEEE10hipError_tPvRmT0_T1_T2_T3_T4_T5_mmT6_P12ihipStream_tbEUlT_E0_NS1_11comp_targetILNS1_3genE10ELNS1_11target_archE1200ELNS1_3gpuE4ELNS1_3repE0EEENS1_30default_config_static_selectorELNS0_4arch9wavefront6targetE1EEEvSL_
	.p2align	8
	.type	_ZN7rocprim17ROCPRIM_400000_NS6detail17trampoline_kernelINS0_14default_configENS1_21merge_config_selectorIiNS0_10empty_typeEEEZNS1_10merge_implIS3_N6thrust23THRUST_200600_302600_NS10device_ptrIKiEESC_NSA_IiEEPS5_SE_SE_NS9_4lessIiEEEE10hipError_tPvRmT0_T1_T2_T3_T4_T5_mmT6_P12ihipStream_tbEUlT_E0_NS1_11comp_targetILNS1_3genE10ELNS1_11target_archE1200ELNS1_3gpuE4ELNS1_3repE0EEENS1_30default_config_static_selectorELNS0_4arch9wavefront6targetE1EEEvSL_,@function
_ZN7rocprim17ROCPRIM_400000_NS6detail17trampoline_kernelINS0_14default_configENS1_21merge_config_selectorIiNS0_10empty_typeEEEZNS1_10merge_implIS3_N6thrust23THRUST_200600_302600_NS10device_ptrIKiEESC_NSA_IiEEPS5_SE_SE_NS9_4lessIiEEEE10hipError_tPvRmT0_T1_T2_T3_T4_T5_mmT6_P12ihipStream_tbEUlT_E0_NS1_11comp_targetILNS1_3genE10ELNS1_11target_archE1200ELNS1_3gpuE4ELNS1_3repE0EEENS1_30default_config_static_selectorELNS0_4arch9wavefront6targetE1EEEvSL_: ; @_ZN7rocprim17ROCPRIM_400000_NS6detail17trampoline_kernelINS0_14default_configENS1_21merge_config_selectorIiNS0_10empty_typeEEEZNS1_10merge_implIS3_N6thrust23THRUST_200600_302600_NS10device_ptrIKiEESC_NSA_IiEEPS5_SE_SE_NS9_4lessIiEEEE10hipError_tPvRmT0_T1_T2_T3_T4_T5_mmT6_P12ihipStream_tbEUlT_E0_NS1_11comp_targetILNS1_3genE10ELNS1_11target_archE1200ELNS1_3gpuE4ELNS1_3repE0EEENS1_30default_config_static_selectorELNS0_4arch9wavefront6targetE1EEEvSL_
; %bb.0:
	.section	.rodata,"a",@progbits
	.p2align	6, 0x0
	.amdhsa_kernel _ZN7rocprim17ROCPRIM_400000_NS6detail17trampoline_kernelINS0_14default_configENS1_21merge_config_selectorIiNS0_10empty_typeEEEZNS1_10merge_implIS3_N6thrust23THRUST_200600_302600_NS10device_ptrIKiEESC_NSA_IiEEPS5_SE_SE_NS9_4lessIiEEEE10hipError_tPvRmT0_T1_T2_T3_T4_T5_mmT6_P12ihipStream_tbEUlT_E0_NS1_11comp_targetILNS1_3genE10ELNS1_11target_archE1200ELNS1_3gpuE4ELNS1_3repE0EEENS1_30default_config_static_selectorELNS0_4arch9wavefront6targetE1EEEvSL_
		.amdhsa_group_segment_fixed_size 0
		.amdhsa_private_segment_fixed_size 0
		.amdhsa_kernarg_size 88
		.amdhsa_user_sgpr_count 6
		.amdhsa_user_sgpr_private_segment_buffer 1
		.amdhsa_user_sgpr_dispatch_ptr 0
		.amdhsa_user_sgpr_queue_ptr 0
		.amdhsa_user_sgpr_kernarg_segment_ptr 1
		.amdhsa_user_sgpr_dispatch_id 0
		.amdhsa_user_sgpr_flat_scratch_init 0
		.amdhsa_user_sgpr_kernarg_preload_length 0
		.amdhsa_user_sgpr_kernarg_preload_offset 0
		.amdhsa_user_sgpr_private_segment_size 0
		.amdhsa_uses_dynamic_stack 0
		.amdhsa_system_sgpr_private_segment_wavefront_offset 0
		.amdhsa_system_sgpr_workgroup_id_x 1
		.amdhsa_system_sgpr_workgroup_id_y 0
		.amdhsa_system_sgpr_workgroup_id_z 0
		.amdhsa_system_sgpr_workgroup_info 0
		.amdhsa_system_vgpr_workitem_id 0
		.amdhsa_next_free_vgpr 1
		.amdhsa_next_free_sgpr 0
		.amdhsa_accum_offset 4
		.amdhsa_reserve_vcc 0
		.amdhsa_reserve_flat_scratch 0
		.amdhsa_float_round_mode_32 0
		.amdhsa_float_round_mode_16_64 0
		.amdhsa_float_denorm_mode_32 3
		.amdhsa_float_denorm_mode_16_64 3
		.amdhsa_dx10_clamp 1
		.amdhsa_ieee_mode 1
		.amdhsa_fp16_overflow 0
		.amdhsa_tg_split 0
		.amdhsa_exception_fp_ieee_invalid_op 0
		.amdhsa_exception_fp_denorm_src 0
		.amdhsa_exception_fp_ieee_div_zero 0
		.amdhsa_exception_fp_ieee_overflow 0
		.amdhsa_exception_fp_ieee_underflow 0
		.amdhsa_exception_fp_ieee_inexact 0
		.amdhsa_exception_int_div_zero 0
	.end_amdhsa_kernel
	.section	.text._ZN7rocprim17ROCPRIM_400000_NS6detail17trampoline_kernelINS0_14default_configENS1_21merge_config_selectorIiNS0_10empty_typeEEEZNS1_10merge_implIS3_N6thrust23THRUST_200600_302600_NS10device_ptrIKiEESC_NSA_IiEEPS5_SE_SE_NS9_4lessIiEEEE10hipError_tPvRmT0_T1_T2_T3_T4_T5_mmT6_P12ihipStream_tbEUlT_E0_NS1_11comp_targetILNS1_3genE10ELNS1_11target_archE1200ELNS1_3gpuE4ELNS1_3repE0EEENS1_30default_config_static_selectorELNS0_4arch9wavefront6targetE1EEEvSL_,"axG",@progbits,_ZN7rocprim17ROCPRIM_400000_NS6detail17trampoline_kernelINS0_14default_configENS1_21merge_config_selectorIiNS0_10empty_typeEEEZNS1_10merge_implIS3_N6thrust23THRUST_200600_302600_NS10device_ptrIKiEESC_NSA_IiEEPS5_SE_SE_NS9_4lessIiEEEE10hipError_tPvRmT0_T1_T2_T3_T4_T5_mmT6_P12ihipStream_tbEUlT_E0_NS1_11comp_targetILNS1_3genE10ELNS1_11target_archE1200ELNS1_3gpuE4ELNS1_3repE0EEENS1_30default_config_static_selectorELNS0_4arch9wavefront6targetE1EEEvSL_,comdat
.Lfunc_end621:
	.size	_ZN7rocprim17ROCPRIM_400000_NS6detail17trampoline_kernelINS0_14default_configENS1_21merge_config_selectorIiNS0_10empty_typeEEEZNS1_10merge_implIS3_N6thrust23THRUST_200600_302600_NS10device_ptrIKiEESC_NSA_IiEEPS5_SE_SE_NS9_4lessIiEEEE10hipError_tPvRmT0_T1_T2_T3_T4_T5_mmT6_P12ihipStream_tbEUlT_E0_NS1_11comp_targetILNS1_3genE10ELNS1_11target_archE1200ELNS1_3gpuE4ELNS1_3repE0EEENS1_30default_config_static_selectorELNS0_4arch9wavefront6targetE1EEEvSL_, .Lfunc_end621-_ZN7rocprim17ROCPRIM_400000_NS6detail17trampoline_kernelINS0_14default_configENS1_21merge_config_selectorIiNS0_10empty_typeEEEZNS1_10merge_implIS3_N6thrust23THRUST_200600_302600_NS10device_ptrIKiEESC_NSA_IiEEPS5_SE_SE_NS9_4lessIiEEEE10hipError_tPvRmT0_T1_T2_T3_T4_T5_mmT6_P12ihipStream_tbEUlT_E0_NS1_11comp_targetILNS1_3genE10ELNS1_11target_archE1200ELNS1_3gpuE4ELNS1_3repE0EEENS1_30default_config_static_selectorELNS0_4arch9wavefront6targetE1EEEvSL_
                                        ; -- End function
	.section	.AMDGPU.csdata,"",@progbits
; Kernel info:
; codeLenInByte = 0
; NumSgprs: 4
; NumVgprs: 0
; NumAgprs: 0
; TotalNumVgprs: 0
; ScratchSize: 0
; MemoryBound: 0
; FloatMode: 240
; IeeeMode: 1
; LDSByteSize: 0 bytes/workgroup (compile time only)
; SGPRBlocks: 0
; VGPRBlocks: 0
; NumSGPRsForWavesPerEU: 4
; NumVGPRsForWavesPerEU: 1
; AccumOffset: 4
; Occupancy: 8
; WaveLimiterHint : 0
; COMPUTE_PGM_RSRC2:SCRATCH_EN: 0
; COMPUTE_PGM_RSRC2:USER_SGPR: 6
; COMPUTE_PGM_RSRC2:TRAP_HANDLER: 0
; COMPUTE_PGM_RSRC2:TGID_X_EN: 1
; COMPUTE_PGM_RSRC2:TGID_Y_EN: 0
; COMPUTE_PGM_RSRC2:TGID_Z_EN: 0
; COMPUTE_PGM_RSRC2:TIDIG_COMP_CNT: 0
; COMPUTE_PGM_RSRC3_GFX90A:ACCUM_OFFSET: 0
; COMPUTE_PGM_RSRC3_GFX90A:TG_SPLIT: 0
	.section	.text._ZN7rocprim17ROCPRIM_400000_NS6detail17trampoline_kernelINS0_14default_configENS1_21merge_config_selectorIiNS0_10empty_typeEEEZNS1_10merge_implIS3_N6thrust23THRUST_200600_302600_NS10device_ptrIKiEESC_NSA_IiEEPS5_SE_SE_NS9_4lessIiEEEE10hipError_tPvRmT0_T1_T2_T3_T4_T5_mmT6_P12ihipStream_tbEUlT_E0_NS1_11comp_targetILNS1_3genE9ELNS1_11target_archE1100ELNS1_3gpuE3ELNS1_3repE0EEENS1_30default_config_static_selectorELNS0_4arch9wavefront6targetE1EEEvSL_,"axG",@progbits,_ZN7rocprim17ROCPRIM_400000_NS6detail17trampoline_kernelINS0_14default_configENS1_21merge_config_selectorIiNS0_10empty_typeEEEZNS1_10merge_implIS3_N6thrust23THRUST_200600_302600_NS10device_ptrIKiEESC_NSA_IiEEPS5_SE_SE_NS9_4lessIiEEEE10hipError_tPvRmT0_T1_T2_T3_T4_T5_mmT6_P12ihipStream_tbEUlT_E0_NS1_11comp_targetILNS1_3genE9ELNS1_11target_archE1100ELNS1_3gpuE3ELNS1_3repE0EEENS1_30default_config_static_selectorELNS0_4arch9wavefront6targetE1EEEvSL_,comdat
	.protected	_ZN7rocprim17ROCPRIM_400000_NS6detail17trampoline_kernelINS0_14default_configENS1_21merge_config_selectorIiNS0_10empty_typeEEEZNS1_10merge_implIS3_N6thrust23THRUST_200600_302600_NS10device_ptrIKiEESC_NSA_IiEEPS5_SE_SE_NS9_4lessIiEEEE10hipError_tPvRmT0_T1_T2_T3_T4_T5_mmT6_P12ihipStream_tbEUlT_E0_NS1_11comp_targetILNS1_3genE9ELNS1_11target_archE1100ELNS1_3gpuE3ELNS1_3repE0EEENS1_30default_config_static_selectorELNS0_4arch9wavefront6targetE1EEEvSL_ ; -- Begin function _ZN7rocprim17ROCPRIM_400000_NS6detail17trampoline_kernelINS0_14default_configENS1_21merge_config_selectorIiNS0_10empty_typeEEEZNS1_10merge_implIS3_N6thrust23THRUST_200600_302600_NS10device_ptrIKiEESC_NSA_IiEEPS5_SE_SE_NS9_4lessIiEEEE10hipError_tPvRmT0_T1_T2_T3_T4_T5_mmT6_P12ihipStream_tbEUlT_E0_NS1_11comp_targetILNS1_3genE9ELNS1_11target_archE1100ELNS1_3gpuE3ELNS1_3repE0EEENS1_30default_config_static_selectorELNS0_4arch9wavefront6targetE1EEEvSL_
	.globl	_ZN7rocprim17ROCPRIM_400000_NS6detail17trampoline_kernelINS0_14default_configENS1_21merge_config_selectorIiNS0_10empty_typeEEEZNS1_10merge_implIS3_N6thrust23THRUST_200600_302600_NS10device_ptrIKiEESC_NSA_IiEEPS5_SE_SE_NS9_4lessIiEEEE10hipError_tPvRmT0_T1_T2_T3_T4_T5_mmT6_P12ihipStream_tbEUlT_E0_NS1_11comp_targetILNS1_3genE9ELNS1_11target_archE1100ELNS1_3gpuE3ELNS1_3repE0EEENS1_30default_config_static_selectorELNS0_4arch9wavefront6targetE1EEEvSL_
	.p2align	8
	.type	_ZN7rocprim17ROCPRIM_400000_NS6detail17trampoline_kernelINS0_14default_configENS1_21merge_config_selectorIiNS0_10empty_typeEEEZNS1_10merge_implIS3_N6thrust23THRUST_200600_302600_NS10device_ptrIKiEESC_NSA_IiEEPS5_SE_SE_NS9_4lessIiEEEE10hipError_tPvRmT0_T1_T2_T3_T4_T5_mmT6_P12ihipStream_tbEUlT_E0_NS1_11comp_targetILNS1_3genE9ELNS1_11target_archE1100ELNS1_3gpuE3ELNS1_3repE0EEENS1_30default_config_static_selectorELNS0_4arch9wavefront6targetE1EEEvSL_,@function
_ZN7rocprim17ROCPRIM_400000_NS6detail17trampoline_kernelINS0_14default_configENS1_21merge_config_selectorIiNS0_10empty_typeEEEZNS1_10merge_implIS3_N6thrust23THRUST_200600_302600_NS10device_ptrIKiEESC_NSA_IiEEPS5_SE_SE_NS9_4lessIiEEEE10hipError_tPvRmT0_T1_T2_T3_T4_T5_mmT6_P12ihipStream_tbEUlT_E0_NS1_11comp_targetILNS1_3genE9ELNS1_11target_archE1100ELNS1_3gpuE3ELNS1_3repE0EEENS1_30default_config_static_selectorELNS0_4arch9wavefront6targetE1EEEvSL_: ; @_ZN7rocprim17ROCPRIM_400000_NS6detail17trampoline_kernelINS0_14default_configENS1_21merge_config_selectorIiNS0_10empty_typeEEEZNS1_10merge_implIS3_N6thrust23THRUST_200600_302600_NS10device_ptrIKiEESC_NSA_IiEEPS5_SE_SE_NS9_4lessIiEEEE10hipError_tPvRmT0_T1_T2_T3_T4_T5_mmT6_P12ihipStream_tbEUlT_E0_NS1_11comp_targetILNS1_3genE9ELNS1_11target_archE1100ELNS1_3gpuE3ELNS1_3repE0EEENS1_30default_config_static_selectorELNS0_4arch9wavefront6targetE1EEEvSL_
; %bb.0:
	.section	.rodata,"a",@progbits
	.p2align	6, 0x0
	.amdhsa_kernel _ZN7rocprim17ROCPRIM_400000_NS6detail17trampoline_kernelINS0_14default_configENS1_21merge_config_selectorIiNS0_10empty_typeEEEZNS1_10merge_implIS3_N6thrust23THRUST_200600_302600_NS10device_ptrIKiEESC_NSA_IiEEPS5_SE_SE_NS9_4lessIiEEEE10hipError_tPvRmT0_T1_T2_T3_T4_T5_mmT6_P12ihipStream_tbEUlT_E0_NS1_11comp_targetILNS1_3genE9ELNS1_11target_archE1100ELNS1_3gpuE3ELNS1_3repE0EEENS1_30default_config_static_selectorELNS0_4arch9wavefront6targetE1EEEvSL_
		.amdhsa_group_segment_fixed_size 0
		.amdhsa_private_segment_fixed_size 0
		.amdhsa_kernarg_size 88
		.amdhsa_user_sgpr_count 6
		.amdhsa_user_sgpr_private_segment_buffer 1
		.amdhsa_user_sgpr_dispatch_ptr 0
		.amdhsa_user_sgpr_queue_ptr 0
		.amdhsa_user_sgpr_kernarg_segment_ptr 1
		.amdhsa_user_sgpr_dispatch_id 0
		.amdhsa_user_sgpr_flat_scratch_init 0
		.amdhsa_user_sgpr_kernarg_preload_length 0
		.amdhsa_user_sgpr_kernarg_preload_offset 0
		.amdhsa_user_sgpr_private_segment_size 0
		.amdhsa_uses_dynamic_stack 0
		.amdhsa_system_sgpr_private_segment_wavefront_offset 0
		.amdhsa_system_sgpr_workgroup_id_x 1
		.amdhsa_system_sgpr_workgroup_id_y 0
		.amdhsa_system_sgpr_workgroup_id_z 0
		.amdhsa_system_sgpr_workgroup_info 0
		.amdhsa_system_vgpr_workitem_id 0
		.amdhsa_next_free_vgpr 1
		.amdhsa_next_free_sgpr 0
		.amdhsa_accum_offset 4
		.amdhsa_reserve_vcc 0
		.amdhsa_reserve_flat_scratch 0
		.amdhsa_float_round_mode_32 0
		.amdhsa_float_round_mode_16_64 0
		.amdhsa_float_denorm_mode_32 3
		.amdhsa_float_denorm_mode_16_64 3
		.amdhsa_dx10_clamp 1
		.amdhsa_ieee_mode 1
		.amdhsa_fp16_overflow 0
		.amdhsa_tg_split 0
		.amdhsa_exception_fp_ieee_invalid_op 0
		.amdhsa_exception_fp_denorm_src 0
		.amdhsa_exception_fp_ieee_div_zero 0
		.amdhsa_exception_fp_ieee_overflow 0
		.amdhsa_exception_fp_ieee_underflow 0
		.amdhsa_exception_fp_ieee_inexact 0
		.amdhsa_exception_int_div_zero 0
	.end_amdhsa_kernel
	.section	.text._ZN7rocprim17ROCPRIM_400000_NS6detail17trampoline_kernelINS0_14default_configENS1_21merge_config_selectorIiNS0_10empty_typeEEEZNS1_10merge_implIS3_N6thrust23THRUST_200600_302600_NS10device_ptrIKiEESC_NSA_IiEEPS5_SE_SE_NS9_4lessIiEEEE10hipError_tPvRmT0_T1_T2_T3_T4_T5_mmT6_P12ihipStream_tbEUlT_E0_NS1_11comp_targetILNS1_3genE9ELNS1_11target_archE1100ELNS1_3gpuE3ELNS1_3repE0EEENS1_30default_config_static_selectorELNS0_4arch9wavefront6targetE1EEEvSL_,"axG",@progbits,_ZN7rocprim17ROCPRIM_400000_NS6detail17trampoline_kernelINS0_14default_configENS1_21merge_config_selectorIiNS0_10empty_typeEEEZNS1_10merge_implIS3_N6thrust23THRUST_200600_302600_NS10device_ptrIKiEESC_NSA_IiEEPS5_SE_SE_NS9_4lessIiEEEE10hipError_tPvRmT0_T1_T2_T3_T4_T5_mmT6_P12ihipStream_tbEUlT_E0_NS1_11comp_targetILNS1_3genE9ELNS1_11target_archE1100ELNS1_3gpuE3ELNS1_3repE0EEENS1_30default_config_static_selectorELNS0_4arch9wavefront6targetE1EEEvSL_,comdat
.Lfunc_end622:
	.size	_ZN7rocprim17ROCPRIM_400000_NS6detail17trampoline_kernelINS0_14default_configENS1_21merge_config_selectorIiNS0_10empty_typeEEEZNS1_10merge_implIS3_N6thrust23THRUST_200600_302600_NS10device_ptrIKiEESC_NSA_IiEEPS5_SE_SE_NS9_4lessIiEEEE10hipError_tPvRmT0_T1_T2_T3_T4_T5_mmT6_P12ihipStream_tbEUlT_E0_NS1_11comp_targetILNS1_3genE9ELNS1_11target_archE1100ELNS1_3gpuE3ELNS1_3repE0EEENS1_30default_config_static_selectorELNS0_4arch9wavefront6targetE1EEEvSL_, .Lfunc_end622-_ZN7rocprim17ROCPRIM_400000_NS6detail17trampoline_kernelINS0_14default_configENS1_21merge_config_selectorIiNS0_10empty_typeEEEZNS1_10merge_implIS3_N6thrust23THRUST_200600_302600_NS10device_ptrIKiEESC_NSA_IiEEPS5_SE_SE_NS9_4lessIiEEEE10hipError_tPvRmT0_T1_T2_T3_T4_T5_mmT6_P12ihipStream_tbEUlT_E0_NS1_11comp_targetILNS1_3genE9ELNS1_11target_archE1100ELNS1_3gpuE3ELNS1_3repE0EEENS1_30default_config_static_selectorELNS0_4arch9wavefront6targetE1EEEvSL_
                                        ; -- End function
	.section	.AMDGPU.csdata,"",@progbits
; Kernel info:
; codeLenInByte = 0
; NumSgprs: 4
; NumVgprs: 0
; NumAgprs: 0
; TotalNumVgprs: 0
; ScratchSize: 0
; MemoryBound: 0
; FloatMode: 240
; IeeeMode: 1
; LDSByteSize: 0 bytes/workgroup (compile time only)
; SGPRBlocks: 0
; VGPRBlocks: 0
; NumSGPRsForWavesPerEU: 4
; NumVGPRsForWavesPerEU: 1
; AccumOffset: 4
; Occupancy: 8
; WaveLimiterHint : 0
; COMPUTE_PGM_RSRC2:SCRATCH_EN: 0
; COMPUTE_PGM_RSRC2:USER_SGPR: 6
; COMPUTE_PGM_RSRC2:TRAP_HANDLER: 0
; COMPUTE_PGM_RSRC2:TGID_X_EN: 1
; COMPUTE_PGM_RSRC2:TGID_Y_EN: 0
; COMPUTE_PGM_RSRC2:TGID_Z_EN: 0
; COMPUTE_PGM_RSRC2:TIDIG_COMP_CNT: 0
; COMPUTE_PGM_RSRC3_GFX90A:ACCUM_OFFSET: 0
; COMPUTE_PGM_RSRC3_GFX90A:TG_SPLIT: 0
	.section	.text._ZN7rocprim17ROCPRIM_400000_NS6detail17trampoline_kernelINS0_14default_configENS1_21merge_config_selectorIiNS0_10empty_typeEEEZNS1_10merge_implIS3_N6thrust23THRUST_200600_302600_NS10device_ptrIKiEESC_NSA_IiEEPS5_SE_SE_NS9_4lessIiEEEE10hipError_tPvRmT0_T1_T2_T3_T4_T5_mmT6_P12ihipStream_tbEUlT_E0_NS1_11comp_targetILNS1_3genE8ELNS1_11target_archE1030ELNS1_3gpuE2ELNS1_3repE0EEENS1_30default_config_static_selectorELNS0_4arch9wavefront6targetE1EEEvSL_,"axG",@progbits,_ZN7rocprim17ROCPRIM_400000_NS6detail17trampoline_kernelINS0_14default_configENS1_21merge_config_selectorIiNS0_10empty_typeEEEZNS1_10merge_implIS3_N6thrust23THRUST_200600_302600_NS10device_ptrIKiEESC_NSA_IiEEPS5_SE_SE_NS9_4lessIiEEEE10hipError_tPvRmT0_T1_T2_T3_T4_T5_mmT6_P12ihipStream_tbEUlT_E0_NS1_11comp_targetILNS1_3genE8ELNS1_11target_archE1030ELNS1_3gpuE2ELNS1_3repE0EEENS1_30default_config_static_selectorELNS0_4arch9wavefront6targetE1EEEvSL_,comdat
	.protected	_ZN7rocprim17ROCPRIM_400000_NS6detail17trampoline_kernelINS0_14default_configENS1_21merge_config_selectorIiNS0_10empty_typeEEEZNS1_10merge_implIS3_N6thrust23THRUST_200600_302600_NS10device_ptrIKiEESC_NSA_IiEEPS5_SE_SE_NS9_4lessIiEEEE10hipError_tPvRmT0_T1_T2_T3_T4_T5_mmT6_P12ihipStream_tbEUlT_E0_NS1_11comp_targetILNS1_3genE8ELNS1_11target_archE1030ELNS1_3gpuE2ELNS1_3repE0EEENS1_30default_config_static_selectorELNS0_4arch9wavefront6targetE1EEEvSL_ ; -- Begin function _ZN7rocprim17ROCPRIM_400000_NS6detail17trampoline_kernelINS0_14default_configENS1_21merge_config_selectorIiNS0_10empty_typeEEEZNS1_10merge_implIS3_N6thrust23THRUST_200600_302600_NS10device_ptrIKiEESC_NSA_IiEEPS5_SE_SE_NS9_4lessIiEEEE10hipError_tPvRmT0_T1_T2_T3_T4_T5_mmT6_P12ihipStream_tbEUlT_E0_NS1_11comp_targetILNS1_3genE8ELNS1_11target_archE1030ELNS1_3gpuE2ELNS1_3repE0EEENS1_30default_config_static_selectorELNS0_4arch9wavefront6targetE1EEEvSL_
	.globl	_ZN7rocprim17ROCPRIM_400000_NS6detail17trampoline_kernelINS0_14default_configENS1_21merge_config_selectorIiNS0_10empty_typeEEEZNS1_10merge_implIS3_N6thrust23THRUST_200600_302600_NS10device_ptrIKiEESC_NSA_IiEEPS5_SE_SE_NS9_4lessIiEEEE10hipError_tPvRmT0_T1_T2_T3_T4_T5_mmT6_P12ihipStream_tbEUlT_E0_NS1_11comp_targetILNS1_3genE8ELNS1_11target_archE1030ELNS1_3gpuE2ELNS1_3repE0EEENS1_30default_config_static_selectorELNS0_4arch9wavefront6targetE1EEEvSL_
	.p2align	8
	.type	_ZN7rocprim17ROCPRIM_400000_NS6detail17trampoline_kernelINS0_14default_configENS1_21merge_config_selectorIiNS0_10empty_typeEEEZNS1_10merge_implIS3_N6thrust23THRUST_200600_302600_NS10device_ptrIKiEESC_NSA_IiEEPS5_SE_SE_NS9_4lessIiEEEE10hipError_tPvRmT0_T1_T2_T3_T4_T5_mmT6_P12ihipStream_tbEUlT_E0_NS1_11comp_targetILNS1_3genE8ELNS1_11target_archE1030ELNS1_3gpuE2ELNS1_3repE0EEENS1_30default_config_static_selectorELNS0_4arch9wavefront6targetE1EEEvSL_,@function
_ZN7rocprim17ROCPRIM_400000_NS6detail17trampoline_kernelINS0_14default_configENS1_21merge_config_selectorIiNS0_10empty_typeEEEZNS1_10merge_implIS3_N6thrust23THRUST_200600_302600_NS10device_ptrIKiEESC_NSA_IiEEPS5_SE_SE_NS9_4lessIiEEEE10hipError_tPvRmT0_T1_T2_T3_T4_T5_mmT6_P12ihipStream_tbEUlT_E0_NS1_11comp_targetILNS1_3genE8ELNS1_11target_archE1030ELNS1_3gpuE2ELNS1_3repE0EEENS1_30default_config_static_selectorELNS0_4arch9wavefront6targetE1EEEvSL_: ; @_ZN7rocprim17ROCPRIM_400000_NS6detail17trampoline_kernelINS0_14default_configENS1_21merge_config_selectorIiNS0_10empty_typeEEEZNS1_10merge_implIS3_N6thrust23THRUST_200600_302600_NS10device_ptrIKiEESC_NSA_IiEEPS5_SE_SE_NS9_4lessIiEEEE10hipError_tPvRmT0_T1_T2_T3_T4_T5_mmT6_P12ihipStream_tbEUlT_E0_NS1_11comp_targetILNS1_3genE8ELNS1_11target_archE1030ELNS1_3gpuE2ELNS1_3repE0EEENS1_30default_config_static_selectorELNS0_4arch9wavefront6targetE1EEEvSL_
; %bb.0:
	.section	.rodata,"a",@progbits
	.p2align	6, 0x0
	.amdhsa_kernel _ZN7rocprim17ROCPRIM_400000_NS6detail17trampoline_kernelINS0_14default_configENS1_21merge_config_selectorIiNS0_10empty_typeEEEZNS1_10merge_implIS3_N6thrust23THRUST_200600_302600_NS10device_ptrIKiEESC_NSA_IiEEPS5_SE_SE_NS9_4lessIiEEEE10hipError_tPvRmT0_T1_T2_T3_T4_T5_mmT6_P12ihipStream_tbEUlT_E0_NS1_11comp_targetILNS1_3genE8ELNS1_11target_archE1030ELNS1_3gpuE2ELNS1_3repE0EEENS1_30default_config_static_selectorELNS0_4arch9wavefront6targetE1EEEvSL_
		.amdhsa_group_segment_fixed_size 0
		.amdhsa_private_segment_fixed_size 0
		.amdhsa_kernarg_size 88
		.amdhsa_user_sgpr_count 6
		.amdhsa_user_sgpr_private_segment_buffer 1
		.amdhsa_user_sgpr_dispatch_ptr 0
		.amdhsa_user_sgpr_queue_ptr 0
		.amdhsa_user_sgpr_kernarg_segment_ptr 1
		.amdhsa_user_sgpr_dispatch_id 0
		.amdhsa_user_sgpr_flat_scratch_init 0
		.amdhsa_user_sgpr_kernarg_preload_length 0
		.amdhsa_user_sgpr_kernarg_preload_offset 0
		.amdhsa_user_sgpr_private_segment_size 0
		.amdhsa_uses_dynamic_stack 0
		.amdhsa_system_sgpr_private_segment_wavefront_offset 0
		.amdhsa_system_sgpr_workgroup_id_x 1
		.amdhsa_system_sgpr_workgroup_id_y 0
		.amdhsa_system_sgpr_workgroup_id_z 0
		.amdhsa_system_sgpr_workgroup_info 0
		.amdhsa_system_vgpr_workitem_id 0
		.amdhsa_next_free_vgpr 1
		.amdhsa_next_free_sgpr 0
		.amdhsa_accum_offset 4
		.amdhsa_reserve_vcc 0
		.amdhsa_reserve_flat_scratch 0
		.amdhsa_float_round_mode_32 0
		.amdhsa_float_round_mode_16_64 0
		.amdhsa_float_denorm_mode_32 3
		.amdhsa_float_denorm_mode_16_64 3
		.amdhsa_dx10_clamp 1
		.amdhsa_ieee_mode 1
		.amdhsa_fp16_overflow 0
		.amdhsa_tg_split 0
		.amdhsa_exception_fp_ieee_invalid_op 0
		.amdhsa_exception_fp_denorm_src 0
		.amdhsa_exception_fp_ieee_div_zero 0
		.amdhsa_exception_fp_ieee_overflow 0
		.amdhsa_exception_fp_ieee_underflow 0
		.amdhsa_exception_fp_ieee_inexact 0
		.amdhsa_exception_int_div_zero 0
	.end_amdhsa_kernel
	.section	.text._ZN7rocprim17ROCPRIM_400000_NS6detail17trampoline_kernelINS0_14default_configENS1_21merge_config_selectorIiNS0_10empty_typeEEEZNS1_10merge_implIS3_N6thrust23THRUST_200600_302600_NS10device_ptrIKiEESC_NSA_IiEEPS5_SE_SE_NS9_4lessIiEEEE10hipError_tPvRmT0_T1_T2_T3_T4_T5_mmT6_P12ihipStream_tbEUlT_E0_NS1_11comp_targetILNS1_3genE8ELNS1_11target_archE1030ELNS1_3gpuE2ELNS1_3repE0EEENS1_30default_config_static_selectorELNS0_4arch9wavefront6targetE1EEEvSL_,"axG",@progbits,_ZN7rocprim17ROCPRIM_400000_NS6detail17trampoline_kernelINS0_14default_configENS1_21merge_config_selectorIiNS0_10empty_typeEEEZNS1_10merge_implIS3_N6thrust23THRUST_200600_302600_NS10device_ptrIKiEESC_NSA_IiEEPS5_SE_SE_NS9_4lessIiEEEE10hipError_tPvRmT0_T1_T2_T3_T4_T5_mmT6_P12ihipStream_tbEUlT_E0_NS1_11comp_targetILNS1_3genE8ELNS1_11target_archE1030ELNS1_3gpuE2ELNS1_3repE0EEENS1_30default_config_static_selectorELNS0_4arch9wavefront6targetE1EEEvSL_,comdat
.Lfunc_end623:
	.size	_ZN7rocprim17ROCPRIM_400000_NS6detail17trampoline_kernelINS0_14default_configENS1_21merge_config_selectorIiNS0_10empty_typeEEEZNS1_10merge_implIS3_N6thrust23THRUST_200600_302600_NS10device_ptrIKiEESC_NSA_IiEEPS5_SE_SE_NS9_4lessIiEEEE10hipError_tPvRmT0_T1_T2_T3_T4_T5_mmT6_P12ihipStream_tbEUlT_E0_NS1_11comp_targetILNS1_3genE8ELNS1_11target_archE1030ELNS1_3gpuE2ELNS1_3repE0EEENS1_30default_config_static_selectorELNS0_4arch9wavefront6targetE1EEEvSL_, .Lfunc_end623-_ZN7rocprim17ROCPRIM_400000_NS6detail17trampoline_kernelINS0_14default_configENS1_21merge_config_selectorIiNS0_10empty_typeEEEZNS1_10merge_implIS3_N6thrust23THRUST_200600_302600_NS10device_ptrIKiEESC_NSA_IiEEPS5_SE_SE_NS9_4lessIiEEEE10hipError_tPvRmT0_T1_T2_T3_T4_T5_mmT6_P12ihipStream_tbEUlT_E0_NS1_11comp_targetILNS1_3genE8ELNS1_11target_archE1030ELNS1_3gpuE2ELNS1_3repE0EEENS1_30default_config_static_selectorELNS0_4arch9wavefront6targetE1EEEvSL_
                                        ; -- End function
	.section	.AMDGPU.csdata,"",@progbits
; Kernel info:
; codeLenInByte = 0
; NumSgprs: 4
; NumVgprs: 0
; NumAgprs: 0
; TotalNumVgprs: 0
; ScratchSize: 0
; MemoryBound: 0
; FloatMode: 240
; IeeeMode: 1
; LDSByteSize: 0 bytes/workgroup (compile time only)
; SGPRBlocks: 0
; VGPRBlocks: 0
; NumSGPRsForWavesPerEU: 4
; NumVGPRsForWavesPerEU: 1
; AccumOffset: 4
; Occupancy: 8
; WaveLimiterHint : 0
; COMPUTE_PGM_RSRC2:SCRATCH_EN: 0
; COMPUTE_PGM_RSRC2:USER_SGPR: 6
; COMPUTE_PGM_RSRC2:TRAP_HANDLER: 0
; COMPUTE_PGM_RSRC2:TGID_X_EN: 1
; COMPUTE_PGM_RSRC2:TGID_Y_EN: 0
; COMPUTE_PGM_RSRC2:TGID_Z_EN: 0
; COMPUTE_PGM_RSRC2:TIDIG_COMP_CNT: 0
; COMPUTE_PGM_RSRC3_GFX90A:ACCUM_OFFSET: 0
; COMPUTE_PGM_RSRC3_GFX90A:TG_SPLIT: 0
	.text
	.p2alignl 6, 3212836864
	.fill 256, 4, 3212836864
	.type	__hip_cuid_f11e00b78b3b4629,@object ; @__hip_cuid_f11e00b78b3b4629
	.section	.bss,"aw",@nobits
	.globl	__hip_cuid_f11e00b78b3b4629
__hip_cuid_f11e00b78b3b4629:
	.byte	0                               ; 0x0
	.size	__hip_cuid_f11e00b78b3b4629, 1

	.ident	"AMD clang version 19.0.0git (https://github.com/RadeonOpenCompute/llvm-project roc-6.4.0 25133 c7fe45cf4b819c5991fe208aaa96edf142730f1d)"
	.section	".note.GNU-stack","",@progbits
	.addrsig
	.addrsig_sym __hip_cuid_f11e00b78b3b4629
	.amdgpu_metadata
---
amdhsa.kernels:
  - .agpr_count:     0
    .args:
      - .offset:         0
        .size:           16
        .value_kind:     by_value
      - .offset:         16
        .size:           8
        .value_kind:     by_value
      - .offset:         24
        .size:           8
        .value_kind:     by_value
    .group_segment_fixed_size: 0
    .kernarg_segment_align: 8
    .kernarg_segment_size: 32
    .language:       OpenCL C
    .language_version:
      - 2
      - 0
    .max_flat_workgroup_size: 256
    .name:           _ZN6thrust23THRUST_200600_302600_NS11hip_rocprim14__parallel_for6kernelILj256ENS1_20__uninitialized_fill7functorINS0_10device_ptrIdEEdEEmLj1EEEvT0_T1_SA_
    .private_segment_fixed_size: 0
    .sgpr_count:     20
    .sgpr_spill_count: 0
    .symbol:         _ZN6thrust23THRUST_200600_302600_NS11hip_rocprim14__parallel_for6kernelILj256ENS1_20__uninitialized_fill7functorINS0_10device_ptrIdEEdEEmLj1EEEvT0_T1_SA_.kd
    .uniform_work_group_size: 1
    .uses_dynamic_stack: false
    .vgpr_count:     5
    .vgpr_spill_count: 0
    .wavefront_size: 64
  - .agpr_count:     0
    .args:
      - .offset:         0
        .size:           48
        .value_kind:     by_value
    .group_segment_fixed_size: 0
    .kernarg_segment_align: 8
    .kernarg_segment_size: 48
    .language:       OpenCL C
    .language_version:
      - 2
      - 0
    .max_flat_workgroup_size: 256
    .name:           _ZN7rocprim17ROCPRIM_400000_NS6detail17trampoline_kernelINS0_14default_configENS1_21merge_config_selectorIdNS0_10empty_typeEEEZNS1_10merge_implIS3_N6thrust23THRUST_200600_302600_NS6detail15normal_iteratorINS9_10device_ptrIKdEEEESF_NSB_INSC_IdEEEEPS5_SI_SI_NS9_4lessIdEEEE10hipError_tPvRmT0_T1_T2_T3_T4_T5_mmT6_P12ihipStream_tbEUlT_E_NS1_11comp_targetILNS1_3genE0ELNS1_11target_archE4294967295ELNS1_3gpuE0ELNS1_3repE0EEENS1_30default_config_static_selectorELNS0_4arch9wavefront6targetE1EEEvSP_
    .private_segment_fixed_size: 0
    .sgpr_count:     4
    .sgpr_spill_count: 0
    .symbol:         _ZN7rocprim17ROCPRIM_400000_NS6detail17trampoline_kernelINS0_14default_configENS1_21merge_config_selectorIdNS0_10empty_typeEEEZNS1_10merge_implIS3_N6thrust23THRUST_200600_302600_NS6detail15normal_iteratorINS9_10device_ptrIKdEEEESF_NSB_INSC_IdEEEEPS5_SI_SI_NS9_4lessIdEEEE10hipError_tPvRmT0_T1_T2_T3_T4_T5_mmT6_P12ihipStream_tbEUlT_E_NS1_11comp_targetILNS1_3genE0ELNS1_11target_archE4294967295ELNS1_3gpuE0ELNS1_3repE0EEENS1_30default_config_static_selectorELNS0_4arch9wavefront6targetE1EEEvSP_.kd
    .uniform_work_group_size: 1
    .uses_dynamic_stack: false
    .vgpr_count:     0
    .vgpr_spill_count: 0
    .wavefront_size: 64
  - .agpr_count:     0
    .args:
      - .offset:         0
        .size:           48
        .value_kind:     by_value
    .group_segment_fixed_size: 0
    .kernarg_segment_align: 8
    .kernarg_segment_size: 48
    .language:       OpenCL C
    .language_version:
      - 2
      - 0
    .max_flat_workgroup_size: 256
    .name:           _ZN7rocprim17ROCPRIM_400000_NS6detail17trampoline_kernelINS0_14default_configENS1_21merge_config_selectorIdNS0_10empty_typeEEEZNS1_10merge_implIS3_N6thrust23THRUST_200600_302600_NS6detail15normal_iteratorINS9_10device_ptrIKdEEEESF_NSB_INSC_IdEEEEPS5_SI_SI_NS9_4lessIdEEEE10hipError_tPvRmT0_T1_T2_T3_T4_T5_mmT6_P12ihipStream_tbEUlT_E_NS1_11comp_targetILNS1_3genE5ELNS1_11target_archE942ELNS1_3gpuE9ELNS1_3repE0EEENS1_30default_config_static_selectorELNS0_4arch9wavefront6targetE1EEEvSP_
    .private_segment_fixed_size: 0
    .sgpr_count:     4
    .sgpr_spill_count: 0
    .symbol:         _ZN7rocprim17ROCPRIM_400000_NS6detail17trampoline_kernelINS0_14default_configENS1_21merge_config_selectorIdNS0_10empty_typeEEEZNS1_10merge_implIS3_N6thrust23THRUST_200600_302600_NS6detail15normal_iteratorINS9_10device_ptrIKdEEEESF_NSB_INSC_IdEEEEPS5_SI_SI_NS9_4lessIdEEEE10hipError_tPvRmT0_T1_T2_T3_T4_T5_mmT6_P12ihipStream_tbEUlT_E_NS1_11comp_targetILNS1_3genE5ELNS1_11target_archE942ELNS1_3gpuE9ELNS1_3repE0EEENS1_30default_config_static_selectorELNS0_4arch9wavefront6targetE1EEEvSP_.kd
    .uniform_work_group_size: 1
    .uses_dynamic_stack: false
    .vgpr_count:     0
    .vgpr_spill_count: 0
    .wavefront_size: 64
  - .agpr_count:     0
    .args:
      - .offset:         0
        .size:           48
        .value_kind:     by_value
      - .offset:         48
        .size:           4
        .value_kind:     hidden_block_count_x
      - .offset:         52
        .size:           4
        .value_kind:     hidden_block_count_y
      - .offset:         56
        .size:           4
        .value_kind:     hidden_block_count_z
      - .offset:         60
        .size:           2
        .value_kind:     hidden_group_size_x
      - .offset:         62
        .size:           2
        .value_kind:     hidden_group_size_y
      - .offset:         64
        .size:           2
        .value_kind:     hidden_group_size_z
      - .offset:         66
        .size:           2
        .value_kind:     hidden_remainder_x
      - .offset:         68
        .size:           2
        .value_kind:     hidden_remainder_y
      - .offset:         70
        .size:           2
        .value_kind:     hidden_remainder_z
      - .offset:         88
        .size:           8
        .value_kind:     hidden_global_offset_x
      - .offset:         96
        .size:           8
        .value_kind:     hidden_global_offset_y
      - .offset:         104
        .size:           8
        .value_kind:     hidden_global_offset_z
      - .offset:         112
        .size:           2
        .value_kind:     hidden_grid_dims
    .group_segment_fixed_size: 0
    .kernarg_segment_align: 8
    .kernarg_segment_size: 304
    .language:       OpenCL C
    .language_version:
      - 2
      - 0
    .max_flat_workgroup_size: 256
    .name:           _ZN7rocprim17ROCPRIM_400000_NS6detail17trampoline_kernelINS0_14default_configENS1_21merge_config_selectorIdNS0_10empty_typeEEEZNS1_10merge_implIS3_N6thrust23THRUST_200600_302600_NS6detail15normal_iteratorINS9_10device_ptrIKdEEEESF_NSB_INSC_IdEEEEPS5_SI_SI_NS9_4lessIdEEEE10hipError_tPvRmT0_T1_T2_T3_T4_T5_mmT6_P12ihipStream_tbEUlT_E_NS1_11comp_targetILNS1_3genE4ELNS1_11target_archE910ELNS1_3gpuE8ELNS1_3repE0EEENS1_30default_config_static_selectorELNS0_4arch9wavefront6targetE1EEEvSP_
    .private_segment_fixed_size: 0
    .sgpr_count:     18
    .sgpr_spill_count: 0
    .symbol:         _ZN7rocprim17ROCPRIM_400000_NS6detail17trampoline_kernelINS0_14default_configENS1_21merge_config_selectorIdNS0_10empty_typeEEEZNS1_10merge_implIS3_N6thrust23THRUST_200600_302600_NS6detail15normal_iteratorINS9_10device_ptrIKdEEEESF_NSB_INSC_IdEEEEPS5_SI_SI_NS9_4lessIdEEEE10hipError_tPvRmT0_T1_T2_T3_T4_T5_mmT6_P12ihipStream_tbEUlT_E_NS1_11comp_targetILNS1_3genE4ELNS1_11target_archE910ELNS1_3gpuE8ELNS1_3repE0EEENS1_30default_config_static_selectorELNS0_4arch9wavefront6targetE1EEEvSP_.kd
    .uniform_work_group_size: 1
    .uses_dynamic_stack: false
    .vgpr_count:     16
    .vgpr_spill_count: 0
    .wavefront_size: 64
  - .agpr_count:     0
    .args:
      - .offset:         0
        .size:           48
        .value_kind:     by_value
    .group_segment_fixed_size: 0
    .kernarg_segment_align: 8
    .kernarg_segment_size: 48
    .language:       OpenCL C
    .language_version:
      - 2
      - 0
    .max_flat_workgroup_size: 256
    .name:           _ZN7rocprim17ROCPRIM_400000_NS6detail17trampoline_kernelINS0_14default_configENS1_21merge_config_selectorIdNS0_10empty_typeEEEZNS1_10merge_implIS3_N6thrust23THRUST_200600_302600_NS6detail15normal_iteratorINS9_10device_ptrIKdEEEESF_NSB_INSC_IdEEEEPS5_SI_SI_NS9_4lessIdEEEE10hipError_tPvRmT0_T1_T2_T3_T4_T5_mmT6_P12ihipStream_tbEUlT_E_NS1_11comp_targetILNS1_3genE3ELNS1_11target_archE908ELNS1_3gpuE7ELNS1_3repE0EEENS1_30default_config_static_selectorELNS0_4arch9wavefront6targetE1EEEvSP_
    .private_segment_fixed_size: 0
    .sgpr_count:     4
    .sgpr_spill_count: 0
    .symbol:         _ZN7rocprim17ROCPRIM_400000_NS6detail17trampoline_kernelINS0_14default_configENS1_21merge_config_selectorIdNS0_10empty_typeEEEZNS1_10merge_implIS3_N6thrust23THRUST_200600_302600_NS6detail15normal_iteratorINS9_10device_ptrIKdEEEESF_NSB_INSC_IdEEEEPS5_SI_SI_NS9_4lessIdEEEE10hipError_tPvRmT0_T1_T2_T3_T4_T5_mmT6_P12ihipStream_tbEUlT_E_NS1_11comp_targetILNS1_3genE3ELNS1_11target_archE908ELNS1_3gpuE7ELNS1_3repE0EEENS1_30default_config_static_selectorELNS0_4arch9wavefront6targetE1EEEvSP_.kd
    .uniform_work_group_size: 1
    .uses_dynamic_stack: false
    .vgpr_count:     0
    .vgpr_spill_count: 0
    .wavefront_size: 64
  - .agpr_count:     0
    .args:
      - .offset:         0
        .size:           48
        .value_kind:     by_value
    .group_segment_fixed_size: 0
    .kernarg_segment_align: 8
    .kernarg_segment_size: 48
    .language:       OpenCL C
    .language_version:
      - 2
      - 0
    .max_flat_workgroup_size: 256
    .name:           _ZN7rocprim17ROCPRIM_400000_NS6detail17trampoline_kernelINS0_14default_configENS1_21merge_config_selectorIdNS0_10empty_typeEEEZNS1_10merge_implIS3_N6thrust23THRUST_200600_302600_NS6detail15normal_iteratorINS9_10device_ptrIKdEEEESF_NSB_INSC_IdEEEEPS5_SI_SI_NS9_4lessIdEEEE10hipError_tPvRmT0_T1_T2_T3_T4_T5_mmT6_P12ihipStream_tbEUlT_E_NS1_11comp_targetILNS1_3genE2ELNS1_11target_archE906ELNS1_3gpuE6ELNS1_3repE0EEENS1_30default_config_static_selectorELNS0_4arch9wavefront6targetE1EEEvSP_
    .private_segment_fixed_size: 0
    .sgpr_count:     4
    .sgpr_spill_count: 0
    .symbol:         _ZN7rocprim17ROCPRIM_400000_NS6detail17trampoline_kernelINS0_14default_configENS1_21merge_config_selectorIdNS0_10empty_typeEEEZNS1_10merge_implIS3_N6thrust23THRUST_200600_302600_NS6detail15normal_iteratorINS9_10device_ptrIKdEEEESF_NSB_INSC_IdEEEEPS5_SI_SI_NS9_4lessIdEEEE10hipError_tPvRmT0_T1_T2_T3_T4_T5_mmT6_P12ihipStream_tbEUlT_E_NS1_11comp_targetILNS1_3genE2ELNS1_11target_archE906ELNS1_3gpuE6ELNS1_3repE0EEENS1_30default_config_static_selectorELNS0_4arch9wavefront6targetE1EEEvSP_.kd
    .uniform_work_group_size: 1
    .uses_dynamic_stack: false
    .vgpr_count:     0
    .vgpr_spill_count: 0
    .wavefront_size: 64
  - .agpr_count:     0
    .args:
      - .offset:         0
        .size:           48
        .value_kind:     by_value
    .group_segment_fixed_size: 0
    .kernarg_segment_align: 8
    .kernarg_segment_size: 48
    .language:       OpenCL C
    .language_version:
      - 2
      - 0
    .max_flat_workgroup_size: 512
    .name:           _ZN7rocprim17ROCPRIM_400000_NS6detail17trampoline_kernelINS0_14default_configENS1_21merge_config_selectorIdNS0_10empty_typeEEEZNS1_10merge_implIS3_N6thrust23THRUST_200600_302600_NS6detail15normal_iteratorINS9_10device_ptrIKdEEEESF_NSB_INSC_IdEEEEPS5_SI_SI_NS9_4lessIdEEEE10hipError_tPvRmT0_T1_T2_T3_T4_T5_mmT6_P12ihipStream_tbEUlT_E_NS1_11comp_targetILNS1_3genE10ELNS1_11target_archE1201ELNS1_3gpuE5ELNS1_3repE0EEENS1_30default_config_static_selectorELNS0_4arch9wavefront6targetE1EEEvSP_
    .private_segment_fixed_size: 0
    .sgpr_count:     4
    .sgpr_spill_count: 0
    .symbol:         _ZN7rocprim17ROCPRIM_400000_NS6detail17trampoline_kernelINS0_14default_configENS1_21merge_config_selectorIdNS0_10empty_typeEEEZNS1_10merge_implIS3_N6thrust23THRUST_200600_302600_NS6detail15normal_iteratorINS9_10device_ptrIKdEEEESF_NSB_INSC_IdEEEEPS5_SI_SI_NS9_4lessIdEEEE10hipError_tPvRmT0_T1_T2_T3_T4_T5_mmT6_P12ihipStream_tbEUlT_E_NS1_11comp_targetILNS1_3genE10ELNS1_11target_archE1201ELNS1_3gpuE5ELNS1_3repE0EEENS1_30default_config_static_selectorELNS0_4arch9wavefront6targetE1EEEvSP_.kd
    .uniform_work_group_size: 1
    .uses_dynamic_stack: false
    .vgpr_count:     0
    .vgpr_spill_count: 0
    .wavefront_size: 64
  - .agpr_count:     0
    .args:
      - .offset:         0
        .size:           48
        .value_kind:     by_value
    .group_segment_fixed_size: 0
    .kernarg_segment_align: 8
    .kernarg_segment_size: 48
    .language:       OpenCL C
    .language_version:
      - 2
      - 0
    .max_flat_workgroup_size: 1024
    .name:           _ZN7rocprim17ROCPRIM_400000_NS6detail17trampoline_kernelINS0_14default_configENS1_21merge_config_selectorIdNS0_10empty_typeEEEZNS1_10merge_implIS3_N6thrust23THRUST_200600_302600_NS6detail15normal_iteratorINS9_10device_ptrIKdEEEESF_NSB_INSC_IdEEEEPS5_SI_SI_NS9_4lessIdEEEE10hipError_tPvRmT0_T1_T2_T3_T4_T5_mmT6_P12ihipStream_tbEUlT_E_NS1_11comp_targetILNS1_3genE10ELNS1_11target_archE1200ELNS1_3gpuE4ELNS1_3repE0EEENS1_30default_config_static_selectorELNS0_4arch9wavefront6targetE1EEEvSP_
    .private_segment_fixed_size: 0
    .sgpr_count:     4
    .sgpr_spill_count: 0
    .symbol:         _ZN7rocprim17ROCPRIM_400000_NS6detail17trampoline_kernelINS0_14default_configENS1_21merge_config_selectorIdNS0_10empty_typeEEEZNS1_10merge_implIS3_N6thrust23THRUST_200600_302600_NS6detail15normal_iteratorINS9_10device_ptrIKdEEEESF_NSB_INSC_IdEEEEPS5_SI_SI_NS9_4lessIdEEEE10hipError_tPvRmT0_T1_T2_T3_T4_T5_mmT6_P12ihipStream_tbEUlT_E_NS1_11comp_targetILNS1_3genE10ELNS1_11target_archE1200ELNS1_3gpuE4ELNS1_3repE0EEENS1_30default_config_static_selectorELNS0_4arch9wavefront6targetE1EEEvSP_.kd
    .uniform_work_group_size: 1
    .uses_dynamic_stack: false
    .vgpr_count:     0
    .vgpr_spill_count: 0
    .wavefront_size: 64
  - .agpr_count:     0
    .args:
      - .offset:         0
        .size:           48
        .value_kind:     by_value
    .group_segment_fixed_size: 0
    .kernarg_segment_align: 8
    .kernarg_segment_size: 48
    .language:       OpenCL C
    .language_version:
      - 2
      - 0
    .max_flat_workgroup_size: 1024
    .name:           _ZN7rocprim17ROCPRIM_400000_NS6detail17trampoline_kernelINS0_14default_configENS1_21merge_config_selectorIdNS0_10empty_typeEEEZNS1_10merge_implIS3_N6thrust23THRUST_200600_302600_NS6detail15normal_iteratorINS9_10device_ptrIKdEEEESF_NSB_INSC_IdEEEEPS5_SI_SI_NS9_4lessIdEEEE10hipError_tPvRmT0_T1_T2_T3_T4_T5_mmT6_P12ihipStream_tbEUlT_E_NS1_11comp_targetILNS1_3genE9ELNS1_11target_archE1100ELNS1_3gpuE3ELNS1_3repE0EEENS1_30default_config_static_selectorELNS0_4arch9wavefront6targetE1EEEvSP_
    .private_segment_fixed_size: 0
    .sgpr_count:     4
    .sgpr_spill_count: 0
    .symbol:         _ZN7rocprim17ROCPRIM_400000_NS6detail17trampoline_kernelINS0_14default_configENS1_21merge_config_selectorIdNS0_10empty_typeEEEZNS1_10merge_implIS3_N6thrust23THRUST_200600_302600_NS6detail15normal_iteratorINS9_10device_ptrIKdEEEESF_NSB_INSC_IdEEEEPS5_SI_SI_NS9_4lessIdEEEE10hipError_tPvRmT0_T1_T2_T3_T4_T5_mmT6_P12ihipStream_tbEUlT_E_NS1_11comp_targetILNS1_3genE9ELNS1_11target_archE1100ELNS1_3gpuE3ELNS1_3repE0EEENS1_30default_config_static_selectorELNS0_4arch9wavefront6targetE1EEEvSP_.kd
    .uniform_work_group_size: 1
    .uses_dynamic_stack: false
    .vgpr_count:     0
    .vgpr_spill_count: 0
    .wavefront_size: 64
  - .agpr_count:     0
    .args:
      - .offset:         0
        .size:           48
        .value_kind:     by_value
    .group_segment_fixed_size: 0
    .kernarg_segment_align: 8
    .kernarg_segment_size: 48
    .language:       OpenCL C
    .language_version:
      - 2
      - 0
    .max_flat_workgroup_size: 1024
    .name:           _ZN7rocprim17ROCPRIM_400000_NS6detail17trampoline_kernelINS0_14default_configENS1_21merge_config_selectorIdNS0_10empty_typeEEEZNS1_10merge_implIS3_N6thrust23THRUST_200600_302600_NS6detail15normal_iteratorINS9_10device_ptrIKdEEEESF_NSB_INSC_IdEEEEPS5_SI_SI_NS9_4lessIdEEEE10hipError_tPvRmT0_T1_T2_T3_T4_T5_mmT6_P12ihipStream_tbEUlT_E_NS1_11comp_targetILNS1_3genE8ELNS1_11target_archE1030ELNS1_3gpuE2ELNS1_3repE0EEENS1_30default_config_static_selectorELNS0_4arch9wavefront6targetE1EEEvSP_
    .private_segment_fixed_size: 0
    .sgpr_count:     4
    .sgpr_spill_count: 0
    .symbol:         _ZN7rocprim17ROCPRIM_400000_NS6detail17trampoline_kernelINS0_14default_configENS1_21merge_config_selectorIdNS0_10empty_typeEEEZNS1_10merge_implIS3_N6thrust23THRUST_200600_302600_NS6detail15normal_iteratorINS9_10device_ptrIKdEEEESF_NSB_INSC_IdEEEEPS5_SI_SI_NS9_4lessIdEEEE10hipError_tPvRmT0_T1_T2_T3_T4_T5_mmT6_P12ihipStream_tbEUlT_E_NS1_11comp_targetILNS1_3genE8ELNS1_11target_archE1030ELNS1_3gpuE2ELNS1_3repE0EEENS1_30default_config_static_selectorELNS0_4arch9wavefront6targetE1EEEvSP_.kd
    .uniform_work_group_size: 1
    .uses_dynamic_stack: false
    .vgpr_count:     0
    .vgpr_spill_count: 0
    .wavefront_size: 64
  - .agpr_count:     0
    .args:
      - .offset:         0
        .size:           88
        .value_kind:     by_value
    .group_segment_fixed_size: 0
    .kernarg_segment_align: 8
    .kernarg_segment_size: 88
    .language:       OpenCL C
    .language_version:
      - 2
      - 0
    .max_flat_workgroup_size: 256
    .name:           _ZN7rocprim17ROCPRIM_400000_NS6detail17trampoline_kernelINS0_14default_configENS1_21merge_config_selectorIdNS0_10empty_typeEEEZNS1_10merge_implIS3_N6thrust23THRUST_200600_302600_NS6detail15normal_iteratorINS9_10device_ptrIKdEEEESF_NSB_INSC_IdEEEEPS5_SI_SI_NS9_4lessIdEEEE10hipError_tPvRmT0_T1_T2_T3_T4_T5_mmT6_P12ihipStream_tbEUlT_E0_NS1_11comp_targetILNS1_3genE0ELNS1_11target_archE4294967295ELNS1_3gpuE0ELNS1_3repE0EEENS1_30default_config_static_selectorELNS0_4arch9wavefront6targetE1EEEvSP_
    .private_segment_fixed_size: 0
    .sgpr_count:     4
    .sgpr_spill_count: 0
    .symbol:         _ZN7rocprim17ROCPRIM_400000_NS6detail17trampoline_kernelINS0_14default_configENS1_21merge_config_selectorIdNS0_10empty_typeEEEZNS1_10merge_implIS3_N6thrust23THRUST_200600_302600_NS6detail15normal_iteratorINS9_10device_ptrIKdEEEESF_NSB_INSC_IdEEEEPS5_SI_SI_NS9_4lessIdEEEE10hipError_tPvRmT0_T1_T2_T3_T4_T5_mmT6_P12ihipStream_tbEUlT_E0_NS1_11comp_targetILNS1_3genE0ELNS1_11target_archE4294967295ELNS1_3gpuE0ELNS1_3repE0EEENS1_30default_config_static_selectorELNS0_4arch9wavefront6targetE1EEEvSP_.kd
    .uniform_work_group_size: 1
    .uses_dynamic_stack: false
    .vgpr_count:     0
    .vgpr_spill_count: 0
    .wavefront_size: 64
  - .agpr_count:     0
    .args:
      - .offset:         0
        .size:           88
        .value_kind:     by_value
    .group_segment_fixed_size: 0
    .kernarg_segment_align: 8
    .kernarg_segment_size: 88
    .language:       OpenCL C
    .language_version:
      - 2
      - 0
    .max_flat_workgroup_size: 256
    .name:           _ZN7rocprim17ROCPRIM_400000_NS6detail17trampoline_kernelINS0_14default_configENS1_21merge_config_selectorIdNS0_10empty_typeEEEZNS1_10merge_implIS3_N6thrust23THRUST_200600_302600_NS6detail15normal_iteratorINS9_10device_ptrIKdEEEESF_NSB_INSC_IdEEEEPS5_SI_SI_NS9_4lessIdEEEE10hipError_tPvRmT0_T1_T2_T3_T4_T5_mmT6_P12ihipStream_tbEUlT_E0_NS1_11comp_targetILNS1_3genE5ELNS1_11target_archE942ELNS1_3gpuE9ELNS1_3repE0EEENS1_30default_config_static_selectorELNS0_4arch9wavefront6targetE1EEEvSP_
    .private_segment_fixed_size: 0
    .sgpr_count:     4
    .sgpr_spill_count: 0
    .symbol:         _ZN7rocprim17ROCPRIM_400000_NS6detail17trampoline_kernelINS0_14default_configENS1_21merge_config_selectorIdNS0_10empty_typeEEEZNS1_10merge_implIS3_N6thrust23THRUST_200600_302600_NS6detail15normal_iteratorINS9_10device_ptrIKdEEEESF_NSB_INSC_IdEEEEPS5_SI_SI_NS9_4lessIdEEEE10hipError_tPvRmT0_T1_T2_T3_T4_T5_mmT6_P12ihipStream_tbEUlT_E0_NS1_11comp_targetILNS1_3genE5ELNS1_11target_archE942ELNS1_3gpuE9ELNS1_3repE0EEENS1_30default_config_static_selectorELNS0_4arch9wavefront6targetE1EEEvSP_.kd
    .uniform_work_group_size: 1
    .uses_dynamic_stack: false
    .vgpr_count:     0
    .vgpr_spill_count: 0
    .wavefront_size: 64
  - .agpr_count:     0
    .args:
      - .offset:         0
        .size:           88
        .value_kind:     by_value
    .group_segment_fixed_size: 8448
    .kernarg_segment_align: 8
    .kernarg_segment_size: 88
    .language:       OpenCL C
    .language_version:
      - 2
      - 0
    .max_flat_workgroup_size: 256
    .name:           _ZN7rocprim17ROCPRIM_400000_NS6detail17trampoline_kernelINS0_14default_configENS1_21merge_config_selectorIdNS0_10empty_typeEEEZNS1_10merge_implIS3_N6thrust23THRUST_200600_302600_NS6detail15normal_iteratorINS9_10device_ptrIKdEEEESF_NSB_INSC_IdEEEEPS5_SI_SI_NS9_4lessIdEEEE10hipError_tPvRmT0_T1_T2_T3_T4_T5_mmT6_P12ihipStream_tbEUlT_E0_NS1_11comp_targetILNS1_3genE4ELNS1_11target_archE910ELNS1_3gpuE8ELNS1_3repE0EEENS1_30default_config_static_selectorELNS0_4arch9wavefront6targetE1EEEvSP_
    .private_segment_fixed_size: 0
    .sgpr_count:     22
    .sgpr_spill_count: 0
    .symbol:         _ZN7rocprim17ROCPRIM_400000_NS6detail17trampoline_kernelINS0_14default_configENS1_21merge_config_selectorIdNS0_10empty_typeEEEZNS1_10merge_implIS3_N6thrust23THRUST_200600_302600_NS6detail15normal_iteratorINS9_10device_ptrIKdEEEESF_NSB_INSC_IdEEEEPS5_SI_SI_NS9_4lessIdEEEE10hipError_tPvRmT0_T1_T2_T3_T4_T5_mmT6_P12ihipStream_tbEUlT_E0_NS1_11comp_targetILNS1_3genE4ELNS1_11target_archE910ELNS1_3gpuE8ELNS1_3repE0EEENS1_30default_config_static_selectorELNS0_4arch9wavefront6targetE1EEEvSP_.kd
    .uniform_work_group_size: 1
    .uses_dynamic_stack: false
    .vgpr_count:     23
    .vgpr_spill_count: 0
    .wavefront_size: 64
  - .agpr_count:     0
    .args:
      - .offset:         0
        .size:           88
        .value_kind:     by_value
    .group_segment_fixed_size: 0
    .kernarg_segment_align: 8
    .kernarg_segment_size: 88
    .language:       OpenCL C
    .language_version:
      - 2
      - 0
    .max_flat_workgroup_size: 256
    .name:           _ZN7rocprim17ROCPRIM_400000_NS6detail17trampoline_kernelINS0_14default_configENS1_21merge_config_selectorIdNS0_10empty_typeEEEZNS1_10merge_implIS3_N6thrust23THRUST_200600_302600_NS6detail15normal_iteratorINS9_10device_ptrIKdEEEESF_NSB_INSC_IdEEEEPS5_SI_SI_NS9_4lessIdEEEE10hipError_tPvRmT0_T1_T2_T3_T4_T5_mmT6_P12ihipStream_tbEUlT_E0_NS1_11comp_targetILNS1_3genE3ELNS1_11target_archE908ELNS1_3gpuE7ELNS1_3repE0EEENS1_30default_config_static_selectorELNS0_4arch9wavefront6targetE1EEEvSP_
    .private_segment_fixed_size: 0
    .sgpr_count:     4
    .sgpr_spill_count: 0
    .symbol:         _ZN7rocprim17ROCPRIM_400000_NS6detail17trampoline_kernelINS0_14default_configENS1_21merge_config_selectorIdNS0_10empty_typeEEEZNS1_10merge_implIS3_N6thrust23THRUST_200600_302600_NS6detail15normal_iteratorINS9_10device_ptrIKdEEEESF_NSB_INSC_IdEEEEPS5_SI_SI_NS9_4lessIdEEEE10hipError_tPvRmT0_T1_T2_T3_T4_T5_mmT6_P12ihipStream_tbEUlT_E0_NS1_11comp_targetILNS1_3genE3ELNS1_11target_archE908ELNS1_3gpuE7ELNS1_3repE0EEENS1_30default_config_static_selectorELNS0_4arch9wavefront6targetE1EEEvSP_.kd
    .uniform_work_group_size: 1
    .uses_dynamic_stack: false
    .vgpr_count:     0
    .vgpr_spill_count: 0
    .wavefront_size: 64
  - .agpr_count:     0
    .args:
      - .offset:         0
        .size:           88
        .value_kind:     by_value
    .group_segment_fixed_size: 0
    .kernarg_segment_align: 8
    .kernarg_segment_size: 88
    .language:       OpenCL C
    .language_version:
      - 2
      - 0
    .max_flat_workgroup_size: 256
    .name:           _ZN7rocprim17ROCPRIM_400000_NS6detail17trampoline_kernelINS0_14default_configENS1_21merge_config_selectorIdNS0_10empty_typeEEEZNS1_10merge_implIS3_N6thrust23THRUST_200600_302600_NS6detail15normal_iteratorINS9_10device_ptrIKdEEEESF_NSB_INSC_IdEEEEPS5_SI_SI_NS9_4lessIdEEEE10hipError_tPvRmT0_T1_T2_T3_T4_T5_mmT6_P12ihipStream_tbEUlT_E0_NS1_11comp_targetILNS1_3genE2ELNS1_11target_archE906ELNS1_3gpuE6ELNS1_3repE0EEENS1_30default_config_static_selectorELNS0_4arch9wavefront6targetE1EEEvSP_
    .private_segment_fixed_size: 0
    .sgpr_count:     4
    .sgpr_spill_count: 0
    .symbol:         _ZN7rocprim17ROCPRIM_400000_NS6detail17trampoline_kernelINS0_14default_configENS1_21merge_config_selectorIdNS0_10empty_typeEEEZNS1_10merge_implIS3_N6thrust23THRUST_200600_302600_NS6detail15normal_iteratorINS9_10device_ptrIKdEEEESF_NSB_INSC_IdEEEEPS5_SI_SI_NS9_4lessIdEEEE10hipError_tPvRmT0_T1_T2_T3_T4_T5_mmT6_P12ihipStream_tbEUlT_E0_NS1_11comp_targetILNS1_3genE2ELNS1_11target_archE906ELNS1_3gpuE6ELNS1_3repE0EEENS1_30default_config_static_selectorELNS0_4arch9wavefront6targetE1EEEvSP_.kd
    .uniform_work_group_size: 1
    .uses_dynamic_stack: false
    .vgpr_count:     0
    .vgpr_spill_count: 0
    .wavefront_size: 64
  - .agpr_count:     0
    .args:
      - .offset:         0
        .size:           88
        .value_kind:     by_value
    .group_segment_fixed_size: 0
    .kernarg_segment_align: 8
    .kernarg_segment_size: 88
    .language:       OpenCL C
    .language_version:
      - 2
      - 0
    .max_flat_workgroup_size: 512
    .name:           _ZN7rocprim17ROCPRIM_400000_NS6detail17trampoline_kernelINS0_14default_configENS1_21merge_config_selectorIdNS0_10empty_typeEEEZNS1_10merge_implIS3_N6thrust23THRUST_200600_302600_NS6detail15normal_iteratorINS9_10device_ptrIKdEEEESF_NSB_INSC_IdEEEEPS5_SI_SI_NS9_4lessIdEEEE10hipError_tPvRmT0_T1_T2_T3_T4_T5_mmT6_P12ihipStream_tbEUlT_E0_NS1_11comp_targetILNS1_3genE10ELNS1_11target_archE1201ELNS1_3gpuE5ELNS1_3repE0EEENS1_30default_config_static_selectorELNS0_4arch9wavefront6targetE1EEEvSP_
    .private_segment_fixed_size: 0
    .sgpr_count:     4
    .sgpr_spill_count: 0
    .symbol:         _ZN7rocprim17ROCPRIM_400000_NS6detail17trampoline_kernelINS0_14default_configENS1_21merge_config_selectorIdNS0_10empty_typeEEEZNS1_10merge_implIS3_N6thrust23THRUST_200600_302600_NS6detail15normal_iteratorINS9_10device_ptrIKdEEEESF_NSB_INSC_IdEEEEPS5_SI_SI_NS9_4lessIdEEEE10hipError_tPvRmT0_T1_T2_T3_T4_T5_mmT6_P12ihipStream_tbEUlT_E0_NS1_11comp_targetILNS1_3genE10ELNS1_11target_archE1201ELNS1_3gpuE5ELNS1_3repE0EEENS1_30default_config_static_selectorELNS0_4arch9wavefront6targetE1EEEvSP_.kd
    .uniform_work_group_size: 1
    .uses_dynamic_stack: false
    .vgpr_count:     0
    .vgpr_spill_count: 0
    .wavefront_size: 64
  - .agpr_count:     0
    .args:
      - .offset:         0
        .size:           88
        .value_kind:     by_value
    .group_segment_fixed_size: 0
    .kernarg_segment_align: 8
    .kernarg_segment_size: 88
    .language:       OpenCL C
    .language_version:
      - 2
      - 0
    .max_flat_workgroup_size: 1024
    .name:           _ZN7rocprim17ROCPRIM_400000_NS6detail17trampoline_kernelINS0_14default_configENS1_21merge_config_selectorIdNS0_10empty_typeEEEZNS1_10merge_implIS3_N6thrust23THRUST_200600_302600_NS6detail15normal_iteratorINS9_10device_ptrIKdEEEESF_NSB_INSC_IdEEEEPS5_SI_SI_NS9_4lessIdEEEE10hipError_tPvRmT0_T1_T2_T3_T4_T5_mmT6_P12ihipStream_tbEUlT_E0_NS1_11comp_targetILNS1_3genE10ELNS1_11target_archE1200ELNS1_3gpuE4ELNS1_3repE0EEENS1_30default_config_static_selectorELNS0_4arch9wavefront6targetE1EEEvSP_
    .private_segment_fixed_size: 0
    .sgpr_count:     4
    .sgpr_spill_count: 0
    .symbol:         _ZN7rocprim17ROCPRIM_400000_NS6detail17trampoline_kernelINS0_14default_configENS1_21merge_config_selectorIdNS0_10empty_typeEEEZNS1_10merge_implIS3_N6thrust23THRUST_200600_302600_NS6detail15normal_iteratorINS9_10device_ptrIKdEEEESF_NSB_INSC_IdEEEEPS5_SI_SI_NS9_4lessIdEEEE10hipError_tPvRmT0_T1_T2_T3_T4_T5_mmT6_P12ihipStream_tbEUlT_E0_NS1_11comp_targetILNS1_3genE10ELNS1_11target_archE1200ELNS1_3gpuE4ELNS1_3repE0EEENS1_30default_config_static_selectorELNS0_4arch9wavefront6targetE1EEEvSP_.kd
    .uniform_work_group_size: 1
    .uses_dynamic_stack: false
    .vgpr_count:     0
    .vgpr_spill_count: 0
    .wavefront_size: 64
  - .agpr_count:     0
    .args:
      - .offset:         0
        .size:           88
        .value_kind:     by_value
    .group_segment_fixed_size: 0
    .kernarg_segment_align: 8
    .kernarg_segment_size: 88
    .language:       OpenCL C
    .language_version:
      - 2
      - 0
    .max_flat_workgroup_size: 1024
    .name:           _ZN7rocprim17ROCPRIM_400000_NS6detail17trampoline_kernelINS0_14default_configENS1_21merge_config_selectorIdNS0_10empty_typeEEEZNS1_10merge_implIS3_N6thrust23THRUST_200600_302600_NS6detail15normal_iteratorINS9_10device_ptrIKdEEEESF_NSB_INSC_IdEEEEPS5_SI_SI_NS9_4lessIdEEEE10hipError_tPvRmT0_T1_T2_T3_T4_T5_mmT6_P12ihipStream_tbEUlT_E0_NS1_11comp_targetILNS1_3genE9ELNS1_11target_archE1100ELNS1_3gpuE3ELNS1_3repE0EEENS1_30default_config_static_selectorELNS0_4arch9wavefront6targetE1EEEvSP_
    .private_segment_fixed_size: 0
    .sgpr_count:     4
    .sgpr_spill_count: 0
    .symbol:         _ZN7rocprim17ROCPRIM_400000_NS6detail17trampoline_kernelINS0_14default_configENS1_21merge_config_selectorIdNS0_10empty_typeEEEZNS1_10merge_implIS3_N6thrust23THRUST_200600_302600_NS6detail15normal_iteratorINS9_10device_ptrIKdEEEESF_NSB_INSC_IdEEEEPS5_SI_SI_NS9_4lessIdEEEE10hipError_tPvRmT0_T1_T2_T3_T4_T5_mmT6_P12ihipStream_tbEUlT_E0_NS1_11comp_targetILNS1_3genE9ELNS1_11target_archE1100ELNS1_3gpuE3ELNS1_3repE0EEENS1_30default_config_static_selectorELNS0_4arch9wavefront6targetE1EEEvSP_.kd
    .uniform_work_group_size: 1
    .uses_dynamic_stack: false
    .vgpr_count:     0
    .vgpr_spill_count: 0
    .wavefront_size: 64
  - .agpr_count:     0
    .args:
      - .offset:         0
        .size:           88
        .value_kind:     by_value
    .group_segment_fixed_size: 0
    .kernarg_segment_align: 8
    .kernarg_segment_size: 88
    .language:       OpenCL C
    .language_version:
      - 2
      - 0
    .max_flat_workgroup_size: 1024
    .name:           _ZN7rocprim17ROCPRIM_400000_NS6detail17trampoline_kernelINS0_14default_configENS1_21merge_config_selectorIdNS0_10empty_typeEEEZNS1_10merge_implIS3_N6thrust23THRUST_200600_302600_NS6detail15normal_iteratorINS9_10device_ptrIKdEEEESF_NSB_INSC_IdEEEEPS5_SI_SI_NS9_4lessIdEEEE10hipError_tPvRmT0_T1_T2_T3_T4_T5_mmT6_P12ihipStream_tbEUlT_E0_NS1_11comp_targetILNS1_3genE8ELNS1_11target_archE1030ELNS1_3gpuE2ELNS1_3repE0EEENS1_30default_config_static_selectorELNS0_4arch9wavefront6targetE1EEEvSP_
    .private_segment_fixed_size: 0
    .sgpr_count:     4
    .sgpr_spill_count: 0
    .symbol:         _ZN7rocprim17ROCPRIM_400000_NS6detail17trampoline_kernelINS0_14default_configENS1_21merge_config_selectorIdNS0_10empty_typeEEEZNS1_10merge_implIS3_N6thrust23THRUST_200600_302600_NS6detail15normal_iteratorINS9_10device_ptrIKdEEEESF_NSB_INSC_IdEEEEPS5_SI_SI_NS9_4lessIdEEEE10hipError_tPvRmT0_T1_T2_T3_T4_T5_mmT6_P12ihipStream_tbEUlT_E0_NS1_11comp_targetILNS1_3genE8ELNS1_11target_archE1030ELNS1_3gpuE2ELNS1_3repE0EEENS1_30default_config_static_selectorELNS0_4arch9wavefront6targetE1EEEvSP_.kd
    .uniform_work_group_size: 1
    .uses_dynamic_stack: false
    .vgpr_count:     0
    .vgpr_spill_count: 0
    .wavefront_size: 64
  - .agpr_count:     0
    .args:
      - .offset:         0
        .size:           72
        .value_kind:     by_value
    .group_segment_fixed_size: 0
    .kernarg_segment_align: 8
    .kernarg_segment_size: 72
    .language:       OpenCL C
    .language_version:
      - 2
      - 0
    .max_flat_workgroup_size: 128
    .name:           _ZN7rocprim17ROCPRIM_400000_NS6detail17trampoline_kernelINS0_14default_configENS1_22reduce_config_selectorIN6thrust23THRUST_200600_302600_NS5tupleIblNS6_9null_typeES8_S8_S8_S8_S8_S8_S8_EEEEZNS1_11reduce_implILb1ES3_PS9_SC_S9_NS6_11hip_rocprim9__find_if7functorIS9_EEEE10hipError_tPvRmT1_T2_T3_mT4_P12ihipStream_tbEUlT_E0_NS1_11comp_targetILNS1_3genE0ELNS1_11target_archE4294967295ELNS1_3gpuE0ELNS1_3repE0EEENS1_30default_config_static_selectorELNS0_4arch9wavefront6targetE1EEEvSK_
    .private_segment_fixed_size: 0
    .sgpr_count:     4
    .sgpr_spill_count: 0
    .symbol:         _ZN7rocprim17ROCPRIM_400000_NS6detail17trampoline_kernelINS0_14default_configENS1_22reduce_config_selectorIN6thrust23THRUST_200600_302600_NS5tupleIblNS6_9null_typeES8_S8_S8_S8_S8_S8_S8_EEEEZNS1_11reduce_implILb1ES3_PS9_SC_S9_NS6_11hip_rocprim9__find_if7functorIS9_EEEE10hipError_tPvRmT1_T2_T3_mT4_P12ihipStream_tbEUlT_E0_NS1_11comp_targetILNS1_3genE0ELNS1_11target_archE4294967295ELNS1_3gpuE0ELNS1_3repE0EEENS1_30default_config_static_selectorELNS0_4arch9wavefront6targetE1EEEvSK_.kd
    .uniform_work_group_size: 1
    .uses_dynamic_stack: false
    .vgpr_count:     0
    .vgpr_spill_count: 0
    .wavefront_size: 64
  - .agpr_count:     0
    .args:
      - .offset:         0
        .size:           72
        .value_kind:     by_value
    .group_segment_fixed_size: 0
    .kernarg_segment_align: 8
    .kernarg_segment_size: 72
    .language:       OpenCL C
    .language_version:
      - 2
      - 0
    .max_flat_workgroup_size: 256
    .name:           _ZN7rocprim17ROCPRIM_400000_NS6detail17trampoline_kernelINS0_14default_configENS1_22reduce_config_selectorIN6thrust23THRUST_200600_302600_NS5tupleIblNS6_9null_typeES8_S8_S8_S8_S8_S8_S8_EEEEZNS1_11reduce_implILb1ES3_PS9_SC_S9_NS6_11hip_rocprim9__find_if7functorIS9_EEEE10hipError_tPvRmT1_T2_T3_mT4_P12ihipStream_tbEUlT_E0_NS1_11comp_targetILNS1_3genE5ELNS1_11target_archE942ELNS1_3gpuE9ELNS1_3repE0EEENS1_30default_config_static_selectorELNS0_4arch9wavefront6targetE1EEEvSK_
    .private_segment_fixed_size: 0
    .sgpr_count:     4
    .sgpr_spill_count: 0
    .symbol:         _ZN7rocprim17ROCPRIM_400000_NS6detail17trampoline_kernelINS0_14default_configENS1_22reduce_config_selectorIN6thrust23THRUST_200600_302600_NS5tupleIblNS6_9null_typeES8_S8_S8_S8_S8_S8_S8_EEEEZNS1_11reduce_implILb1ES3_PS9_SC_S9_NS6_11hip_rocprim9__find_if7functorIS9_EEEE10hipError_tPvRmT1_T2_T3_mT4_P12ihipStream_tbEUlT_E0_NS1_11comp_targetILNS1_3genE5ELNS1_11target_archE942ELNS1_3gpuE9ELNS1_3repE0EEENS1_30default_config_static_selectorELNS0_4arch9wavefront6targetE1EEEvSK_.kd
    .uniform_work_group_size: 1
    .uses_dynamic_stack: false
    .vgpr_count:     0
    .vgpr_spill_count: 0
    .wavefront_size: 64
  - .agpr_count:     0
    .args:
      - .offset:         0
        .size:           72
        .value_kind:     by_value
    .group_segment_fixed_size: 128
    .kernarg_segment_align: 8
    .kernarg_segment_size: 72
    .language:       OpenCL C
    .language_version:
      - 2
      - 0
    .max_flat_workgroup_size: 256
    .name:           _ZN7rocprim17ROCPRIM_400000_NS6detail17trampoline_kernelINS0_14default_configENS1_22reduce_config_selectorIN6thrust23THRUST_200600_302600_NS5tupleIblNS6_9null_typeES8_S8_S8_S8_S8_S8_S8_EEEEZNS1_11reduce_implILb1ES3_PS9_SC_S9_NS6_11hip_rocprim9__find_if7functorIS9_EEEE10hipError_tPvRmT1_T2_T3_mT4_P12ihipStream_tbEUlT_E0_NS1_11comp_targetILNS1_3genE4ELNS1_11target_archE910ELNS1_3gpuE8ELNS1_3repE0EEENS1_30default_config_static_selectorELNS0_4arch9wavefront6targetE1EEEvSK_
    .private_segment_fixed_size: 0
    .sgpr_count:     26
    .sgpr_spill_count: 0
    .symbol:         _ZN7rocprim17ROCPRIM_400000_NS6detail17trampoline_kernelINS0_14default_configENS1_22reduce_config_selectorIN6thrust23THRUST_200600_302600_NS5tupleIblNS6_9null_typeES8_S8_S8_S8_S8_S8_S8_EEEEZNS1_11reduce_implILb1ES3_PS9_SC_S9_NS6_11hip_rocprim9__find_if7functorIS9_EEEE10hipError_tPvRmT1_T2_T3_mT4_P12ihipStream_tbEUlT_E0_NS1_11comp_targetILNS1_3genE4ELNS1_11target_archE910ELNS1_3gpuE8ELNS1_3repE0EEENS1_30default_config_static_selectorELNS0_4arch9wavefront6targetE1EEEvSK_.kd
    .uniform_work_group_size: 1
    .uses_dynamic_stack: false
    .vgpr_count:     12
    .vgpr_spill_count: 0
    .wavefront_size: 64
  - .agpr_count:     0
    .args:
      - .offset:         0
        .size:           72
        .value_kind:     by_value
    .group_segment_fixed_size: 0
    .kernarg_segment_align: 8
    .kernarg_segment_size: 72
    .language:       OpenCL C
    .language_version:
      - 2
      - 0
    .max_flat_workgroup_size: 128
    .name:           _ZN7rocprim17ROCPRIM_400000_NS6detail17trampoline_kernelINS0_14default_configENS1_22reduce_config_selectorIN6thrust23THRUST_200600_302600_NS5tupleIblNS6_9null_typeES8_S8_S8_S8_S8_S8_S8_EEEEZNS1_11reduce_implILb1ES3_PS9_SC_S9_NS6_11hip_rocprim9__find_if7functorIS9_EEEE10hipError_tPvRmT1_T2_T3_mT4_P12ihipStream_tbEUlT_E0_NS1_11comp_targetILNS1_3genE3ELNS1_11target_archE908ELNS1_3gpuE7ELNS1_3repE0EEENS1_30default_config_static_selectorELNS0_4arch9wavefront6targetE1EEEvSK_
    .private_segment_fixed_size: 0
    .sgpr_count:     4
    .sgpr_spill_count: 0
    .symbol:         _ZN7rocprim17ROCPRIM_400000_NS6detail17trampoline_kernelINS0_14default_configENS1_22reduce_config_selectorIN6thrust23THRUST_200600_302600_NS5tupleIblNS6_9null_typeES8_S8_S8_S8_S8_S8_S8_EEEEZNS1_11reduce_implILb1ES3_PS9_SC_S9_NS6_11hip_rocprim9__find_if7functorIS9_EEEE10hipError_tPvRmT1_T2_T3_mT4_P12ihipStream_tbEUlT_E0_NS1_11comp_targetILNS1_3genE3ELNS1_11target_archE908ELNS1_3gpuE7ELNS1_3repE0EEENS1_30default_config_static_selectorELNS0_4arch9wavefront6targetE1EEEvSK_.kd
    .uniform_work_group_size: 1
    .uses_dynamic_stack: false
    .vgpr_count:     0
    .vgpr_spill_count: 0
    .wavefront_size: 64
  - .agpr_count:     0
    .args:
      - .offset:         0
        .size:           72
        .value_kind:     by_value
    .group_segment_fixed_size: 0
    .kernarg_segment_align: 8
    .kernarg_segment_size: 72
    .language:       OpenCL C
    .language_version:
      - 2
      - 0
    .max_flat_workgroup_size: 128
    .name:           _ZN7rocprim17ROCPRIM_400000_NS6detail17trampoline_kernelINS0_14default_configENS1_22reduce_config_selectorIN6thrust23THRUST_200600_302600_NS5tupleIblNS6_9null_typeES8_S8_S8_S8_S8_S8_S8_EEEEZNS1_11reduce_implILb1ES3_PS9_SC_S9_NS6_11hip_rocprim9__find_if7functorIS9_EEEE10hipError_tPvRmT1_T2_T3_mT4_P12ihipStream_tbEUlT_E0_NS1_11comp_targetILNS1_3genE2ELNS1_11target_archE906ELNS1_3gpuE6ELNS1_3repE0EEENS1_30default_config_static_selectorELNS0_4arch9wavefront6targetE1EEEvSK_
    .private_segment_fixed_size: 0
    .sgpr_count:     4
    .sgpr_spill_count: 0
    .symbol:         _ZN7rocprim17ROCPRIM_400000_NS6detail17trampoline_kernelINS0_14default_configENS1_22reduce_config_selectorIN6thrust23THRUST_200600_302600_NS5tupleIblNS6_9null_typeES8_S8_S8_S8_S8_S8_S8_EEEEZNS1_11reduce_implILb1ES3_PS9_SC_S9_NS6_11hip_rocprim9__find_if7functorIS9_EEEE10hipError_tPvRmT1_T2_T3_mT4_P12ihipStream_tbEUlT_E0_NS1_11comp_targetILNS1_3genE2ELNS1_11target_archE906ELNS1_3gpuE6ELNS1_3repE0EEENS1_30default_config_static_selectorELNS0_4arch9wavefront6targetE1EEEvSK_.kd
    .uniform_work_group_size: 1
    .uses_dynamic_stack: false
    .vgpr_count:     0
    .vgpr_spill_count: 0
    .wavefront_size: 64
  - .agpr_count:     0
    .args:
      - .offset:         0
        .size:           72
        .value_kind:     by_value
    .group_segment_fixed_size: 0
    .kernarg_segment_align: 8
    .kernarg_segment_size: 72
    .language:       OpenCL C
    .language_version:
      - 2
      - 0
    .max_flat_workgroup_size: 256
    .name:           _ZN7rocprim17ROCPRIM_400000_NS6detail17trampoline_kernelINS0_14default_configENS1_22reduce_config_selectorIN6thrust23THRUST_200600_302600_NS5tupleIblNS6_9null_typeES8_S8_S8_S8_S8_S8_S8_EEEEZNS1_11reduce_implILb1ES3_PS9_SC_S9_NS6_11hip_rocprim9__find_if7functorIS9_EEEE10hipError_tPvRmT1_T2_T3_mT4_P12ihipStream_tbEUlT_E0_NS1_11comp_targetILNS1_3genE10ELNS1_11target_archE1201ELNS1_3gpuE5ELNS1_3repE0EEENS1_30default_config_static_selectorELNS0_4arch9wavefront6targetE1EEEvSK_
    .private_segment_fixed_size: 0
    .sgpr_count:     4
    .sgpr_spill_count: 0
    .symbol:         _ZN7rocprim17ROCPRIM_400000_NS6detail17trampoline_kernelINS0_14default_configENS1_22reduce_config_selectorIN6thrust23THRUST_200600_302600_NS5tupleIblNS6_9null_typeES8_S8_S8_S8_S8_S8_S8_EEEEZNS1_11reduce_implILb1ES3_PS9_SC_S9_NS6_11hip_rocprim9__find_if7functorIS9_EEEE10hipError_tPvRmT1_T2_T3_mT4_P12ihipStream_tbEUlT_E0_NS1_11comp_targetILNS1_3genE10ELNS1_11target_archE1201ELNS1_3gpuE5ELNS1_3repE0EEENS1_30default_config_static_selectorELNS0_4arch9wavefront6targetE1EEEvSK_.kd
    .uniform_work_group_size: 1
    .uses_dynamic_stack: false
    .vgpr_count:     0
    .vgpr_spill_count: 0
    .wavefront_size: 64
  - .agpr_count:     0
    .args:
      - .offset:         0
        .size:           72
        .value_kind:     by_value
    .group_segment_fixed_size: 0
    .kernarg_segment_align: 8
    .kernarg_segment_size: 72
    .language:       OpenCL C
    .language_version:
      - 2
      - 0
    .max_flat_workgroup_size: 256
    .name:           _ZN7rocprim17ROCPRIM_400000_NS6detail17trampoline_kernelINS0_14default_configENS1_22reduce_config_selectorIN6thrust23THRUST_200600_302600_NS5tupleIblNS6_9null_typeES8_S8_S8_S8_S8_S8_S8_EEEEZNS1_11reduce_implILb1ES3_PS9_SC_S9_NS6_11hip_rocprim9__find_if7functorIS9_EEEE10hipError_tPvRmT1_T2_T3_mT4_P12ihipStream_tbEUlT_E0_NS1_11comp_targetILNS1_3genE10ELNS1_11target_archE1200ELNS1_3gpuE4ELNS1_3repE0EEENS1_30default_config_static_selectorELNS0_4arch9wavefront6targetE1EEEvSK_
    .private_segment_fixed_size: 0
    .sgpr_count:     4
    .sgpr_spill_count: 0
    .symbol:         _ZN7rocprim17ROCPRIM_400000_NS6detail17trampoline_kernelINS0_14default_configENS1_22reduce_config_selectorIN6thrust23THRUST_200600_302600_NS5tupleIblNS6_9null_typeES8_S8_S8_S8_S8_S8_S8_EEEEZNS1_11reduce_implILb1ES3_PS9_SC_S9_NS6_11hip_rocprim9__find_if7functorIS9_EEEE10hipError_tPvRmT1_T2_T3_mT4_P12ihipStream_tbEUlT_E0_NS1_11comp_targetILNS1_3genE10ELNS1_11target_archE1200ELNS1_3gpuE4ELNS1_3repE0EEENS1_30default_config_static_selectorELNS0_4arch9wavefront6targetE1EEEvSK_.kd
    .uniform_work_group_size: 1
    .uses_dynamic_stack: false
    .vgpr_count:     0
    .vgpr_spill_count: 0
    .wavefront_size: 64
  - .agpr_count:     0
    .args:
      - .offset:         0
        .size:           72
        .value_kind:     by_value
    .group_segment_fixed_size: 0
    .kernarg_segment_align: 8
    .kernarg_segment_size: 72
    .language:       OpenCL C
    .language_version:
      - 2
      - 0
    .max_flat_workgroup_size: 256
    .name:           _ZN7rocprim17ROCPRIM_400000_NS6detail17trampoline_kernelINS0_14default_configENS1_22reduce_config_selectorIN6thrust23THRUST_200600_302600_NS5tupleIblNS6_9null_typeES8_S8_S8_S8_S8_S8_S8_EEEEZNS1_11reduce_implILb1ES3_PS9_SC_S9_NS6_11hip_rocprim9__find_if7functorIS9_EEEE10hipError_tPvRmT1_T2_T3_mT4_P12ihipStream_tbEUlT_E0_NS1_11comp_targetILNS1_3genE9ELNS1_11target_archE1100ELNS1_3gpuE3ELNS1_3repE0EEENS1_30default_config_static_selectorELNS0_4arch9wavefront6targetE1EEEvSK_
    .private_segment_fixed_size: 0
    .sgpr_count:     4
    .sgpr_spill_count: 0
    .symbol:         _ZN7rocprim17ROCPRIM_400000_NS6detail17trampoline_kernelINS0_14default_configENS1_22reduce_config_selectorIN6thrust23THRUST_200600_302600_NS5tupleIblNS6_9null_typeES8_S8_S8_S8_S8_S8_S8_EEEEZNS1_11reduce_implILb1ES3_PS9_SC_S9_NS6_11hip_rocprim9__find_if7functorIS9_EEEE10hipError_tPvRmT1_T2_T3_mT4_P12ihipStream_tbEUlT_E0_NS1_11comp_targetILNS1_3genE9ELNS1_11target_archE1100ELNS1_3gpuE3ELNS1_3repE0EEENS1_30default_config_static_selectorELNS0_4arch9wavefront6targetE1EEEvSK_.kd
    .uniform_work_group_size: 1
    .uses_dynamic_stack: false
    .vgpr_count:     0
    .vgpr_spill_count: 0
    .wavefront_size: 64
  - .agpr_count:     0
    .args:
      - .offset:         0
        .size:           72
        .value_kind:     by_value
    .group_segment_fixed_size: 0
    .kernarg_segment_align: 8
    .kernarg_segment_size: 72
    .language:       OpenCL C
    .language_version:
      - 2
      - 0
    .max_flat_workgroup_size: 256
    .name:           _ZN7rocprim17ROCPRIM_400000_NS6detail17trampoline_kernelINS0_14default_configENS1_22reduce_config_selectorIN6thrust23THRUST_200600_302600_NS5tupleIblNS6_9null_typeES8_S8_S8_S8_S8_S8_S8_EEEEZNS1_11reduce_implILb1ES3_PS9_SC_S9_NS6_11hip_rocprim9__find_if7functorIS9_EEEE10hipError_tPvRmT1_T2_T3_mT4_P12ihipStream_tbEUlT_E0_NS1_11comp_targetILNS1_3genE8ELNS1_11target_archE1030ELNS1_3gpuE2ELNS1_3repE0EEENS1_30default_config_static_selectorELNS0_4arch9wavefront6targetE1EEEvSK_
    .private_segment_fixed_size: 0
    .sgpr_count:     4
    .sgpr_spill_count: 0
    .symbol:         _ZN7rocprim17ROCPRIM_400000_NS6detail17trampoline_kernelINS0_14default_configENS1_22reduce_config_selectorIN6thrust23THRUST_200600_302600_NS5tupleIblNS6_9null_typeES8_S8_S8_S8_S8_S8_S8_EEEEZNS1_11reduce_implILb1ES3_PS9_SC_S9_NS6_11hip_rocprim9__find_if7functorIS9_EEEE10hipError_tPvRmT1_T2_T3_mT4_P12ihipStream_tbEUlT_E0_NS1_11comp_targetILNS1_3genE8ELNS1_11target_archE1030ELNS1_3gpuE2ELNS1_3repE0EEENS1_30default_config_static_selectorELNS0_4arch9wavefront6targetE1EEEvSK_.kd
    .uniform_work_group_size: 1
    .uses_dynamic_stack: false
    .vgpr_count:     0
    .vgpr_spill_count: 0
    .wavefront_size: 64
  - .agpr_count:     0
    .args:
      - .offset:         0
        .size:           56
        .value_kind:     by_value
    .group_segment_fixed_size: 0
    .kernarg_segment_align: 8
    .kernarg_segment_size: 56
    .language:       OpenCL C
    .language_version:
      - 2
      - 0
    .max_flat_workgroup_size: 128
    .name:           _ZN7rocprim17ROCPRIM_400000_NS6detail17trampoline_kernelINS0_14default_configENS1_22reduce_config_selectorIN6thrust23THRUST_200600_302600_NS5tupleIblNS6_9null_typeES8_S8_S8_S8_S8_S8_S8_EEEEZNS1_11reduce_implILb1ES3_PS9_SC_S9_NS6_11hip_rocprim9__find_if7functorIS9_EEEE10hipError_tPvRmT1_T2_T3_mT4_P12ihipStream_tbEUlT_E1_NS1_11comp_targetILNS1_3genE0ELNS1_11target_archE4294967295ELNS1_3gpuE0ELNS1_3repE0EEENS1_30default_config_static_selectorELNS0_4arch9wavefront6targetE1EEEvSK_
    .private_segment_fixed_size: 0
    .sgpr_count:     4
    .sgpr_spill_count: 0
    .symbol:         _ZN7rocprim17ROCPRIM_400000_NS6detail17trampoline_kernelINS0_14default_configENS1_22reduce_config_selectorIN6thrust23THRUST_200600_302600_NS5tupleIblNS6_9null_typeES8_S8_S8_S8_S8_S8_S8_EEEEZNS1_11reduce_implILb1ES3_PS9_SC_S9_NS6_11hip_rocprim9__find_if7functorIS9_EEEE10hipError_tPvRmT1_T2_T3_mT4_P12ihipStream_tbEUlT_E1_NS1_11comp_targetILNS1_3genE0ELNS1_11target_archE4294967295ELNS1_3gpuE0ELNS1_3repE0EEENS1_30default_config_static_selectorELNS0_4arch9wavefront6targetE1EEEvSK_.kd
    .uniform_work_group_size: 1
    .uses_dynamic_stack: false
    .vgpr_count:     0
    .vgpr_spill_count: 0
    .wavefront_size: 64
  - .agpr_count:     0
    .args:
      - .offset:         0
        .size:           56
        .value_kind:     by_value
    .group_segment_fixed_size: 0
    .kernarg_segment_align: 8
    .kernarg_segment_size: 56
    .language:       OpenCL C
    .language_version:
      - 2
      - 0
    .max_flat_workgroup_size: 256
    .name:           _ZN7rocprim17ROCPRIM_400000_NS6detail17trampoline_kernelINS0_14default_configENS1_22reduce_config_selectorIN6thrust23THRUST_200600_302600_NS5tupleIblNS6_9null_typeES8_S8_S8_S8_S8_S8_S8_EEEEZNS1_11reduce_implILb1ES3_PS9_SC_S9_NS6_11hip_rocprim9__find_if7functorIS9_EEEE10hipError_tPvRmT1_T2_T3_mT4_P12ihipStream_tbEUlT_E1_NS1_11comp_targetILNS1_3genE5ELNS1_11target_archE942ELNS1_3gpuE9ELNS1_3repE0EEENS1_30default_config_static_selectorELNS0_4arch9wavefront6targetE1EEEvSK_
    .private_segment_fixed_size: 0
    .sgpr_count:     4
    .sgpr_spill_count: 0
    .symbol:         _ZN7rocprim17ROCPRIM_400000_NS6detail17trampoline_kernelINS0_14default_configENS1_22reduce_config_selectorIN6thrust23THRUST_200600_302600_NS5tupleIblNS6_9null_typeES8_S8_S8_S8_S8_S8_S8_EEEEZNS1_11reduce_implILb1ES3_PS9_SC_S9_NS6_11hip_rocprim9__find_if7functorIS9_EEEE10hipError_tPvRmT1_T2_T3_mT4_P12ihipStream_tbEUlT_E1_NS1_11comp_targetILNS1_3genE5ELNS1_11target_archE942ELNS1_3gpuE9ELNS1_3repE0EEENS1_30default_config_static_selectorELNS0_4arch9wavefront6targetE1EEEvSK_.kd
    .uniform_work_group_size: 1
    .uses_dynamic_stack: false
    .vgpr_count:     0
    .vgpr_spill_count: 0
    .wavefront_size: 64
  - .agpr_count:     0
    .args:
      - .offset:         0
        .size:           56
        .value_kind:     by_value
    .group_segment_fixed_size: 320
    .kernarg_segment_align: 8
    .kernarg_segment_size: 56
    .language:       OpenCL C
    .language_version:
      - 2
      - 0
    .max_flat_workgroup_size: 256
    .name:           _ZN7rocprim17ROCPRIM_400000_NS6detail17trampoline_kernelINS0_14default_configENS1_22reduce_config_selectorIN6thrust23THRUST_200600_302600_NS5tupleIblNS6_9null_typeES8_S8_S8_S8_S8_S8_S8_EEEEZNS1_11reduce_implILb1ES3_PS9_SC_S9_NS6_11hip_rocprim9__find_if7functorIS9_EEEE10hipError_tPvRmT1_T2_T3_mT4_P12ihipStream_tbEUlT_E1_NS1_11comp_targetILNS1_3genE4ELNS1_11target_archE910ELNS1_3gpuE8ELNS1_3repE0EEENS1_30default_config_static_selectorELNS0_4arch9wavefront6targetE1EEEvSK_
    .private_segment_fixed_size: 0
    .sgpr_count:     35
    .sgpr_spill_count: 0
    .symbol:         _ZN7rocprim17ROCPRIM_400000_NS6detail17trampoline_kernelINS0_14default_configENS1_22reduce_config_selectorIN6thrust23THRUST_200600_302600_NS5tupleIblNS6_9null_typeES8_S8_S8_S8_S8_S8_S8_EEEEZNS1_11reduce_implILb1ES3_PS9_SC_S9_NS6_11hip_rocprim9__find_if7functorIS9_EEEE10hipError_tPvRmT1_T2_T3_mT4_P12ihipStream_tbEUlT_E1_NS1_11comp_targetILNS1_3genE4ELNS1_11target_archE910ELNS1_3gpuE8ELNS1_3repE0EEENS1_30default_config_static_selectorELNS0_4arch9wavefront6targetE1EEEvSK_.kd
    .uniform_work_group_size: 1
    .uses_dynamic_stack: false
    .vgpr_count:     30
    .vgpr_spill_count: 0
    .wavefront_size: 64
  - .agpr_count:     0
    .args:
      - .offset:         0
        .size:           56
        .value_kind:     by_value
    .group_segment_fixed_size: 0
    .kernarg_segment_align: 8
    .kernarg_segment_size: 56
    .language:       OpenCL C
    .language_version:
      - 2
      - 0
    .max_flat_workgroup_size: 128
    .name:           _ZN7rocprim17ROCPRIM_400000_NS6detail17trampoline_kernelINS0_14default_configENS1_22reduce_config_selectorIN6thrust23THRUST_200600_302600_NS5tupleIblNS6_9null_typeES8_S8_S8_S8_S8_S8_S8_EEEEZNS1_11reduce_implILb1ES3_PS9_SC_S9_NS6_11hip_rocprim9__find_if7functorIS9_EEEE10hipError_tPvRmT1_T2_T3_mT4_P12ihipStream_tbEUlT_E1_NS1_11comp_targetILNS1_3genE3ELNS1_11target_archE908ELNS1_3gpuE7ELNS1_3repE0EEENS1_30default_config_static_selectorELNS0_4arch9wavefront6targetE1EEEvSK_
    .private_segment_fixed_size: 0
    .sgpr_count:     4
    .sgpr_spill_count: 0
    .symbol:         _ZN7rocprim17ROCPRIM_400000_NS6detail17trampoline_kernelINS0_14default_configENS1_22reduce_config_selectorIN6thrust23THRUST_200600_302600_NS5tupleIblNS6_9null_typeES8_S8_S8_S8_S8_S8_S8_EEEEZNS1_11reduce_implILb1ES3_PS9_SC_S9_NS6_11hip_rocprim9__find_if7functorIS9_EEEE10hipError_tPvRmT1_T2_T3_mT4_P12ihipStream_tbEUlT_E1_NS1_11comp_targetILNS1_3genE3ELNS1_11target_archE908ELNS1_3gpuE7ELNS1_3repE0EEENS1_30default_config_static_selectorELNS0_4arch9wavefront6targetE1EEEvSK_.kd
    .uniform_work_group_size: 1
    .uses_dynamic_stack: false
    .vgpr_count:     0
    .vgpr_spill_count: 0
    .wavefront_size: 64
  - .agpr_count:     0
    .args:
      - .offset:         0
        .size:           56
        .value_kind:     by_value
    .group_segment_fixed_size: 0
    .kernarg_segment_align: 8
    .kernarg_segment_size: 56
    .language:       OpenCL C
    .language_version:
      - 2
      - 0
    .max_flat_workgroup_size: 128
    .name:           _ZN7rocprim17ROCPRIM_400000_NS6detail17trampoline_kernelINS0_14default_configENS1_22reduce_config_selectorIN6thrust23THRUST_200600_302600_NS5tupleIblNS6_9null_typeES8_S8_S8_S8_S8_S8_S8_EEEEZNS1_11reduce_implILb1ES3_PS9_SC_S9_NS6_11hip_rocprim9__find_if7functorIS9_EEEE10hipError_tPvRmT1_T2_T3_mT4_P12ihipStream_tbEUlT_E1_NS1_11comp_targetILNS1_3genE2ELNS1_11target_archE906ELNS1_3gpuE6ELNS1_3repE0EEENS1_30default_config_static_selectorELNS0_4arch9wavefront6targetE1EEEvSK_
    .private_segment_fixed_size: 0
    .sgpr_count:     4
    .sgpr_spill_count: 0
    .symbol:         _ZN7rocprim17ROCPRIM_400000_NS6detail17trampoline_kernelINS0_14default_configENS1_22reduce_config_selectorIN6thrust23THRUST_200600_302600_NS5tupleIblNS6_9null_typeES8_S8_S8_S8_S8_S8_S8_EEEEZNS1_11reduce_implILb1ES3_PS9_SC_S9_NS6_11hip_rocprim9__find_if7functorIS9_EEEE10hipError_tPvRmT1_T2_T3_mT4_P12ihipStream_tbEUlT_E1_NS1_11comp_targetILNS1_3genE2ELNS1_11target_archE906ELNS1_3gpuE6ELNS1_3repE0EEENS1_30default_config_static_selectorELNS0_4arch9wavefront6targetE1EEEvSK_.kd
    .uniform_work_group_size: 1
    .uses_dynamic_stack: false
    .vgpr_count:     0
    .vgpr_spill_count: 0
    .wavefront_size: 64
  - .agpr_count:     0
    .args:
      - .offset:         0
        .size:           56
        .value_kind:     by_value
    .group_segment_fixed_size: 0
    .kernarg_segment_align: 8
    .kernarg_segment_size: 56
    .language:       OpenCL C
    .language_version:
      - 2
      - 0
    .max_flat_workgroup_size: 256
    .name:           _ZN7rocprim17ROCPRIM_400000_NS6detail17trampoline_kernelINS0_14default_configENS1_22reduce_config_selectorIN6thrust23THRUST_200600_302600_NS5tupleIblNS6_9null_typeES8_S8_S8_S8_S8_S8_S8_EEEEZNS1_11reduce_implILb1ES3_PS9_SC_S9_NS6_11hip_rocprim9__find_if7functorIS9_EEEE10hipError_tPvRmT1_T2_T3_mT4_P12ihipStream_tbEUlT_E1_NS1_11comp_targetILNS1_3genE10ELNS1_11target_archE1201ELNS1_3gpuE5ELNS1_3repE0EEENS1_30default_config_static_selectorELNS0_4arch9wavefront6targetE1EEEvSK_
    .private_segment_fixed_size: 0
    .sgpr_count:     4
    .sgpr_spill_count: 0
    .symbol:         _ZN7rocprim17ROCPRIM_400000_NS6detail17trampoline_kernelINS0_14default_configENS1_22reduce_config_selectorIN6thrust23THRUST_200600_302600_NS5tupleIblNS6_9null_typeES8_S8_S8_S8_S8_S8_S8_EEEEZNS1_11reduce_implILb1ES3_PS9_SC_S9_NS6_11hip_rocprim9__find_if7functorIS9_EEEE10hipError_tPvRmT1_T2_T3_mT4_P12ihipStream_tbEUlT_E1_NS1_11comp_targetILNS1_3genE10ELNS1_11target_archE1201ELNS1_3gpuE5ELNS1_3repE0EEENS1_30default_config_static_selectorELNS0_4arch9wavefront6targetE1EEEvSK_.kd
    .uniform_work_group_size: 1
    .uses_dynamic_stack: false
    .vgpr_count:     0
    .vgpr_spill_count: 0
    .wavefront_size: 64
  - .agpr_count:     0
    .args:
      - .offset:         0
        .size:           56
        .value_kind:     by_value
    .group_segment_fixed_size: 0
    .kernarg_segment_align: 8
    .kernarg_segment_size: 56
    .language:       OpenCL C
    .language_version:
      - 2
      - 0
    .max_flat_workgroup_size: 256
    .name:           _ZN7rocprim17ROCPRIM_400000_NS6detail17trampoline_kernelINS0_14default_configENS1_22reduce_config_selectorIN6thrust23THRUST_200600_302600_NS5tupleIblNS6_9null_typeES8_S8_S8_S8_S8_S8_S8_EEEEZNS1_11reduce_implILb1ES3_PS9_SC_S9_NS6_11hip_rocprim9__find_if7functorIS9_EEEE10hipError_tPvRmT1_T2_T3_mT4_P12ihipStream_tbEUlT_E1_NS1_11comp_targetILNS1_3genE10ELNS1_11target_archE1200ELNS1_3gpuE4ELNS1_3repE0EEENS1_30default_config_static_selectorELNS0_4arch9wavefront6targetE1EEEvSK_
    .private_segment_fixed_size: 0
    .sgpr_count:     4
    .sgpr_spill_count: 0
    .symbol:         _ZN7rocprim17ROCPRIM_400000_NS6detail17trampoline_kernelINS0_14default_configENS1_22reduce_config_selectorIN6thrust23THRUST_200600_302600_NS5tupleIblNS6_9null_typeES8_S8_S8_S8_S8_S8_S8_EEEEZNS1_11reduce_implILb1ES3_PS9_SC_S9_NS6_11hip_rocprim9__find_if7functorIS9_EEEE10hipError_tPvRmT1_T2_T3_mT4_P12ihipStream_tbEUlT_E1_NS1_11comp_targetILNS1_3genE10ELNS1_11target_archE1200ELNS1_3gpuE4ELNS1_3repE0EEENS1_30default_config_static_selectorELNS0_4arch9wavefront6targetE1EEEvSK_.kd
    .uniform_work_group_size: 1
    .uses_dynamic_stack: false
    .vgpr_count:     0
    .vgpr_spill_count: 0
    .wavefront_size: 64
  - .agpr_count:     0
    .args:
      - .offset:         0
        .size:           56
        .value_kind:     by_value
    .group_segment_fixed_size: 0
    .kernarg_segment_align: 8
    .kernarg_segment_size: 56
    .language:       OpenCL C
    .language_version:
      - 2
      - 0
    .max_flat_workgroup_size: 256
    .name:           _ZN7rocprim17ROCPRIM_400000_NS6detail17trampoline_kernelINS0_14default_configENS1_22reduce_config_selectorIN6thrust23THRUST_200600_302600_NS5tupleIblNS6_9null_typeES8_S8_S8_S8_S8_S8_S8_EEEEZNS1_11reduce_implILb1ES3_PS9_SC_S9_NS6_11hip_rocprim9__find_if7functorIS9_EEEE10hipError_tPvRmT1_T2_T3_mT4_P12ihipStream_tbEUlT_E1_NS1_11comp_targetILNS1_3genE9ELNS1_11target_archE1100ELNS1_3gpuE3ELNS1_3repE0EEENS1_30default_config_static_selectorELNS0_4arch9wavefront6targetE1EEEvSK_
    .private_segment_fixed_size: 0
    .sgpr_count:     4
    .sgpr_spill_count: 0
    .symbol:         _ZN7rocprim17ROCPRIM_400000_NS6detail17trampoline_kernelINS0_14default_configENS1_22reduce_config_selectorIN6thrust23THRUST_200600_302600_NS5tupleIblNS6_9null_typeES8_S8_S8_S8_S8_S8_S8_EEEEZNS1_11reduce_implILb1ES3_PS9_SC_S9_NS6_11hip_rocprim9__find_if7functorIS9_EEEE10hipError_tPvRmT1_T2_T3_mT4_P12ihipStream_tbEUlT_E1_NS1_11comp_targetILNS1_3genE9ELNS1_11target_archE1100ELNS1_3gpuE3ELNS1_3repE0EEENS1_30default_config_static_selectorELNS0_4arch9wavefront6targetE1EEEvSK_.kd
    .uniform_work_group_size: 1
    .uses_dynamic_stack: false
    .vgpr_count:     0
    .vgpr_spill_count: 0
    .wavefront_size: 64
  - .agpr_count:     0
    .args:
      - .offset:         0
        .size:           56
        .value_kind:     by_value
    .group_segment_fixed_size: 0
    .kernarg_segment_align: 8
    .kernarg_segment_size: 56
    .language:       OpenCL C
    .language_version:
      - 2
      - 0
    .max_flat_workgroup_size: 256
    .name:           _ZN7rocprim17ROCPRIM_400000_NS6detail17trampoline_kernelINS0_14default_configENS1_22reduce_config_selectorIN6thrust23THRUST_200600_302600_NS5tupleIblNS6_9null_typeES8_S8_S8_S8_S8_S8_S8_EEEEZNS1_11reduce_implILb1ES3_PS9_SC_S9_NS6_11hip_rocprim9__find_if7functorIS9_EEEE10hipError_tPvRmT1_T2_T3_mT4_P12ihipStream_tbEUlT_E1_NS1_11comp_targetILNS1_3genE8ELNS1_11target_archE1030ELNS1_3gpuE2ELNS1_3repE0EEENS1_30default_config_static_selectorELNS0_4arch9wavefront6targetE1EEEvSK_
    .private_segment_fixed_size: 0
    .sgpr_count:     4
    .sgpr_spill_count: 0
    .symbol:         _ZN7rocprim17ROCPRIM_400000_NS6detail17trampoline_kernelINS0_14default_configENS1_22reduce_config_selectorIN6thrust23THRUST_200600_302600_NS5tupleIblNS6_9null_typeES8_S8_S8_S8_S8_S8_S8_EEEEZNS1_11reduce_implILb1ES3_PS9_SC_S9_NS6_11hip_rocprim9__find_if7functorIS9_EEEE10hipError_tPvRmT1_T2_T3_mT4_P12ihipStream_tbEUlT_E1_NS1_11comp_targetILNS1_3genE8ELNS1_11target_archE1030ELNS1_3gpuE2ELNS1_3repE0EEENS1_30default_config_static_selectorELNS0_4arch9wavefront6targetE1EEEvSK_.kd
    .uniform_work_group_size: 1
    .uses_dynamic_stack: false
    .vgpr_count:     0
    .vgpr_spill_count: 0
    .wavefront_size: 64
  - .agpr_count:     0
    .args:
      - .offset:         0
        .size:           104
        .value_kind:     by_value
    .group_segment_fixed_size: 0
    .kernarg_segment_align: 8
    .kernarg_segment_size: 104
    .language:       OpenCL C
    .language_version:
      - 2
      - 0
    .max_flat_workgroup_size: 128
    .name:           _ZN7rocprim17ROCPRIM_400000_NS6detail17trampoline_kernelINS0_14default_configENS1_22reduce_config_selectorIN6thrust23THRUST_200600_302600_NS5tupleIblNS6_9null_typeES8_S8_S8_S8_S8_S8_S8_EEEEZNS1_11reduce_implILb1ES3_NS6_12zip_iteratorINS7_INS6_11hip_rocprim26transform_input_iterator_tIbNSD_35transform_pair_of_input_iterators_tIbNS6_6detail15normal_iteratorINS6_10device_ptrIKdEEEESL_NS6_8equal_toIdEEEENSG_9not_fun_tINSD_8identityEEEEENSD_19counting_iterator_tIlEES8_S8_S8_S8_S8_S8_S8_S8_EEEEPS9_S9_NSD_9__find_if7functorIS9_EEEE10hipError_tPvRmT1_T2_T3_mT4_P12ihipStream_tbEUlT_E0_NS1_11comp_targetILNS1_3genE0ELNS1_11target_archE4294967295ELNS1_3gpuE0ELNS1_3repE0EEENS1_30default_config_static_selectorELNS0_4arch9wavefront6targetE1EEEvS14_
    .private_segment_fixed_size: 0
    .sgpr_count:     4
    .sgpr_spill_count: 0
    .symbol:         _ZN7rocprim17ROCPRIM_400000_NS6detail17trampoline_kernelINS0_14default_configENS1_22reduce_config_selectorIN6thrust23THRUST_200600_302600_NS5tupleIblNS6_9null_typeES8_S8_S8_S8_S8_S8_S8_EEEEZNS1_11reduce_implILb1ES3_NS6_12zip_iteratorINS7_INS6_11hip_rocprim26transform_input_iterator_tIbNSD_35transform_pair_of_input_iterators_tIbNS6_6detail15normal_iteratorINS6_10device_ptrIKdEEEESL_NS6_8equal_toIdEEEENSG_9not_fun_tINSD_8identityEEEEENSD_19counting_iterator_tIlEES8_S8_S8_S8_S8_S8_S8_S8_EEEEPS9_S9_NSD_9__find_if7functorIS9_EEEE10hipError_tPvRmT1_T2_T3_mT4_P12ihipStream_tbEUlT_E0_NS1_11comp_targetILNS1_3genE0ELNS1_11target_archE4294967295ELNS1_3gpuE0ELNS1_3repE0EEENS1_30default_config_static_selectorELNS0_4arch9wavefront6targetE1EEEvS14_.kd
    .uniform_work_group_size: 1
    .uses_dynamic_stack: false
    .vgpr_count:     0
    .vgpr_spill_count: 0
    .wavefront_size: 64
  - .agpr_count:     0
    .args:
      - .offset:         0
        .size:           104
        .value_kind:     by_value
    .group_segment_fixed_size: 0
    .kernarg_segment_align: 8
    .kernarg_segment_size: 104
    .language:       OpenCL C
    .language_version:
      - 2
      - 0
    .max_flat_workgroup_size: 256
    .name:           _ZN7rocprim17ROCPRIM_400000_NS6detail17trampoline_kernelINS0_14default_configENS1_22reduce_config_selectorIN6thrust23THRUST_200600_302600_NS5tupleIblNS6_9null_typeES8_S8_S8_S8_S8_S8_S8_EEEEZNS1_11reduce_implILb1ES3_NS6_12zip_iteratorINS7_INS6_11hip_rocprim26transform_input_iterator_tIbNSD_35transform_pair_of_input_iterators_tIbNS6_6detail15normal_iteratorINS6_10device_ptrIKdEEEESL_NS6_8equal_toIdEEEENSG_9not_fun_tINSD_8identityEEEEENSD_19counting_iterator_tIlEES8_S8_S8_S8_S8_S8_S8_S8_EEEEPS9_S9_NSD_9__find_if7functorIS9_EEEE10hipError_tPvRmT1_T2_T3_mT4_P12ihipStream_tbEUlT_E0_NS1_11comp_targetILNS1_3genE5ELNS1_11target_archE942ELNS1_3gpuE9ELNS1_3repE0EEENS1_30default_config_static_selectorELNS0_4arch9wavefront6targetE1EEEvS14_
    .private_segment_fixed_size: 0
    .sgpr_count:     4
    .sgpr_spill_count: 0
    .symbol:         _ZN7rocprim17ROCPRIM_400000_NS6detail17trampoline_kernelINS0_14default_configENS1_22reduce_config_selectorIN6thrust23THRUST_200600_302600_NS5tupleIblNS6_9null_typeES8_S8_S8_S8_S8_S8_S8_EEEEZNS1_11reduce_implILb1ES3_NS6_12zip_iteratorINS7_INS6_11hip_rocprim26transform_input_iterator_tIbNSD_35transform_pair_of_input_iterators_tIbNS6_6detail15normal_iteratorINS6_10device_ptrIKdEEEESL_NS6_8equal_toIdEEEENSG_9not_fun_tINSD_8identityEEEEENSD_19counting_iterator_tIlEES8_S8_S8_S8_S8_S8_S8_S8_EEEEPS9_S9_NSD_9__find_if7functorIS9_EEEE10hipError_tPvRmT1_T2_T3_mT4_P12ihipStream_tbEUlT_E0_NS1_11comp_targetILNS1_3genE5ELNS1_11target_archE942ELNS1_3gpuE9ELNS1_3repE0EEENS1_30default_config_static_selectorELNS0_4arch9wavefront6targetE1EEEvS14_.kd
    .uniform_work_group_size: 1
    .uses_dynamic_stack: false
    .vgpr_count:     0
    .vgpr_spill_count: 0
    .wavefront_size: 64
  - .agpr_count:     0
    .args:
      - .offset:         0
        .size:           104
        .value_kind:     by_value
    .group_segment_fixed_size: 128
    .kernarg_segment_align: 8
    .kernarg_segment_size: 104
    .language:       OpenCL C
    .language_version:
      - 2
      - 0
    .max_flat_workgroup_size: 256
    .name:           _ZN7rocprim17ROCPRIM_400000_NS6detail17trampoline_kernelINS0_14default_configENS1_22reduce_config_selectorIN6thrust23THRUST_200600_302600_NS5tupleIblNS6_9null_typeES8_S8_S8_S8_S8_S8_S8_EEEEZNS1_11reduce_implILb1ES3_NS6_12zip_iteratorINS7_INS6_11hip_rocprim26transform_input_iterator_tIbNSD_35transform_pair_of_input_iterators_tIbNS6_6detail15normal_iteratorINS6_10device_ptrIKdEEEESL_NS6_8equal_toIdEEEENSG_9not_fun_tINSD_8identityEEEEENSD_19counting_iterator_tIlEES8_S8_S8_S8_S8_S8_S8_S8_EEEEPS9_S9_NSD_9__find_if7functorIS9_EEEE10hipError_tPvRmT1_T2_T3_mT4_P12ihipStream_tbEUlT_E0_NS1_11comp_targetILNS1_3genE4ELNS1_11target_archE910ELNS1_3gpuE8ELNS1_3repE0EEENS1_30default_config_static_selectorELNS0_4arch9wavefront6targetE1EEEvS14_
    .private_segment_fixed_size: 0
    .sgpr_count:     32
    .sgpr_spill_count: 0
    .symbol:         _ZN7rocprim17ROCPRIM_400000_NS6detail17trampoline_kernelINS0_14default_configENS1_22reduce_config_selectorIN6thrust23THRUST_200600_302600_NS5tupleIblNS6_9null_typeES8_S8_S8_S8_S8_S8_S8_EEEEZNS1_11reduce_implILb1ES3_NS6_12zip_iteratorINS7_INS6_11hip_rocprim26transform_input_iterator_tIbNSD_35transform_pair_of_input_iterators_tIbNS6_6detail15normal_iteratorINS6_10device_ptrIKdEEEESL_NS6_8equal_toIdEEEENSG_9not_fun_tINSD_8identityEEEEENSD_19counting_iterator_tIlEES8_S8_S8_S8_S8_S8_S8_S8_EEEEPS9_S9_NSD_9__find_if7functorIS9_EEEE10hipError_tPvRmT1_T2_T3_mT4_P12ihipStream_tbEUlT_E0_NS1_11comp_targetILNS1_3genE4ELNS1_11target_archE910ELNS1_3gpuE8ELNS1_3repE0EEENS1_30default_config_static_selectorELNS0_4arch9wavefront6targetE1EEEvS14_.kd
    .uniform_work_group_size: 1
    .uses_dynamic_stack: false
    .vgpr_count:     14
    .vgpr_spill_count: 0
    .wavefront_size: 64
  - .agpr_count:     0
    .args:
      - .offset:         0
        .size:           104
        .value_kind:     by_value
    .group_segment_fixed_size: 0
    .kernarg_segment_align: 8
    .kernarg_segment_size: 104
    .language:       OpenCL C
    .language_version:
      - 2
      - 0
    .max_flat_workgroup_size: 128
    .name:           _ZN7rocprim17ROCPRIM_400000_NS6detail17trampoline_kernelINS0_14default_configENS1_22reduce_config_selectorIN6thrust23THRUST_200600_302600_NS5tupleIblNS6_9null_typeES8_S8_S8_S8_S8_S8_S8_EEEEZNS1_11reduce_implILb1ES3_NS6_12zip_iteratorINS7_INS6_11hip_rocprim26transform_input_iterator_tIbNSD_35transform_pair_of_input_iterators_tIbNS6_6detail15normal_iteratorINS6_10device_ptrIKdEEEESL_NS6_8equal_toIdEEEENSG_9not_fun_tINSD_8identityEEEEENSD_19counting_iterator_tIlEES8_S8_S8_S8_S8_S8_S8_S8_EEEEPS9_S9_NSD_9__find_if7functorIS9_EEEE10hipError_tPvRmT1_T2_T3_mT4_P12ihipStream_tbEUlT_E0_NS1_11comp_targetILNS1_3genE3ELNS1_11target_archE908ELNS1_3gpuE7ELNS1_3repE0EEENS1_30default_config_static_selectorELNS0_4arch9wavefront6targetE1EEEvS14_
    .private_segment_fixed_size: 0
    .sgpr_count:     4
    .sgpr_spill_count: 0
    .symbol:         _ZN7rocprim17ROCPRIM_400000_NS6detail17trampoline_kernelINS0_14default_configENS1_22reduce_config_selectorIN6thrust23THRUST_200600_302600_NS5tupleIblNS6_9null_typeES8_S8_S8_S8_S8_S8_S8_EEEEZNS1_11reduce_implILb1ES3_NS6_12zip_iteratorINS7_INS6_11hip_rocprim26transform_input_iterator_tIbNSD_35transform_pair_of_input_iterators_tIbNS6_6detail15normal_iteratorINS6_10device_ptrIKdEEEESL_NS6_8equal_toIdEEEENSG_9not_fun_tINSD_8identityEEEEENSD_19counting_iterator_tIlEES8_S8_S8_S8_S8_S8_S8_S8_EEEEPS9_S9_NSD_9__find_if7functorIS9_EEEE10hipError_tPvRmT1_T2_T3_mT4_P12ihipStream_tbEUlT_E0_NS1_11comp_targetILNS1_3genE3ELNS1_11target_archE908ELNS1_3gpuE7ELNS1_3repE0EEENS1_30default_config_static_selectorELNS0_4arch9wavefront6targetE1EEEvS14_.kd
    .uniform_work_group_size: 1
    .uses_dynamic_stack: false
    .vgpr_count:     0
    .vgpr_spill_count: 0
    .wavefront_size: 64
  - .agpr_count:     0
    .args:
      - .offset:         0
        .size:           104
        .value_kind:     by_value
    .group_segment_fixed_size: 0
    .kernarg_segment_align: 8
    .kernarg_segment_size: 104
    .language:       OpenCL C
    .language_version:
      - 2
      - 0
    .max_flat_workgroup_size: 128
    .name:           _ZN7rocprim17ROCPRIM_400000_NS6detail17trampoline_kernelINS0_14default_configENS1_22reduce_config_selectorIN6thrust23THRUST_200600_302600_NS5tupleIblNS6_9null_typeES8_S8_S8_S8_S8_S8_S8_EEEEZNS1_11reduce_implILb1ES3_NS6_12zip_iteratorINS7_INS6_11hip_rocprim26transform_input_iterator_tIbNSD_35transform_pair_of_input_iterators_tIbNS6_6detail15normal_iteratorINS6_10device_ptrIKdEEEESL_NS6_8equal_toIdEEEENSG_9not_fun_tINSD_8identityEEEEENSD_19counting_iterator_tIlEES8_S8_S8_S8_S8_S8_S8_S8_EEEEPS9_S9_NSD_9__find_if7functorIS9_EEEE10hipError_tPvRmT1_T2_T3_mT4_P12ihipStream_tbEUlT_E0_NS1_11comp_targetILNS1_3genE2ELNS1_11target_archE906ELNS1_3gpuE6ELNS1_3repE0EEENS1_30default_config_static_selectorELNS0_4arch9wavefront6targetE1EEEvS14_
    .private_segment_fixed_size: 0
    .sgpr_count:     4
    .sgpr_spill_count: 0
    .symbol:         _ZN7rocprim17ROCPRIM_400000_NS6detail17trampoline_kernelINS0_14default_configENS1_22reduce_config_selectorIN6thrust23THRUST_200600_302600_NS5tupleIblNS6_9null_typeES8_S8_S8_S8_S8_S8_S8_EEEEZNS1_11reduce_implILb1ES3_NS6_12zip_iteratorINS7_INS6_11hip_rocprim26transform_input_iterator_tIbNSD_35transform_pair_of_input_iterators_tIbNS6_6detail15normal_iteratorINS6_10device_ptrIKdEEEESL_NS6_8equal_toIdEEEENSG_9not_fun_tINSD_8identityEEEEENSD_19counting_iterator_tIlEES8_S8_S8_S8_S8_S8_S8_S8_EEEEPS9_S9_NSD_9__find_if7functorIS9_EEEE10hipError_tPvRmT1_T2_T3_mT4_P12ihipStream_tbEUlT_E0_NS1_11comp_targetILNS1_3genE2ELNS1_11target_archE906ELNS1_3gpuE6ELNS1_3repE0EEENS1_30default_config_static_selectorELNS0_4arch9wavefront6targetE1EEEvS14_.kd
    .uniform_work_group_size: 1
    .uses_dynamic_stack: false
    .vgpr_count:     0
    .vgpr_spill_count: 0
    .wavefront_size: 64
  - .agpr_count:     0
    .args:
      - .offset:         0
        .size:           104
        .value_kind:     by_value
    .group_segment_fixed_size: 0
    .kernarg_segment_align: 8
    .kernarg_segment_size: 104
    .language:       OpenCL C
    .language_version:
      - 2
      - 0
    .max_flat_workgroup_size: 256
    .name:           _ZN7rocprim17ROCPRIM_400000_NS6detail17trampoline_kernelINS0_14default_configENS1_22reduce_config_selectorIN6thrust23THRUST_200600_302600_NS5tupleIblNS6_9null_typeES8_S8_S8_S8_S8_S8_S8_EEEEZNS1_11reduce_implILb1ES3_NS6_12zip_iteratorINS7_INS6_11hip_rocprim26transform_input_iterator_tIbNSD_35transform_pair_of_input_iterators_tIbNS6_6detail15normal_iteratorINS6_10device_ptrIKdEEEESL_NS6_8equal_toIdEEEENSG_9not_fun_tINSD_8identityEEEEENSD_19counting_iterator_tIlEES8_S8_S8_S8_S8_S8_S8_S8_EEEEPS9_S9_NSD_9__find_if7functorIS9_EEEE10hipError_tPvRmT1_T2_T3_mT4_P12ihipStream_tbEUlT_E0_NS1_11comp_targetILNS1_3genE10ELNS1_11target_archE1201ELNS1_3gpuE5ELNS1_3repE0EEENS1_30default_config_static_selectorELNS0_4arch9wavefront6targetE1EEEvS14_
    .private_segment_fixed_size: 0
    .sgpr_count:     4
    .sgpr_spill_count: 0
    .symbol:         _ZN7rocprim17ROCPRIM_400000_NS6detail17trampoline_kernelINS0_14default_configENS1_22reduce_config_selectorIN6thrust23THRUST_200600_302600_NS5tupleIblNS6_9null_typeES8_S8_S8_S8_S8_S8_S8_EEEEZNS1_11reduce_implILb1ES3_NS6_12zip_iteratorINS7_INS6_11hip_rocprim26transform_input_iterator_tIbNSD_35transform_pair_of_input_iterators_tIbNS6_6detail15normal_iteratorINS6_10device_ptrIKdEEEESL_NS6_8equal_toIdEEEENSG_9not_fun_tINSD_8identityEEEEENSD_19counting_iterator_tIlEES8_S8_S8_S8_S8_S8_S8_S8_EEEEPS9_S9_NSD_9__find_if7functorIS9_EEEE10hipError_tPvRmT1_T2_T3_mT4_P12ihipStream_tbEUlT_E0_NS1_11comp_targetILNS1_3genE10ELNS1_11target_archE1201ELNS1_3gpuE5ELNS1_3repE0EEENS1_30default_config_static_selectorELNS0_4arch9wavefront6targetE1EEEvS14_.kd
    .uniform_work_group_size: 1
    .uses_dynamic_stack: false
    .vgpr_count:     0
    .vgpr_spill_count: 0
    .wavefront_size: 64
  - .agpr_count:     0
    .args:
      - .offset:         0
        .size:           104
        .value_kind:     by_value
    .group_segment_fixed_size: 0
    .kernarg_segment_align: 8
    .kernarg_segment_size: 104
    .language:       OpenCL C
    .language_version:
      - 2
      - 0
    .max_flat_workgroup_size: 256
    .name:           _ZN7rocprim17ROCPRIM_400000_NS6detail17trampoline_kernelINS0_14default_configENS1_22reduce_config_selectorIN6thrust23THRUST_200600_302600_NS5tupleIblNS6_9null_typeES8_S8_S8_S8_S8_S8_S8_EEEEZNS1_11reduce_implILb1ES3_NS6_12zip_iteratorINS7_INS6_11hip_rocprim26transform_input_iterator_tIbNSD_35transform_pair_of_input_iterators_tIbNS6_6detail15normal_iteratorINS6_10device_ptrIKdEEEESL_NS6_8equal_toIdEEEENSG_9not_fun_tINSD_8identityEEEEENSD_19counting_iterator_tIlEES8_S8_S8_S8_S8_S8_S8_S8_EEEEPS9_S9_NSD_9__find_if7functorIS9_EEEE10hipError_tPvRmT1_T2_T3_mT4_P12ihipStream_tbEUlT_E0_NS1_11comp_targetILNS1_3genE10ELNS1_11target_archE1200ELNS1_3gpuE4ELNS1_3repE0EEENS1_30default_config_static_selectorELNS0_4arch9wavefront6targetE1EEEvS14_
    .private_segment_fixed_size: 0
    .sgpr_count:     4
    .sgpr_spill_count: 0
    .symbol:         _ZN7rocprim17ROCPRIM_400000_NS6detail17trampoline_kernelINS0_14default_configENS1_22reduce_config_selectorIN6thrust23THRUST_200600_302600_NS5tupleIblNS6_9null_typeES8_S8_S8_S8_S8_S8_S8_EEEEZNS1_11reduce_implILb1ES3_NS6_12zip_iteratorINS7_INS6_11hip_rocprim26transform_input_iterator_tIbNSD_35transform_pair_of_input_iterators_tIbNS6_6detail15normal_iteratorINS6_10device_ptrIKdEEEESL_NS6_8equal_toIdEEEENSG_9not_fun_tINSD_8identityEEEEENSD_19counting_iterator_tIlEES8_S8_S8_S8_S8_S8_S8_S8_EEEEPS9_S9_NSD_9__find_if7functorIS9_EEEE10hipError_tPvRmT1_T2_T3_mT4_P12ihipStream_tbEUlT_E0_NS1_11comp_targetILNS1_3genE10ELNS1_11target_archE1200ELNS1_3gpuE4ELNS1_3repE0EEENS1_30default_config_static_selectorELNS0_4arch9wavefront6targetE1EEEvS14_.kd
    .uniform_work_group_size: 1
    .uses_dynamic_stack: false
    .vgpr_count:     0
    .vgpr_spill_count: 0
    .wavefront_size: 64
  - .agpr_count:     0
    .args:
      - .offset:         0
        .size:           104
        .value_kind:     by_value
    .group_segment_fixed_size: 0
    .kernarg_segment_align: 8
    .kernarg_segment_size: 104
    .language:       OpenCL C
    .language_version:
      - 2
      - 0
    .max_flat_workgroup_size: 256
    .name:           _ZN7rocprim17ROCPRIM_400000_NS6detail17trampoline_kernelINS0_14default_configENS1_22reduce_config_selectorIN6thrust23THRUST_200600_302600_NS5tupleIblNS6_9null_typeES8_S8_S8_S8_S8_S8_S8_EEEEZNS1_11reduce_implILb1ES3_NS6_12zip_iteratorINS7_INS6_11hip_rocprim26transform_input_iterator_tIbNSD_35transform_pair_of_input_iterators_tIbNS6_6detail15normal_iteratorINS6_10device_ptrIKdEEEESL_NS6_8equal_toIdEEEENSG_9not_fun_tINSD_8identityEEEEENSD_19counting_iterator_tIlEES8_S8_S8_S8_S8_S8_S8_S8_EEEEPS9_S9_NSD_9__find_if7functorIS9_EEEE10hipError_tPvRmT1_T2_T3_mT4_P12ihipStream_tbEUlT_E0_NS1_11comp_targetILNS1_3genE9ELNS1_11target_archE1100ELNS1_3gpuE3ELNS1_3repE0EEENS1_30default_config_static_selectorELNS0_4arch9wavefront6targetE1EEEvS14_
    .private_segment_fixed_size: 0
    .sgpr_count:     4
    .sgpr_spill_count: 0
    .symbol:         _ZN7rocprim17ROCPRIM_400000_NS6detail17trampoline_kernelINS0_14default_configENS1_22reduce_config_selectorIN6thrust23THRUST_200600_302600_NS5tupleIblNS6_9null_typeES8_S8_S8_S8_S8_S8_S8_EEEEZNS1_11reduce_implILb1ES3_NS6_12zip_iteratorINS7_INS6_11hip_rocprim26transform_input_iterator_tIbNSD_35transform_pair_of_input_iterators_tIbNS6_6detail15normal_iteratorINS6_10device_ptrIKdEEEESL_NS6_8equal_toIdEEEENSG_9not_fun_tINSD_8identityEEEEENSD_19counting_iterator_tIlEES8_S8_S8_S8_S8_S8_S8_S8_EEEEPS9_S9_NSD_9__find_if7functorIS9_EEEE10hipError_tPvRmT1_T2_T3_mT4_P12ihipStream_tbEUlT_E0_NS1_11comp_targetILNS1_3genE9ELNS1_11target_archE1100ELNS1_3gpuE3ELNS1_3repE0EEENS1_30default_config_static_selectorELNS0_4arch9wavefront6targetE1EEEvS14_.kd
    .uniform_work_group_size: 1
    .uses_dynamic_stack: false
    .vgpr_count:     0
    .vgpr_spill_count: 0
    .wavefront_size: 64
  - .agpr_count:     0
    .args:
      - .offset:         0
        .size:           104
        .value_kind:     by_value
    .group_segment_fixed_size: 0
    .kernarg_segment_align: 8
    .kernarg_segment_size: 104
    .language:       OpenCL C
    .language_version:
      - 2
      - 0
    .max_flat_workgroup_size: 256
    .name:           _ZN7rocprim17ROCPRIM_400000_NS6detail17trampoline_kernelINS0_14default_configENS1_22reduce_config_selectorIN6thrust23THRUST_200600_302600_NS5tupleIblNS6_9null_typeES8_S8_S8_S8_S8_S8_S8_EEEEZNS1_11reduce_implILb1ES3_NS6_12zip_iteratorINS7_INS6_11hip_rocprim26transform_input_iterator_tIbNSD_35transform_pair_of_input_iterators_tIbNS6_6detail15normal_iteratorINS6_10device_ptrIKdEEEESL_NS6_8equal_toIdEEEENSG_9not_fun_tINSD_8identityEEEEENSD_19counting_iterator_tIlEES8_S8_S8_S8_S8_S8_S8_S8_EEEEPS9_S9_NSD_9__find_if7functorIS9_EEEE10hipError_tPvRmT1_T2_T3_mT4_P12ihipStream_tbEUlT_E0_NS1_11comp_targetILNS1_3genE8ELNS1_11target_archE1030ELNS1_3gpuE2ELNS1_3repE0EEENS1_30default_config_static_selectorELNS0_4arch9wavefront6targetE1EEEvS14_
    .private_segment_fixed_size: 0
    .sgpr_count:     4
    .sgpr_spill_count: 0
    .symbol:         _ZN7rocprim17ROCPRIM_400000_NS6detail17trampoline_kernelINS0_14default_configENS1_22reduce_config_selectorIN6thrust23THRUST_200600_302600_NS5tupleIblNS6_9null_typeES8_S8_S8_S8_S8_S8_S8_EEEEZNS1_11reduce_implILb1ES3_NS6_12zip_iteratorINS7_INS6_11hip_rocprim26transform_input_iterator_tIbNSD_35transform_pair_of_input_iterators_tIbNS6_6detail15normal_iteratorINS6_10device_ptrIKdEEEESL_NS6_8equal_toIdEEEENSG_9not_fun_tINSD_8identityEEEEENSD_19counting_iterator_tIlEES8_S8_S8_S8_S8_S8_S8_S8_EEEEPS9_S9_NSD_9__find_if7functorIS9_EEEE10hipError_tPvRmT1_T2_T3_mT4_P12ihipStream_tbEUlT_E0_NS1_11comp_targetILNS1_3genE8ELNS1_11target_archE1030ELNS1_3gpuE2ELNS1_3repE0EEENS1_30default_config_static_selectorELNS0_4arch9wavefront6targetE1EEEvS14_.kd
    .uniform_work_group_size: 1
    .uses_dynamic_stack: false
    .vgpr_count:     0
    .vgpr_spill_count: 0
    .wavefront_size: 64
  - .agpr_count:     0
    .args:
      - .offset:         0
        .size:           88
        .value_kind:     by_value
    .group_segment_fixed_size: 0
    .kernarg_segment_align: 8
    .kernarg_segment_size: 88
    .language:       OpenCL C
    .language_version:
      - 2
      - 0
    .max_flat_workgroup_size: 128
    .name:           _ZN7rocprim17ROCPRIM_400000_NS6detail17trampoline_kernelINS0_14default_configENS1_22reduce_config_selectorIN6thrust23THRUST_200600_302600_NS5tupleIblNS6_9null_typeES8_S8_S8_S8_S8_S8_S8_EEEEZNS1_11reduce_implILb1ES3_NS6_12zip_iteratorINS7_INS6_11hip_rocprim26transform_input_iterator_tIbNSD_35transform_pair_of_input_iterators_tIbNS6_6detail15normal_iteratorINS6_10device_ptrIKdEEEESL_NS6_8equal_toIdEEEENSG_9not_fun_tINSD_8identityEEEEENSD_19counting_iterator_tIlEES8_S8_S8_S8_S8_S8_S8_S8_EEEEPS9_S9_NSD_9__find_if7functorIS9_EEEE10hipError_tPvRmT1_T2_T3_mT4_P12ihipStream_tbEUlT_E1_NS1_11comp_targetILNS1_3genE0ELNS1_11target_archE4294967295ELNS1_3gpuE0ELNS1_3repE0EEENS1_30default_config_static_selectorELNS0_4arch9wavefront6targetE1EEEvS14_
    .private_segment_fixed_size: 0
    .sgpr_count:     4
    .sgpr_spill_count: 0
    .symbol:         _ZN7rocprim17ROCPRIM_400000_NS6detail17trampoline_kernelINS0_14default_configENS1_22reduce_config_selectorIN6thrust23THRUST_200600_302600_NS5tupleIblNS6_9null_typeES8_S8_S8_S8_S8_S8_S8_EEEEZNS1_11reduce_implILb1ES3_NS6_12zip_iteratorINS7_INS6_11hip_rocprim26transform_input_iterator_tIbNSD_35transform_pair_of_input_iterators_tIbNS6_6detail15normal_iteratorINS6_10device_ptrIKdEEEESL_NS6_8equal_toIdEEEENSG_9not_fun_tINSD_8identityEEEEENSD_19counting_iterator_tIlEES8_S8_S8_S8_S8_S8_S8_S8_EEEEPS9_S9_NSD_9__find_if7functorIS9_EEEE10hipError_tPvRmT1_T2_T3_mT4_P12ihipStream_tbEUlT_E1_NS1_11comp_targetILNS1_3genE0ELNS1_11target_archE4294967295ELNS1_3gpuE0ELNS1_3repE0EEENS1_30default_config_static_selectorELNS0_4arch9wavefront6targetE1EEEvS14_.kd
    .uniform_work_group_size: 1
    .uses_dynamic_stack: false
    .vgpr_count:     0
    .vgpr_spill_count: 0
    .wavefront_size: 64
  - .agpr_count:     0
    .args:
      - .offset:         0
        .size:           88
        .value_kind:     by_value
    .group_segment_fixed_size: 0
    .kernarg_segment_align: 8
    .kernarg_segment_size: 88
    .language:       OpenCL C
    .language_version:
      - 2
      - 0
    .max_flat_workgroup_size: 256
    .name:           _ZN7rocprim17ROCPRIM_400000_NS6detail17trampoline_kernelINS0_14default_configENS1_22reduce_config_selectorIN6thrust23THRUST_200600_302600_NS5tupleIblNS6_9null_typeES8_S8_S8_S8_S8_S8_S8_EEEEZNS1_11reduce_implILb1ES3_NS6_12zip_iteratorINS7_INS6_11hip_rocprim26transform_input_iterator_tIbNSD_35transform_pair_of_input_iterators_tIbNS6_6detail15normal_iteratorINS6_10device_ptrIKdEEEESL_NS6_8equal_toIdEEEENSG_9not_fun_tINSD_8identityEEEEENSD_19counting_iterator_tIlEES8_S8_S8_S8_S8_S8_S8_S8_EEEEPS9_S9_NSD_9__find_if7functorIS9_EEEE10hipError_tPvRmT1_T2_T3_mT4_P12ihipStream_tbEUlT_E1_NS1_11comp_targetILNS1_3genE5ELNS1_11target_archE942ELNS1_3gpuE9ELNS1_3repE0EEENS1_30default_config_static_selectorELNS0_4arch9wavefront6targetE1EEEvS14_
    .private_segment_fixed_size: 0
    .sgpr_count:     4
    .sgpr_spill_count: 0
    .symbol:         _ZN7rocprim17ROCPRIM_400000_NS6detail17trampoline_kernelINS0_14default_configENS1_22reduce_config_selectorIN6thrust23THRUST_200600_302600_NS5tupleIblNS6_9null_typeES8_S8_S8_S8_S8_S8_S8_EEEEZNS1_11reduce_implILb1ES3_NS6_12zip_iteratorINS7_INS6_11hip_rocprim26transform_input_iterator_tIbNSD_35transform_pair_of_input_iterators_tIbNS6_6detail15normal_iteratorINS6_10device_ptrIKdEEEESL_NS6_8equal_toIdEEEENSG_9not_fun_tINSD_8identityEEEEENSD_19counting_iterator_tIlEES8_S8_S8_S8_S8_S8_S8_S8_EEEEPS9_S9_NSD_9__find_if7functorIS9_EEEE10hipError_tPvRmT1_T2_T3_mT4_P12ihipStream_tbEUlT_E1_NS1_11comp_targetILNS1_3genE5ELNS1_11target_archE942ELNS1_3gpuE9ELNS1_3repE0EEENS1_30default_config_static_selectorELNS0_4arch9wavefront6targetE1EEEvS14_.kd
    .uniform_work_group_size: 1
    .uses_dynamic_stack: false
    .vgpr_count:     0
    .vgpr_spill_count: 0
    .wavefront_size: 64
  - .agpr_count:     0
    .args:
      - .offset:         0
        .size:           88
        .value_kind:     by_value
    .group_segment_fixed_size: 320
    .kernarg_segment_align: 8
    .kernarg_segment_size: 88
    .language:       OpenCL C
    .language_version:
      - 2
      - 0
    .max_flat_workgroup_size: 256
    .name:           _ZN7rocprim17ROCPRIM_400000_NS6detail17trampoline_kernelINS0_14default_configENS1_22reduce_config_selectorIN6thrust23THRUST_200600_302600_NS5tupleIblNS6_9null_typeES8_S8_S8_S8_S8_S8_S8_EEEEZNS1_11reduce_implILb1ES3_NS6_12zip_iteratorINS7_INS6_11hip_rocprim26transform_input_iterator_tIbNSD_35transform_pair_of_input_iterators_tIbNS6_6detail15normal_iteratorINS6_10device_ptrIKdEEEESL_NS6_8equal_toIdEEEENSG_9not_fun_tINSD_8identityEEEEENSD_19counting_iterator_tIlEES8_S8_S8_S8_S8_S8_S8_S8_EEEEPS9_S9_NSD_9__find_if7functorIS9_EEEE10hipError_tPvRmT1_T2_T3_mT4_P12ihipStream_tbEUlT_E1_NS1_11comp_targetILNS1_3genE4ELNS1_11target_archE910ELNS1_3gpuE8ELNS1_3repE0EEENS1_30default_config_static_selectorELNS0_4arch9wavefront6targetE1EEEvS14_
    .private_segment_fixed_size: 0
    .sgpr_count:     44
    .sgpr_spill_count: 0
    .symbol:         _ZN7rocprim17ROCPRIM_400000_NS6detail17trampoline_kernelINS0_14default_configENS1_22reduce_config_selectorIN6thrust23THRUST_200600_302600_NS5tupleIblNS6_9null_typeES8_S8_S8_S8_S8_S8_S8_EEEEZNS1_11reduce_implILb1ES3_NS6_12zip_iteratorINS7_INS6_11hip_rocprim26transform_input_iterator_tIbNSD_35transform_pair_of_input_iterators_tIbNS6_6detail15normal_iteratorINS6_10device_ptrIKdEEEESL_NS6_8equal_toIdEEEENSG_9not_fun_tINSD_8identityEEEEENSD_19counting_iterator_tIlEES8_S8_S8_S8_S8_S8_S8_S8_EEEEPS9_S9_NSD_9__find_if7functorIS9_EEEE10hipError_tPvRmT1_T2_T3_mT4_P12ihipStream_tbEUlT_E1_NS1_11comp_targetILNS1_3genE4ELNS1_11target_archE910ELNS1_3gpuE8ELNS1_3repE0EEENS1_30default_config_static_selectorELNS0_4arch9wavefront6targetE1EEEvS14_.kd
    .uniform_work_group_size: 1
    .uses_dynamic_stack: false
    .vgpr_count:     44
    .vgpr_spill_count: 0
    .wavefront_size: 64
  - .agpr_count:     0
    .args:
      - .offset:         0
        .size:           88
        .value_kind:     by_value
    .group_segment_fixed_size: 0
    .kernarg_segment_align: 8
    .kernarg_segment_size: 88
    .language:       OpenCL C
    .language_version:
      - 2
      - 0
    .max_flat_workgroup_size: 128
    .name:           _ZN7rocprim17ROCPRIM_400000_NS6detail17trampoline_kernelINS0_14default_configENS1_22reduce_config_selectorIN6thrust23THRUST_200600_302600_NS5tupleIblNS6_9null_typeES8_S8_S8_S8_S8_S8_S8_EEEEZNS1_11reduce_implILb1ES3_NS6_12zip_iteratorINS7_INS6_11hip_rocprim26transform_input_iterator_tIbNSD_35transform_pair_of_input_iterators_tIbNS6_6detail15normal_iteratorINS6_10device_ptrIKdEEEESL_NS6_8equal_toIdEEEENSG_9not_fun_tINSD_8identityEEEEENSD_19counting_iterator_tIlEES8_S8_S8_S8_S8_S8_S8_S8_EEEEPS9_S9_NSD_9__find_if7functorIS9_EEEE10hipError_tPvRmT1_T2_T3_mT4_P12ihipStream_tbEUlT_E1_NS1_11comp_targetILNS1_3genE3ELNS1_11target_archE908ELNS1_3gpuE7ELNS1_3repE0EEENS1_30default_config_static_selectorELNS0_4arch9wavefront6targetE1EEEvS14_
    .private_segment_fixed_size: 0
    .sgpr_count:     4
    .sgpr_spill_count: 0
    .symbol:         _ZN7rocprim17ROCPRIM_400000_NS6detail17trampoline_kernelINS0_14default_configENS1_22reduce_config_selectorIN6thrust23THRUST_200600_302600_NS5tupleIblNS6_9null_typeES8_S8_S8_S8_S8_S8_S8_EEEEZNS1_11reduce_implILb1ES3_NS6_12zip_iteratorINS7_INS6_11hip_rocprim26transform_input_iterator_tIbNSD_35transform_pair_of_input_iterators_tIbNS6_6detail15normal_iteratorINS6_10device_ptrIKdEEEESL_NS6_8equal_toIdEEEENSG_9not_fun_tINSD_8identityEEEEENSD_19counting_iterator_tIlEES8_S8_S8_S8_S8_S8_S8_S8_EEEEPS9_S9_NSD_9__find_if7functorIS9_EEEE10hipError_tPvRmT1_T2_T3_mT4_P12ihipStream_tbEUlT_E1_NS1_11comp_targetILNS1_3genE3ELNS1_11target_archE908ELNS1_3gpuE7ELNS1_3repE0EEENS1_30default_config_static_selectorELNS0_4arch9wavefront6targetE1EEEvS14_.kd
    .uniform_work_group_size: 1
    .uses_dynamic_stack: false
    .vgpr_count:     0
    .vgpr_spill_count: 0
    .wavefront_size: 64
  - .agpr_count:     0
    .args:
      - .offset:         0
        .size:           88
        .value_kind:     by_value
    .group_segment_fixed_size: 0
    .kernarg_segment_align: 8
    .kernarg_segment_size: 88
    .language:       OpenCL C
    .language_version:
      - 2
      - 0
    .max_flat_workgroup_size: 128
    .name:           _ZN7rocprim17ROCPRIM_400000_NS6detail17trampoline_kernelINS0_14default_configENS1_22reduce_config_selectorIN6thrust23THRUST_200600_302600_NS5tupleIblNS6_9null_typeES8_S8_S8_S8_S8_S8_S8_EEEEZNS1_11reduce_implILb1ES3_NS6_12zip_iteratorINS7_INS6_11hip_rocprim26transform_input_iterator_tIbNSD_35transform_pair_of_input_iterators_tIbNS6_6detail15normal_iteratorINS6_10device_ptrIKdEEEESL_NS6_8equal_toIdEEEENSG_9not_fun_tINSD_8identityEEEEENSD_19counting_iterator_tIlEES8_S8_S8_S8_S8_S8_S8_S8_EEEEPS9_S9_NSD_9__find_if7functorIS9_EEEE10hipError_tPvRmT1_T2_T3_mT4_P12ihipStream_tbEUlT_E1_NS1_11comp_targetILNS1_3genE2ELNS1_11target_archE906ELNS1_3gpuE6ELNS1_3repE0EEENS1_30default_config_static_selectorELNS0_4arch9wavefront6targetE1EEEvS14_
    .private_segment_fixed_size: 0
    .sgpr_count:     4
    .sgpr_spill_count: 0
    .symbol:         _ZN7rocprim17ROCPRIM_400000_NS6detail17trampoline_kernelINS0_14default_configENS1_22reduce_config_selectorIN6thrust23THRUST_200600_302600_NS5tupleIblNS6_9null_typeES8_S8_S8_S8_S8_S8_S8_EEEEZNS1_11reduce_implILb1ES3_NS6_12zip_iteratorINS7_INS6_11hip_rocprim26transform_input_iterator_tIbNSD_35transform_pair_of_input_iterators_tIbNS6_6detail15normal_iteratorINS6_10device_ptrIKdEEEESL_NS6_8equal_toIdEEEENSG_9not_fun_tINSD_8identityEEEEENSD_19counting_iterator_tIlEES8_S8_S8_S8_S8_S8_S8_S8_EEEEPS9_S9_NSD_9__find_if7functorIS9_EEEE10hipError_tPvRmT1_T2_T3_mT4_P12ihipStream_tbEUlT_E1_NS1_11comp_targetILNS1_3genE2ELNS1_11target_archE906ELNS1_3gpuE6ELNS1_3repE0EEENS1_30default_config_static_selectorELNS0_4arch9wavefront6targetE1EEEvS14_.kd
    .uniform_work_group_size: 1
    .uses_dynamic_stack: false
    .vgpr_count:     0
    .vgpr_spill_count: 0
    .wavefront_size: 64
  - .agpr_count:     0
    .args:
      - .offset:         0
        .size:           88
        .value_kind:     by_value
    .group_segment_fixed_size: 0
    .kernarg_segment_align: 8
    .kernarg_segment_size: 88
    .language:       OpenCL C
    .language_version:
      - 2
      - 0
    .max_flat_workgroup_size: 256
    .name:           _ZN7rocprim17ROCPRIM_400000_NS6detail17trampoline_kernelINS0_14default_configENS1_22reduce_config_selectorIN6thrust23THRUST_200600_302600_NS5tupleIblNS6_9null_typeES8_S8_S8_S8_S8_S8_S8_EEEEZNS1_11reduce_implILb1ES3_NS6_12zip_iteratorINS7_INS6_11hip_rocprim26transform_input_iterator_tIbNSD_35transform_pair_of_input_iterators_tIbNS6_6detail15normal_iteratorINS6_10device_ptrIKdEEEESL_NS6_8equal_toIdEEEENSG_9not_fun_tINSD_8identityEEEEENSD_19counting_iterator_tIlEES8_S8_S8_S8_S8_S8_S8_S8_EEEEPS9_S9_NSD_9__find_if7functorIS9_EEEE10hipError_tPvRmT1_T2_T3_mT4_P12ihipStream_tbEUlT_E1_NS1_11comp_targetILNS1_3genE10ELNS1_11target_archE1201ELNS1_3gpuE5ELNS1_3repE0EEENS1_30default_config_static_selectorELNS0_4arch9wavefront6targetE1EEEvS14_
    .private_segment_fixed_size: 0
    .sgpr_count:     4
    .sgpr_spill_count: 0
    .symbol:         _ZN7rocprim17ROCPRIM_400000_NS6detail17trampoline_kernelINS0_14default_configENS1_22reduce_config_selectorIN6thrust23THRUST_200600_302600_NS5tupleIblNS6_9null_typeES8_S8_S8_S8_S8_S8_S8_EEEEZNS1_11reduce_implILb1ES3_NS6_12zip_iteratorINS7_INS6_11hip_rocprim26transform_input_iterator_tIbNSD_35transform_pair_of_input_iterators_tIbNS6_6detail15normal_iteratorINS6_10device_ptrIKdEEEESL_NS6_8equal_toIdEEEENSG_9not_fun_tINSD_8identityEEEEENSD_19counting_iterator_tIlEES8_S8_S8_S8_S8_S8_S8_S8_EEEEPS9_S9_NSD_9__find_if7functorIS9_EEEE10hipError_tPvRmT1_T2_T3_mT4_P12ihipStream_tbEUlT_E1_NS1_11comp_targetILNS1_3genE10ELNS1_11target_archE1201ELNS1_3gpuE5ELNS1_3repE0EEENS1_30default_config_static_selectorELNS0_4arch9wavefront6targetE1EEEvS14_.kd
    .uniform_work_group_size: 1
    .uses_dynamic_stack: false
    .vgpr_count:     0
    .vgpr_spill_count: 0
    .wavefront_size: 64
  - .agpr_count:     0
    .args:
      - .offset:         0
        .size:           88
        .value_kind:     by_value
    .group_segment_fixed_size: 0
    .kernarg_segment_align: 8
    .kernarg_segment_size: 88
    .language:       OpenCL C
    .language_version:
      - 2
      - 0
    .max_flat_workgroup_size: 256
    .name:           _ZN7rocprim17ROCPRIM_400000_NS6detail17trampoline_kernelINS0_14default_configENS1_22reduce_config_selectorIN6thrust23THRUST_200600_302600_NS5tupleIblNS6_9null_typeES8_S8_S8_S8_S8_S8_S8_EEEEZNS1_11reduce_implILb1ES3_NS6_12zip_iteratorINS7_INS6_11hip_rocprim26transform_input_iterator_tIbNSD_35transform_pair_of_input_iterators_tIbNS6_6detail15normal_iteratorINS6_10device_ptrIKdEEEESL_NS6_8equal_toIdEEEENSG_9not_fun_tINSD_8identityEEEEENSD_19counting_iterator_tIlEES8_S8_S8_S8_S8_S8_S8_S8_EEEEPS9_S9_NSD_9__find_if7functorIS9_EEEE10hipError_tPvRmT1_T2_T3_mT4_P12ihipStream_tbEUlT_E1_NS1_11comp_targetILNS1_3genE10ELNS1_11target_archE1200ELNS1_3gpuE4ELNS1_3repE0EEENS1_30default_config_static_selectorELNS0_4arch9wavefront6targetE1EEEvS14_
    .private_segment_fixed_size: 0
    .sgpr_count:     4
    .sgpr_spill_count: 0
    .symbol:         _ZN7rocprim17ROCPRIM_400000_NS6detail17trampoline_kernelINS0_14default_configENS1_22reduce_config_selectorIN6thrust23THRUST_200600_302600_NS5tupleIblNS6_9null_typeES8_S8_S8_S8_S8_S8_S8_EEEEZNS1_11reduce_implILb1ES3_NS6_12zip_iteratorINS7_INS6_11hip_rocprim26transform_input_iterator_tIbNSD_35transform_pair_of_input_iterators_tIbNS6_6detail15normal_iteratorINS6_10device_ptrIKdEEEESL_NS6_8equal_toIdEEEENSG_9not_fun_tINSD_8identityEEEEENSD_19counting_iterator_tIlEES8_S8_S8_S8_S8_S8_S8_S8_EEEEPS9_S9_NSD_9__find_if7functorIS9_EEEE10hipError_tPvRmT1_T2_T3_mT4_P12ihipStream_tbEUlT_E1_NS1_11comp_targetILNS1_3genE10ELNS1_11target_archE1200ELNS1_3gpuE4ELNS1_3repE0EEENS1_30default_config_static_selectorELNS0_4arch9wavefront6targetE1EEEvS14_.kd
    .uniform_work_group_size: 1
    .uses_dynamic_stack: false
    .vgpr_count:     0
    .vgpr_spill_count: 0
    .wavefront_size: 64
  - .agpr_count:     0
    .args:
      - .offset:         0
        .size:           88
        .value_kind:     by_value
    .group_segment_fixed_size: 0
    .kernarg_segment_align: 8
    .kernarg_segment_size: 88
    .language:       OpenCL C
    .language_version:
      - 2
      - 0
    .max_flat_workgroup_size: 256
    .name:           _ZN7rocprim17ROCPRIM_400000_NS6detail17trampoline_kernelINS0_14default_configENS1_22reduce_config_selectorIN6thrust23THRUST_200600_302600_NS5tupleIblNS6_9null_typeES8_S8_S8_S8_S8_S8_S8_EEEEZNS1_11reduce_implILb1ES3_NS6_12zip_iteratorINS7_INS6_11hip_rocprim26transform_input_iterator_tIbNSD_35transform_pair_of_input_iterators_tIbNS6_6detail15normal_iteratorINS6_10device_ptrIKdEEEESL_NS6_8equal_toIdEEEENSG_9not_fun_tINSD_8identityEEEEENSD_19counting_iterator_tIlEES8_S8_S8_S8_S8_S8_S8_S8_EEEEPS9_S9_NSD_9__find_if7functorIS9_EEEE10hipError_tPvRmT1_T2_T3_mT4_P12ihipStream_tbEUlT_E1_NS1_11comp_targetILNS1_3genE9ELNS1_11target_archE1100ELNS1_3gpuE3ELNS1_3repE0EEENS1_30default_config_static_selectorELNS0_4arch9wavefront6targetE1EEEvS14_
    .private_segment_fixed_size: 0
    .sgpr_count:     4
    .sgpr_spill_count: 0
    .symbol:         _ZN7rocprim17ROCPRIM_400000_NS6detail17trampoline_kernelINS0_14default_configENS1_22reduce_config_selectorIN6thrust23THRUST_200600_302600_NS5tupleIblNS6_9null_typeES8_S8_S8_S8_S8_S8_S8_EEEEZNS1_11reduce_implILb1ES3_NS6_12zip_iteratorINS7_INS6_11hip_rocprim26transform_input_iterator_tIbNSD_35transform_pair_of_input_iterators_tIbNS6_6detail15normal_iteratorINS6_10device_ptrIKdEEEESL_NS6_8equal_toIdEEEENSG_9not_fun_tINSD_8identityEEEEENSD_19counting_iterator_tIlEES8_S8_S8_S8_S8_S8_S8_S8_EEEEPS9_S9_NSD_9__find_if7functorIS9_EEEE10hipError_tPvRmT1_T2_T3_mT4_P12ihipStream_tbEUlT_E1_NS1_11comp_targetILNS1_3genE9ELNS1_11target_archE1100ELNS1_3gpuE3ELNS1_3repE0EEENS1_30default_config_static_selectorELNS0_4arch9wavefront6targetE1EEEvS14_.kd
    .uniform_work_group_size: 1
    .uses_dynamic_stack: false
    .vgpr_count:     0
    .vgpr_spill_count: 0
    .wavefront_size: 64
  - .agpr_count:     0
    .args:
      - .offset:         0
        .size:           88
        .value_kind:     by_value
    .group_segment_fixed_size: 0
    .kernarg_segment_align: 8
    .kernarg_segment_size: 88
    .language:       OpenCL C
    .language_version:
      - 2
      - 0
    .max_flat_workgroup_size: 256
    .name:           _ZN7rocprim17ROCPRIM_400000_NS6detail17trampoline_kernelINS0_14default_configENS1_22reduce_config_selectorIN6thrust23THRUST_200600_302600_NS5tupleIblNS6_9null_typeES8_S8_S8_S8_S8_S8_S8_EEEEZNS1_11reduce_implILb1ES3_NS6_12zip_iteratorINS7_INS6_11hip_rocprim26transform_input_iterator_tIbNSD_35transform_pair_of_input_iterators_tIbNS6_6detail15normal_iteratorINS6_10device_ptrIKdEEEESL_NS6_8equal_toIdEEEENSG_9not_fun_tINSD_8identityEEEEENSD_19counting_iterator_tIlEES8_S8_S8_S8_S8_S8_S8_S8_EEEEPS9_S9_NSD_9__find_if7functorIS9_EEEE10hipError_tPvRmT1_T2_T3_mT4_P12ihipStream_tbEUlT_E1_NS1_11comp_targetILNS1_3genE8ELNS1_11target_archE1030ELNS1_3gpuE2ELNS1_3repE0EEENS1_30default_config_static_selectorELNS0_4arch9wavefront6targetE1EEEvS14_
    .private_segment_fixed_size: 0
    .sgpr_count:     4
    .sgpr_spill_count: 0
    .symbol:         _ZN7rocprim17ROCPRIM_400000_NS6detail17trampoline_kernelINS0_14default_configENS1_22reduce_config_selectorIN6thrust23THRUST_200600_302600_NS5tupleIblNS6_9null_typeES8_S8_S8_S8_S8_S8_S8_EEEEZNS1_11reduce_implILb1ES3_NS6_12zip_iteratorINS7_INS6_11hip_rocprim26transform_input_iterator_tIbNSD_35transform_pair_of_input_iterators_tIbNS6_6detail15normal_iteratorINS6_10device_ptrIKdEEEESL_NS6_8equal_toIdEEEENSG_9not_fun_tINSD_8identityEEEEENSD_19counting_iterator_tIlEES8_S8_S8_S8_S8_S8_S8_S8_EEEEPS9_S9_NSD_9__find_if7functorIS9_EEEE10hipError_tPvRmT1_T2_T3_mT4_P12ihipStream_tbEUlT_E1_NS1_11comp_targetILNS1_3genE8ELNS1_11target_archE1030ELNS1_3gpuE2ELNS1_3repE0EEENS1_30default_config_static_selectorELNS0_4arch9wavefront6targetE1EEEvS14_.kd
    .uniform_work_group_size: 1
    .uses_dynamic_stack: false
    .vgpr_count:     0
    .vgpr_spill_count: 0
    .wavefront_size: 64
  - .agpr_count:     0
    .args:
      - .offset:         0
        .size:           16
        .value_kind:     by_value
      - .offset:         16
        .size:           8
        .value_kind:     by_value
      - .offset:         24
        .size:           8
        .value_kind:     by_value
    .group_segment_fixed_size: 0
    .kernarg_segment_align: 8
    .kernarg_segment_size: 32
    .language:       OpenCL C
    .language_version:
      - 2
      - 0
    .max_flat_workgroup_size: 256
    .name:           _ZN6thrust23THRUST_200600_302600_NS11hip_rocprim14__parallel_for6kernelILj256ENS1_10for_each_fINS0_7pointerINS0_5tupleIblNS0_9null_typeES7_S7_S7_S7_S7_S7_S7_EENS1_3tagENS0_11use_defaultESA_EENS0_6detail16wrapped_functionINSC_23allocator_traits_detail24construct1_via_allocatorINSC_18no_throw_allocatorINSC_19temporary_allocatorIS8_S9_EEEEEEvEEEEmLj1EEEvT0_T1_SO_
    .private_segment_fixed_size: 0
    .sgpr_count:     16
    .sgpr_spill_count: 0
    .symbol:         _ZN6thrust23THRUST_200600_302600_NS11hip_rocprim14__parallel_for6kernelILj256ENS1_10for_each_fINS0_7pointerINS0_5tupleIblNS0_9null_typeES7_S7_S7_S7_S7_S7_S7_EENS1_3tagENS0_11use_defaultESA_EENS0_6detail16wrapped_functionINSC_23allocator_traits_detail24construct1_via_allocatorINSC_18no_throw_allocatorINSC_19temporary_allocatorIS8_S9_EEEEEEvEEEEmLj1EEEvT0_T1_SO_.kd
    .uniform_work_group_size: 1
    .uses_dynamic_stack: false
    .vgpr_count:     4
    .vgpr_spill_count: 0
    .wavefront_size: 64
  - .agpr_count:     0
    .args:
      - .offset:         0
        .size:           16
        .value_kind:     by_value
      - .offset:         16
        .size:           8
        .value_kind:     by_value
      - .offset:         24
        .size:           8
        .value_kind:     by_value
    .group_segment_fixed_size: 0
    .kernarg_segment_align: 8
    .kernarg_segment_size: 32
    .language:       OpenCL C
    .language_version:
      - 2
      - 0
    .max_flat_workgroup_size: 256
    .name:           _ZN6thrust23THRUST_200600_302600_NS11hip_rocprim14__parallel_for6kernelILj256ENS1_10for_each_fINS0_7pointerINS0_5tupleIblNS0_9null_typeES7_S7_S7_S7_S7_S7_S7_EENS1_3tagENS0_11use_defaultESA_EENS0_6detail16wrapped_functionINSC_23allocator_traits_detail5gozerEvEEEElLj1EEEvT0_T1_SJ_
    .private_segment_fixed_size: 0
    .sgpr_count:     4
    .sgpr_spill_count: 0
    .symbol:         _ZN6thrust23THRUST_200600_302600_NS11hip_rocprim14__parallel_for6kernelILj256ENS1_10for_each_fINS0_7pointerINS0_5tupleIblNS0_9null_typeES7_S7_S7_S7_S7_S7_S7_EENS1_3tagENS0_11use_defaultESA_EENS0_6detail16wrapped_functionINSC_23allocator_traits_detail5gozerEvEEEElLj1EEEvT0_T1_SJ_.kd
    .uniform_work_group_size: 1
    .uses_dynamic_stack: false
    .vgpr_count:     0
    .vgpr_spill_count: 0
    .wavefront_size: 64
  - .agpr_count:     0
    .args:
      - .offset:         0
        .size:           16
        .value_kind:     by_value
      - .offset:         16
        .size:           8
        .value_kind:     by_value
      - .offset:         24
        .size:           8
        .value_kind:     by_value
    .group_segment_fixed_size: 0
    .kernarg_segment_align: 8
    .kernarg_segment_size: 32
    .language:       OpenCL C
    .language_version:
      - 2
      - 0
    .max_flat_workgroup_size: 256
    .name:           _ZN6thrust23THRUST_200600_302600_NS11hip_rocprim14__parallel_for6kernelILj256ENS1_20__uninitialized_copy7functorIPNS0_5tupleIblNS0_9null_typeES7_S7_S7_S7_S7_S7_S7_EENS0_7pointerIS8_NS1_3tagENS0_11use_defaultESC_EEEEmLj1EEEvT0_T1_SG_
    .private_segment_fixed_size: 0
    .sgpr_count:     20
    .sgpr_spill_count: 0
    .symbol:         _ZN6thrust23THRUST_200600_302600_NS11hip_rocprim14__parallel_for6kernelILj256ENS1_20__uninitialized_copy7functorIPNS0_5tupleIblNS0_9null_typeES7_S7_S7_S7_S7_S7_S7_EENS0_7pointerIS8_NS1_3tagENS0_11use_defaultESC_EEEEmLj1EEEvT0_T1_SG_.kd
    .uniform_work_group_size: 1
    .uses_dynamic_stack: false
    .vgpr_count:     8
    .vgpr_spill_count: 0
    .wavefront_size: 64
  - .agpr_count:     0
    .args:
      - .offset:         0
        .size:           16
        .value_kind:     by_value
      - .offset:         16
        .size:           8
        .value_kind:     by_value
      - .offset:         24
        .size:           8
        .value_kind:     by_value
    .group_segment_fixed_size: 0
    .kernarg_segment_align: 8
    .kernarg_segment_size: 32
    .language:       OpenCL C
    .language_version:
      - 2
      - 0
    .max_flat_workgroup_size: 256
    .name:           _ZN6thrust23THRUST_200600_302600_NS11hip_rocprim14__parallel_for6kernelILj256ENS1_20__uninitialized_fill7functorINS0_10device_ptrIfEEfEEmLj1EEEvT0_T1_SA_
    .private_segment_fixed_size: 0
    .sgpr_count:     16
    .sgpr_spill_count: 0
    .symbol:         _ZN6thrust23THRUST_200600_302600_NS11hip_rocprim14__parallel_for6kernelILj256ENS1_20__uninitialized_fill7functorINS0_10device_ptrIfEEfEEmLj1EEEvT0_T1_SA_.kd
    .uniform_work_group_size: 1
    .uses_dynamic_stack: false
    .vgpr_count:     4
    .vgpr_spill_count: 0
    .wavefront_size: 64
  - .agpr_count:     0
    .args:
      - .offset:         0
        .size:           48
        .value_kind:     by_value
    .group_segment_fixed_size: 0
    .kernarg_segment_align: 8
    .kernarg_segment_size: 48
    .language:       OpenCL C
    .language_version:
      - 2
      - 0
    .max_flat_workgroup_size: 512
    .name:           _ZN7rocprim17ROCPRIM_400000_NS6detail17trampoline_kernelINS0_14default_configENS1_21merge_config_selectorIfNS0_10empty_typeEEEZNS1_10merge_implIS3_N6thrust23THRUST_200600_302600_NS6detail15normal_iteratorINS9_10device_ptrIKfEEEESF_NSB_INSC_IfEEEEPS5_SI_SI_NS9_4lessIfEEEE10hipError_tPvRmT0_T1_T2_T3_T4_T5_mmT6_P12ihipStream_tbEUlT_E_NS1_11comp_targetILNS1_3genE0ELNS1_11target_archE4294967295ELNS1_3gpuE0ELNS1_3repE0EEENS1_30default_config_static_selectorELNS0_4arch9wavefront6targetE1EEEvSP_
    .private_segment_fixed_size: 0
    .sgpr_count:     4
    .sgpr_spill_count: 0
    .symbol:         _ZN7rocprim17ROCPRIM_400000_NS6detail17trampoline_kernelINS0_14default_configENS1_21merge_config_selectorIfNS0_10empty_typeEEEZNS1_10merge_implIS3_N6thrust23THRUST_200600_302600_NS6detail15normal_iteratorINS9_10device_ptrIKfEEEESF_NSB_INSC_IfEEEEPS5_SI_SI_NS9_4lessIfEEEE10hipError_tPvRmT0_T1_T2_T3_T4_T5_mmT6_P12ihipStream_tbEUlT_E_NS1_11comp_targetILNS1_3genE0ELNS1_11target_archE4294967295ELNS1_3gpuE0ELNS1_3repE0EEENS1_30default_config_static_selectorELNS0_4arch9wavefront6targetE1EEEvSP_.kd
    .uniform_work_group_size: 1
    .uses_dynamic_stack: false
    .vgpr_count:     0
    .vgpr_spill_count: 0
    .wavefront_size: 64
  - .agpr_count:     0
    .args:
      - .offset:         0
        .size:           48
        .value_kind:     by_value
    .group_segment_fixed_size: 0
    .kernarg_segment_align: 8
    .kernarg_segment_size: 48
    .language:       OpenCL C
    .language_version:
      - 2
      - 0
    .max_flat_workgroup_size: 256
    .name:           _ZN7rocprim17ROCPRIM_400000_NS6detail17trampoline_kernelINS0_14default_configENS1_21merge_config_selectorIfNS0_10empty_typeEEEZNS1_10merge_implIS3_N6thrust23THRUST_200600_302600_NS6detail15normal_iteratorINS9_10device_ptrIKfEEEESF_NSB_INSC_IfEEEEPS5_SI_SI_NS9_4lessIfEEEE10hipError_tPvRmT0_T1_T2_T3_T4_T5_mmT6_P12ihipStream_tbEUlT_E_NS1_11comp_targetILNS1_3genE5ELNS1_11target_archE942ELNS1_3gpuE9ELNS1_3repE0EEENS1_30default_config_static_selectorELNS0_4arch9wavefront6targetE1EEEvSP_
    .private_segment_fixed_size: 0
    .sgpr_count:     4
    .sgpr_spill_count: 0
    .symbol:         _ZN7rocprim17ROCPRIM_400000_NS6detail17trampoline_kernelINS0_14default_configENS1_21merge_config_selectorIfNS0_10empty_typeEEEZNS1_10merge_implIS3_N6thrust23THRUST_200600_302600_NS6detail15normal_iteratorINS9_10device_ptrIKfEEEESF_NSB_INSC_IfEEEEPS5_SI_SI_NS9_4lessIfEEEE10hipError_tPvRmT0_T1_T2_T3_T4_T5_mmT6_P12ihipStream_tbEUlT_E_NS1_11comp_targetILNS1_3genE5ELNS1_11target_archE942ELNS1_3gpuE9ELNS1_3repE0EEENS1_30default_config_static_selectorELNS0_4arch9wavefront6targetE1EEEvSP_.kd
    .uniform_work_group_size: 1
    .uses_dynamic_stack: false
    .vgpr_count:     0
    .vgpr_spill_count: 0
    .wavefront_size: 64
  - .agpr_count:     0
    .args:
      - .offset:         0
        .size:           48
        .value_kind:     by_value
      - .offset:         48
        .size:           4
        .value_kind:     hidden_block_count_x
      - .offset:         52
        .size:           4
        .value_kind:     hidden_block_count_y
      - .offset:         56
        .size:           4
        .value_kind:     hidden_block_count_z
      - .offset:         60
        .size:           2
        .value_kind:     hidden_group_size_x
      - .offset:         62
        .size:           2
        .value_kind:     hidden_group_size_y
      - .offset:         64
        .size:           2
        .value_kind:     hidden_group_size_z
      - .offset:         66
        .size:           2
        .value_kind:     hidden_remainder_x
      - .offset:         68
        .size:           2
        .value_kind:     hidden_remainder_y
      - .offset:         70
        .size:           2
        .value_kind:     hidden_remainder_z
      - .offset:         88
        .size:           8
        .value_kind:     hidden_global_offset_x
      - .offset:         96
        .size:           8
        .value_kind:     hidden_global_offset_y
      - .offset:         104
        .size:           8
        .value_kind:     hidden_global_offset_z
      - .offset:         112
        .size:           2
        .value_kind:     hidden_grid_dims
    .group_segment_fixed_size: 0
    .kernarg_segment_align: 8
    .kernarg_segment_size: 304
    .language:       OpenCL C
    .language_version:
      - 2
      - 0
    .max_flat_workgroup_size: 256
    .name:           _ZN7rocprim17ROCPRIM_400000_NS6detail17trampoline_kernelINS0_14default_configENS1_21merge_config_selectorIfNS0_10empty_typeEEEZNS1_10merge_implIS3_N6thrust23THRUST_200600_302600_NS6detail15normal_iteratorINS9_10device_ptrIKfEEEESF_NSB_INSC_IfEEEEPS5_SI_SI_NS9_4lessIfEEEE10hipError_tPvRmT0_T1_T2_T3_T4_T5_mmT6_P12ihipStream_tbEUlT_E_NS1_11comp_targetILNS1_3genE4ELNS1_11target_archE910ELNS1_3gpuE8ELNS1_3repE0EEENS1_30default_config_static_selectorELNS0_4arch9wavefront6targetE1EEEvSP_
    .private_segment_fixed_size: 0
    .sgpr_count:     18
    .sgpr_spill_count: 0
    .symbol:         _ZN7rocprim17ROCPRIM_400000_NS6detail17trampoline_kernelINS0_14default_configENS1_21merge_config_selectorIfNS0_10empty_typeEEEZNS1_10merge_implIS3_N6thrust23THRUST_200600_302600_NS6detail15normal_iteratorINS9_10device_ptrIKfEEEESF_NSB_INSC_IfEEEEPS5_SI_SI_NS9_4lessIfEEEE10hipError_tPvRmT0_T1_T2_T3_T4_T5_mmT6_P12ihipStream_tbEUlT_E_NS1_11comp_targetILNS1_3genE4ELNS1_11target_archE910ELNS1_3gpuE8ELNS1_3repE0EEENS1_30default_config_static_selectorELNS0_4arch9wavefront6targetE1EEEvSP_.kd
    .uniform_work_group_size: 1
    .uses_dynamic_stack: false
    .vgpr_count:     14
    .vgpr_spill_count: 0
    .wavefront_size: 64
  - .agpr_count:     0
    .args:
      - .offset:         0
        .size:           48
        .value_kind:     by_value
    .group_segment_fixed_size: 0
    .kernarg_segment_align: 8
    .kernarg_segment_size: 48
    .language:       OpenCL C
    .language_version:
      - 2
      - 0
    .max_flat_workgroup_size: 512
    .name:           _ZN7rocprim17ROCPRIM_400000_NS6detail17trampoline_kernelINS0_14default_configENS1_21merge_config_selectorIfNS0_10empty_typeEEEZNS1_10merge_implIS3_N6thrust23THRUST_200600_302600_NS6detail15normal_iteratorINS9_10device_ptrIKfEEEESF_NSB_INSC_IfEEEEPS5_SI_SI_NS9_4lessIfEEEE10hipError_tPvRmT0_T1_T2_T3_T4_T5_mmT6_P12ihipStream_tbEUlT_E_NS1_11comp_targetILNS1_3genE3ELNS1_11target_archE908ELNS1_3gpuE7ELNS1_3repE0EEENS1_30default_config_static_selectorELNS0_4arch9wavefront6targetE1EEEvSP_
    .private_segment_fixed_size: 0
    .sgpr_count:     4
    .sgpr_spill_count: 0
    .symbol:         _ZN7rocprim17ROCPRIM_400000_NS6detail17trampoline_kernelINS0_14default_configENS1_21merge_config_selectorIfNS0_10empty_typeEEEZNS1_10merge_implIS3_N6thrust23THRUST_200600_302600_NS6detail15normal_iteratorINS9_10device_ptrIKfEEEESF_NSB_INSC_IfEEEEPS5_SI_SI_NS9_4lessIfEEEE10hipError_tPvRmT0_T1_T2_T3_T4_T5_mmT6_P12ihipStream_tbEUlT_E_NS1_11comp_targetILNS1_3genE3ELNS1_11target_archE908ELNS1_3gpuE7ELNS1_3repE0EEENS1_30default_config_static_selectorELNS0_4arch9wavefront6targetE1EEEvSP_.kd
    .uniform_work_group_size: 1
    .uses_dynamic_stack: false
    .vgpr_count:     0
    .vgpr_spill_count: 0
    .wavefront_size: 64
  - .agpr_count:     0
    .args:
      - .offset:         0
        .size:           48
        .value_kind:     by_value
    .group_segment_fixed_size: 0
    .kernarg_segment_align: 8
    .kernarg_segment_size: 48
    .language:       OpenCL C
    .language_version:
      - 2
      - 0
    .max_flat_workgroup_size: 256
    .name:           _ZN7rocprim17ROCPRIM_400000_NS6detail17trampoline_kernelINS0_14default_configENS1_21merge_config_selectorIfNS0_10empty_typeEEEZNS1_10merge_implIS3_N6thrust23THRUST_200600_302600_NS6detail15normal_iteratorINS9_10device_ptrIKfEEEESF_NSB_INSC_IfEEEEPS5_SI_SI_NS9_4lessIfEEEE10hipError_tPvRmT0_T1_T2_T3_T4_T5_mmT6_P12ihipStream_tbEUlT_E_NS1_11comp_targetILNS1_3genE2ELNS1_11target_archE906ELNS1_3gpuE6ELNS1_3repE0EEENS1_30default_config_static_selectorELNS0_4arch9wavefront6targetE1EEEvSP_
    .private_segment_fixed_size: 0
    .sgpr_count:     4
    .sgpr_spill_count: 0
    .symbol:         _ZN7rocprim17ROCPRIM_400000_NS6detail17trampoline_kernelINS0_14default_configENS1_21merge_config_selectorIfNS0_10empty_typeEEEZNS1_10merge_implIS3_N6thrust23THRUST_200600_302600_NS6detail15normal_iteratorINS9_10device_ptrIKfEEEESF_NSB_INSC_IfEEEEPS5_SI_SI_NS9_4lessIfEEEE10hipError_tPvRmT0_T1_T2_T3_T4_T5_mmT6_P12ihipStream_tbEUlT_E_NS1_11comp_targetILNS1_3genE2ELNS1_11target_archE906ELNS1_3gpuE6ELNS1_3repE0EEENS1_30default_config_static_selectorELNS0_4arch9wavefront6targetE1EEEvSP_.kd
    .uniform_work_group_size: 1
    .uses_dynamic_stack: false
    .vgpr_count:     0
    .vgpr_spill_count: 0
    .wavefront_size: 64
  - .agpr_count:     0
    .args:
      - .offset:         0
        .size:           48
        .value_kind:     by_value
    .group_segment_fixed_size: 0
    .kernarg_segment_align: 8
    .kernarg_segment_size: 48
    .language:       OpenCL C
    .language_version:
      - 2
      - 0
    .max_flat_workgroup_size: 1024
    .name:           _ZN7rocprim17ROCPRIM_400000_NS6detail17trampoline_kernelINS0_14default_configENS1_21merge_config_selectorIfNS0_10empty_typeEEEZNS1_10merge_implIS3_N6thrust23THRUST_200600_302600_NS6detail15normal_iteratorINS9_10device_ptrIKfEEEESF_NSB_INSC_IfEEEEPS5_SI_SI_NS9_4lessIfEEEE10hipError_tPvRmT0_T1_T2_T3_T4_T5_mmT6_P12ihipStream_tbEUlT_E_NS1_11comp_targetILNS1_3genE10ELNS1_11target_archE1201ELNS1_3gpuE5ELNS1_3repE0EEENS1_30default_config_static_selectorELNS0_4arch9wavefront6targetE1EEEvSP_
    .private_segment_fixed_size: 0
    .sgpr_count:     4
    .sgpr_spill_count: 0
    .symbol:         _ZN7rocprim17ROCPRIM_400000_NS6detail17trampoline_kernelINS0_14default_configENS1_21merge_config_selectorIfNS0_10empty_typeEEEZNS1_10merge_implIS3_N6thrust23THRUST_200600_302600_NS6detail15normal_iteratorINS9_10device_ptrIKfEEEESF_NSB_INSC_IfEEEEPS5_SI_SI_NS9_4lessIfEEEE10hipError_tPvRmT0_T1_T2_T3_T4_T5_mmT6_P12ihipStream_tbEUlT_E_NS1_11comp_targetILNS1_3genE10ELNS1_11target_archE1201ELNS1_3gpuE5ELNS1_3repE0EEENS1_30default_config_static_selectorELNS0_4arch9wavefront6targetE1EEEvSP_.kd
    .uniform_work_group_size: 1
    .uses_dynamic_stack: false
    .vgpr_count:     0
    .vgpr_spill_count: 0
    .wavefront_size: 64
  - .agpr_count:     0
    .args:
      - .offset:         0
        .size:           48
        .value_kind:     by_value
    .group_segment_fixed_size: 0
    .kernarg_segment_align: 8
    .kernarg_segment_size: 48
    .language:       OpenCL C
    .language_version:
      - 2
      - 0
    .max_flat_workgroup_size: 1024
    .name:           _ZN7rocprim17ROCPRIM_400000_NS6detail17trampoline_kernelINS0_14default_configENS1_21merge_config_selectorIfNS0_10empty_typeEEEZNS1_10merge_implIS3_N6thrust23THRUST_200600_302600_NS6detail15normal_iteratorINS9_10device_ptrIKfEEEESF_NSB_INSC_IfEEEEPS5_SI_SI_NS9_4lessIfEEEE10hipError_tPvRmT0_T1_T2_T3_T4_T5_mmT6_P12ihipStream_tbEUlT_E_NS1_11comp_targetILNS1_3genE10ELNS1_11target_archE1200ELNS1_3gpuE4ELNS1_3repE0EEENS1_30default_config_static_selectorELNS0_4arch9wavefront6targetE1EEEvSP_
    .private_segment_fixed_size: 0
    .sgpr_count:     4
    .sgpr_spill_count: 0
    .symbol:         _ZN7rocprim17ROCPRIM_400000_NS6detail17trampoline_kernelINS0_14default_configENS1_21merge_config_selectorIfNS0_10empty_typeEEEZNS1_10merge_implIS3_N6thrust23THRUST_200600_302600_NS6detail15normal_iteratorINS9_10device_ptrIKfEEEESF_NSB_INSC_IfEEEEPS5_SI_SI_NS9_4lessIfEEEE10hipError_tPvRmT0_T1_T2_T3_T4_T5_mmT6_P12ihipStream_tbEUlT_E_NS1_11comp_targetILNS1_3genE10ELNS1_11target_archE1200ELNS1_3gpuE4ELNS1_3repE0EEENS1_30default_config_static_selectorELNS0_4arch9wavefront6targetE1EEEvSP_.kd
    .uniform_work_group_size: 1
    .uses_dynamic_stack: false
    .vgpr_count:     0
    .vgpr_spill_count: 0
    .wavefront_size: 64
  - .agpr_count:     0
    .args:
      - .offset:         0
        .size:           48
        .value_kind:     by_value
    .group_segment_fixed_size: 0
    .kernarg_segment_align: 8
    .kernarg_segment_size: 48
    .language:       OpenCL C
    .language_version:
      - 2
      - 0
    .max_flat_workgroup_size: 1024
    .name:           _ZN7rocprim17ROCPRIM_400000_NS6detail17trampoline_kernelINS0_14default_configENS1_21merge_config_selectorIfNS0_10empty_typeEEEZNS1_10merge_implIS3_N6thrust23THRUST_200600_302600_NS6detail15normal_iteratorINS9_10device_ptrIKfEEEESF_NSB_INSC_IfEEEEPS5_SI_SI_NS9_4lessIfEEEE10hipError_tPvRmT0_T1_T2_T3_T4_T5_mmT6_P12ihipStream_tbEUlT_E_NS1_11comp_targetILNS1_3genE9ELNS1_11target_archE1100ELNS1_3gpuE3ELNS1_3repE0EEENS1_30default_config_static_selectorELNS0_4arch9wavefront6targetE1EEEvSP_
    .private_segment_fixed_size: 0
    .sgpr_count:     4
    .sgpr_spill_count: 0
    .symbol:         _ZN7rocprim17ROCPRIM_400000_NS6detail17trampoline_kernelINS0_14default_configENS1_21merge_config_selectorIfNS0_10empty_typeEEEZNS1_10merge_implIS3_N6thrust23THRUST_200600_302600_NS6detail15normal_iteratorINS9_10device_ptrIKfEEEESF_NSB_INSC_IfEEEEPS5_SI_SI_NS9_4lessIfEEEE10hipError_tPvRmT0_T1_T2_T3_T4_T5_mmT6_P12ihipStream_tbEUlT_E_NS1_11comp_targetILNS1_3genE9ELNS1_11target_archE1100ELNS1_3gpuE3ELNS1_3repE0EEENS1_30default_config_static_selectorELNS0_4arch9wavefront6targetE1EEEvSP_.kd
    .uniform_work_group_size: 1
    .uses_dynamic_stack: false
    .vgpr_count:     0
    .vgpr_spill_count: 0
    .wavefront_size: 64
  - .agpr_count:     0
    .args:
      - .offset:         0
        .size:           48
        .value_kind:     by_value
    .group_segment_fixed_size: 0
    .kernarg_segment_align: 8
    .kernarg_segment_size: 48
    .language:       OpenCL C
    .language_version:
      - 2
      - 0
    .max_flat_workgroup_size: 1024
    .name:           _ZN7rocprim17ROCPRIM_400000_NS6detail17trampoline_kernelINS0_14default_configENS1_21merge_config_selectorIfNS0_10empty_typeEEEZNS1_10merge_implIS3_N6thrust23THRUST_200600_302600_NS6detail15normal_iteratorINS9_10device_ptrIKfEEEESF_NSB_INSC_IfEEEEPS5_SI_SI_NS9_4lessIfEEEE10hipError_tPvRmT0_T1_T2_T3_T4_T5_mmT6_P12ihipStream_tbEUlT_E_NS1_11comp_targetILNS1_3genE8ELNS1_11target_archE1030ELNS1_3gpuE2ELNS1_3repE0EEENS1_30default_config_static_selectorELNS0_4arch9wavefront6targetE1EEEvSP_
    .private_segment_fixed_size: 0
    .sgpr_count:     4
    .sgpr_spill_count: 0
    .symbol:         _ZN7rocprim17ROCPRIM_400000_NS6detail17trampoline_kernelINS0_14default_configENS1_21merge_config_selectorIfNS0_10empty_typeEEEZNS1_10merge_implIS3_N6thrust23THRUST_200600_302600_NS6detail15normal_iteratorINS9_10device_ptrIKfEEEESF_NSB_INSC_IfEEEEPS5_SI_SI_NS9_4lessIfEEEE10hipError_tPvRmT0_T1_T2_T3_T4_T5_mmT6_P12ihipStream_tbEUlT_E_NS1_11comp_targetILNS1_3genE8ELNS1_11target_archE1030ELNS1_3gpuE2ELNS1_3repE0EEENS1_30default_config_static_selectorELNS0_4arch9wavefront6targetE1EEEvSP_.kd
    .uniform_work_group_size: 1
    .uses_dynamic_stack: false
    .vgpr_count:     0
    .vgpr_spill_count: 0
    .wavefront_size: 64
  - .agpr_count:     0
    .args:
      - .offset:         0
        .size:           88
        .value_kind:     by_value
    .group_segment_fixed_size: 0
    .kernarg_segment_align: 8
    .kernarg_segment_size: 88
    .language:       OpenCL C
    .language_version:
      - 2
      - 0
    .max_flat_workgroup_size: 512
    .name:           _ZN7rocprim17ROCPRIM_400000_NS6detail17trampoline_kernelINS0_14default_configENS1_21merge_config_selectorIfNS0_10empty_typeEEEZNS1_10merge_implIS3_N6thrust23THRUST_200600_302600_NS6detail15normal_iteratorINS9_10device_ptrIKfEEEESF_NSB_INSC_IfEEEEPS5_SI_SI_NS9_4lessIfEEEE10hipError_tPvRmT0_T1_T2_T3_T4_T5_mmT6_P12ihipStream_tbEUlT_E0_NS1_11comp_targetILNS1_3genE0ELNS1_11target_archE4294967295ELNS1_3gpuE0ELNS1_3repE0EEENS1_30default_config_static_selectorELNS0_4arch9wavefront6targetE1EEEvSP_
    .private_segment_fixed_size: 0
    .sgpr_count:     4
    .sgpr_spill_count: 0
    .symbol:         _ZN7rocprim17ROCPRIM_400000_NS6detail17trampoline_kernelINS0_14default_configENS1_21merge_config_selectorIfNS0_10empty_typeEEEZNS1_10merge_implIS3_N6thrust23THRUST_200600_302600_NS6detail15normal_iteratorINS9_10device_ptrIKfEEEESF_NSB_INSC_IfEEEEPS5_SI_SI_NS9_4lessIfEEEE10hipError_tPvRmT0_T1_T2_T3_T4_T5_mmT6_P12ihipStream_tbEUlT_E0_NS1_11comp_targetILNS1_3genE0ELNS1_11target_archE4294967295ELNS1_3gpuE0ELNS1_3repE0EEENS1_30default_config_static_selectorELNS0_4arch9wavefront6targetE1EEEvSP_.kd
    .uniform_work_group_size: 1
    .uses_dynamic_stack: false
    .vgpr_count:     0
    .vgpr_spill_count: 0
    .wavefront_size: 64
  - .agpr_count:     0
    .args:
      - .offset:         0
        .size:           88
        .value_kind:     by_value
    .group_segment_fixed_size: 0
    .kernarg_segment_align: 8
    .kernarg_segment_size: 88
    .language:       OpenCL C
    .language_version:
      - 2
      - 0
    .max_flat_workgroup_size: 256
    .name:           _ZN7rocprim17ROCPRIM_400000_NS6detail17trampoline_kernelINS0_14default_configENS1_21merge_config_selectorIfNS0_10empty_typeEEEZNS1_10merge_implIS3_N6thrust23THRUST_200600_302600_NS6detail15normal_iteratorINS9_10device_ptrIKfEEEESF_NSB_INSC_IfEEEEPS5_SI_SI_NS9_4lessIfEEEE10hipError_tPvRmT0_T1_T2_T3_T4_T5_mmT6_P12ihipStream_tbEUlT_E0_NS1_11comp_targetILNS1_3genE5ELNS1_11target_archE942ELNS1_3gpuE9ELNS1_3repE0EEENS1_30default_config_static_selectorELNS0_4arch9wavefront6targetE1EEEvSP_
    .private_segment_fixed_size: 0
    .sgpr_count:     4
    .sgpr_spill_count: 0
    .symbol:         _ZN7rocprim17ROCPRIM_400000_NS6detail17trampoline_kernelINS0_14default_configENS1_21merge_config_selectorIfNS0_10empty_typeEEEZNS1_10merge_implIS3_N6thrust23THRUST_200600_302600_NS6detail15normal_iteratorINS9_10device_ptrIKfEEEESF_NSB_INSC_IfEEEEPS5_SI_SI_NS9_4lessIfEEEE10hipError_tPvRmT0_T1_T2_T3_T4_T5_mmT6_P12ihipStream_tbEUlT_E0_NS1_11comp_targetILNS1_3genE5ELNS1_11target_archE942ELNS1_3gpuE9ELNS1_3repE0EEENS1_30default_config_static_selectorELNS0_4arch9wavefront6targetE1EEEvSP_.kd
    .uniform_work_group_size: 1
    .uses_dynamic_stack: false
    .vgpr_count:     0
    .vgpr_spill_count: 0
    .wavefront_size: 64
  - .agpr_count:     0
    .args:
      - .offset:         0
        .size:           88
        .value_kind:     by_value
    .group_segment_fixed_size: 10256
    .kernarg_segment_align: 8
    .kernarg_segment_size: 88
    .language:       OpenCL C
    .language_version:
      - 2
      - 0
    .max_flat_workgroup_size: 256
    .name:           _ZN7rocprim17ROCPRIM_400000_NS6detail17trampoline_kernelINS0_14default_configENS1_21merge_config_selectorIfNS0_10empty_typeEEEZNS1_10merge_implIS3_N6thrust23THRUST_200600_302600_NS6detail15normal_iteratorINS9_10device_ptrIKfEEEESF_NSB_INSC_IfEEEEPS5_SI_SI_NS9_4lessIfEEEE10hipError_tPvRmT0_T1_T2_T3_T4_T5_mmT6_P12ihipStream_tbEUlT_E0_NS1_11comp_targetILNS1_3genE4ELNS1_11target_archE910ELNS1_3gpuE8ELNS1_3repE0EEENS1_30default_config_static_selectorELNS0_4arch9wavefront6targetE1EEEvSP_
    .private_segment_fixed_size: 0
    .sgpr_count:     28
    .sgpr_spill_count: 0
    .symbol:         _ZN7rocprim17ROCPRIM_400000_NS6detail17trampoline_kernelINS0_14default_configENS1_21merge_config_selectorIfNS0_10empty_typeEEEZNS1_10merge_implIS3_N6thrust23THRUST_200600_302600_NS6detail15normal_iteratorINS9_10device_ptrIKfEEEESF_NSB_INSC_IfEEEEPS5_SI_SI_NS9_4lessIfEEEE10hipError_tPvRmT0_T1_T2_T3_T4_T5_mmT6_P12ihipStream_tbEUlT_E0_NS1_11comp_targetILNS1_3genE4ELNS1_11target_archE910ELNS1_3gpuE8ELNS1_3repE0EEENS1_30default_config_static_selectorELNS0_4arch9wavefront6targetE1EEEvSP_.kd
    .uniform_work_group_size: 1
    .uses_dynamic_stack: false
    .vgpr_count:     36
    .vgpr_spill_count: 0
    .wavefront_size: 64
  - .agpr_count:     0
    .args:
      - .offset:         0
        .size:           88
        .value_kind:     by_value
    .group_segment_fixed_size: 0
    .kernarg_segment_align: 8
    .kernarg_segment_size: 88
    .language:       OpenCL C
    .language_version:
      - 2
      - 0
    .max_flat_workgroup_size: 512
    .name:           _ZN7rocprim17ROCPRIM_400000_NS6detail17trampoline_kernelINS0_14default_configENS1_21merge_config_selectorIfNS0_10empty_typeEEEZNS1_10merge_implIS3_N6thrust23THRUST_200600_302600_NS6detail15normal_iteratorINS9_10device_ptrIKfEEEESF_NSB_INSC_IfEEEEPS5_SI_SI_NS9_4lessIfEEEE10hipError_tPvRmT0_T1_T2_T3_T4_T5_mmT6_P12ihipStream_tbEUlT_E0_NS1_11comp_targetILNS1_3genE3ELNS1_11target_archE908ELNS1_3gpuE7ELNS1_3repE0EEENS1_30default_config_static_selectorELNS0_4arch9wavefront6targetE1EEEvSP_
    .private_segment_fixed_size: 0
    .sgpr_count:     4
    .sgpr_spill_count: 0
    .symbol:         _ZN7rocprim17ROCPRIM_400000_NS6detail17trampoline_kernelINS0_14default_configENS1_21merge_config_selectorIfNS0_10empty_typeEEEZNS1_10merge_implIS3_N6thrust23THRUST_200600_302600_NS6detail15normal_iteratorINS9_10device_ptrIKfEEEESF_NSB_INSC_IfEEEEPS5_SI_SI_NS9_4lessIfEEEE10hipError_tPvRmT0_T1_T2_T3_T4_T5_mmT6_P12ihipStream_tbEUlT_E0_NS1_11comp_targetILNS1_3genE3ELNS1_11target_archE908ELNS1_3gpuE7ELNS1_3repE0EEENS1_30default_config_static_selectorELNS0_4arch9wavefront6targetE1EEEvSP_.kd
    .uniform_work_group_size: 1
    .uses_dynamic_stack: false
    .vgpr_count:     0
    .vgpr_spill_count: 0
    .wavefront_size: 64
  - .agpr_count:     0
    .args:
      - .offset:         0
        .size:           88
        .value_kind:     by_value
    .group_segment_fixed_size: 0
    .kernarg_segment_align: 8
    .kernarg_segment_size: 88
    .language:       OpenCL C
    .language_version:
      - 2
      - 0
    .max_flat_workgroup_size: 256
    .name:           _ZN7rocprim17ROCPRIM_400000_NS6detail17trampoline_kernelINS0_14default_configENS1_21merge_config_selectorIfNS0_10empty_typeEEEZNS1_10merge_implIS3_N6thrust23THRUST_200600_302600_NS6detail15normal_iteratorINS9_10device_ptrIKfEEEESF_NSB_INSC_IfEEEEPS5_SI_SI_NS9_4lessIfEEEE10hipError_tPvRmT0_T1_T2_T3_T4_T5_mmT6_P12ihipStream_tbEUlT_E0_NS1_11comp_targetILNS1_3genE2ELNS1_11target_archE906ELNS1_3gpuE6ELNS1_3repE0EEENS1_30default_config_static_selectorELNS0_4arch9wavefront6targetE1EEEvSP_
    .private_segment_fixed_size: 0
    .sgpr_count:     4
    .sgpr_spill_count: 0
    .symbol:         _ZN7rocprim17ROCPRIM_400000_NS6detail17trampoline_kernelINS0_14default_configENS1_21merge_config_selectorIfNS0_10empty_typeEEEZNS1_10merge_implIS3_N6thrust23THRUST_200600_302600_NS6detail15normal_iteratorINS9_10device_ptrIKfEEEESF_NSB_INSC_IfEEEEPS5_SI_SI_NS9_4lessIfEEEE10hipError_tPvRmT0_T1_T2_T3_T4_T5_mmT6_P12ihipStream_tbEUlT_E0_NS1_11comp_targetILNS1_3genE2ELNS1_11target_archE906ELNS1_3gpuE6ELNS1_3repE0EEENS1_30default_config_static_selectorELNS0_4arch9wavefront6targetE1EEEvSP_.kd
    .uniform_work_group_size: 1
    .uses_dynamic_stack: false
    .vgpr_count:     0
    .vgpr_spill_count: 0
    .wavefront_size: 64
  - .agpr_count:     0
    .args:
      - .offset:         0
        .size:           88
        .value_kind:     by_value
    .group_segment_fixed_size: 0
    .kernarg_segment_align: 8
    .kernarg_segment_size: 88
    .language:       OpenCL C
    .language_version:
      - 2
      - 0
    .max_flat_workgroup_size: 1024
    .name:           _ZN7rocprim17ROCPRIM_400000_NS6detail17trampoline_kernelINS0_14default_configENS1_21merge_config_selectorIfNS0_10empty_typeEEEZNS1_10merge_implIS3_N6thrust23THRUST_200600_302600_NS6detail15normal_iteratorINS9_10device_ptrIKfEEEESF_NSB_INSC_IfEEEEPS5_SI_SI_NS9_4lessIfEEEE10hipError_tPvRmT0_T1_T2_T3_T4_T5_mmT6_P12ihipStream_tbEUlT_E0_NS1_11comp_targetILNS1_3genE10ELNS1_11target_archE1201ELNS1_3gpuE5ELNS1_3repE0EEENS1_30default_config_static_selectorELNS0_4arch9wavefront6targetE1EEEvSP_
    .private_segment_fixed_size: 0
    .sgpr_count:     4
    .sgpr_spill_count: 0
    .symbol:         _ZN7rocprim17ROCPRIM_400000_NS6detail17trampoline_kernelINS0_14default_configENS1_21merge_config_selectorIfNS0_10empty_typeEEEZNS1_10merge_implIS3_N6thrust23THRUST_200600_302600_NS6detail15normal_iteratorINS9_10device_ptrIKfEEEESF_NSB_INSC_IfEEEEPS5_SI_SI_NS9_4lessIfEEEE10hipError_tPvRmT0_T1_T2_T3_T4_T5_mmT6_P12ihipStream_tbEUlT_E0_NS1_11comp_targetILNS1_3genE10ELNS1_11target_archE1201ELNS1_3gpuE5ELNS1_3repE0EEENS1_30default_config_static_selectorELNS0_4arch9wavefront6targetE1EEEvSP_.kd
    .uniform_work_group_size: 1
    .uses_dynamic_stack: false
    .vgpr_count:     0
    .vgpr_spill_count: 0
    .wavefront_size: 64
  - .agpr_count:     0
    .args:
      - .offset:         0
        .size:           88
        .value_kind:     by_value
    .group_segment_fixed_size: 0
    .kernarg_segment_align: 8
    .kernarg_segment_size: 88
    .language:       OpenCL C
    .language_version:
      - 2
      - 0
    .max_flat_workgroup_size: 1024
    .name:           _ZN7rocprim17ROCPRIM_400000_NS6detail17trampoline_kernelINS0_14default_configENS1_21merge_config_selectorIfNS0_10empty_typeEEEZNS1_10merge_implIS3_N6thrust23THRUST_200600_302600_NS6detail15normal_iteratorINS9_10device_ptrIKfEEEESF_NSB_INSC_IfEEEEPS5_SI_SI_NS9_4lessIfEEEE10hipError_tPvRmT0_T1_T2_T3_T4_T5_mmT6_P12ihipStream_tbEUlT_E0_NS1_11comp_targetILNS1_3genE10ELNS1_11target_archE1200ELNS1_3gpuE4ELNS1_3repE0EEENS1_30default_config_static_selectorELNS0_4arch9wavefront6targetE1EEEvSP_
    .private_segment_fixed_size: 0
    .sgpr_count:     4
    .sgpr_spill_count: 0
    .symbol:         _ZN7rocprim17ROCPRIM_400000_NS6detail17trampoline_kernelINS0_14default_configENS1_21merge_config_selectorIfNS0_10empty_typeEEEZNS1_10merge_implIS3_N6thrust23THRUST_200600_302600_NS6detail15normal_iteratorINS9_10device_ptrIKfEEEESF_NSB_INSC_IfEEEEPS5_SI_SI_NS9_4lessIfEEEE10hipError_tPvRmT0_T1_T2_T3_T4_T5_mmT6_P12ihipStream_tbEUlT_E0_NS1_11comp_targetILNS1_3genE10ELNS1_11target_archE1200ELNS1_3gpuE4ELNS1_3repE0EEENS1_30default_config_static_selectorELNS0_4arch9wavefront6targetE1EEEvSP_.kd
    .uniform_work_group_size: 1
    .uses_dynamic_stack: false
    .vgpr_count:     0
    .vgpr_spill_count: 0
    .wavefront_size: 64
  - .agpr_count:     0
    .args:
      - .offset:         0
        .size:           88
        .value_kind:     by_value
    .group_segment_fixed_size: 0
    .kernarg_segment_align: 8
    .kernarg_segment_size: 88
    .language:       OpenCL C
    .language_version:
      - 2
      - 0
    .max_flat_workgroup_size: 1024
    .name:           _ZN7rocprim17ROCPRIM_400000_NS6detail17trampoline_kernelINS0_14default_configENS1_21merge_config_selectorIfNS0_10empty_typeEEEZNS1_10merge_implIS3_N6thrust23THRUST_200600_302600_NS6detail15normal_iteratorINS9_10device_ptrIKfEEEESF_NSB_INSC_IfEEEEPS5_SI_SI_NS9_4lessIfEEEE10hipError_tPvRmT0_T1_T2_T3_T4_T5_mmT6_P12ihipStream_tbEUlT_E0_NS1_11comp_targetILNS1_3genE9ELNS1_11target_archE1100ELNS1_3gpuE3ELNS1_3repE0EEENS1_30default_config_static_selectorELNS0_4arch9wavefront6targetE1EEEvSP_
    .private_segment_fixed_size: 0
    .sgpr_count:     4
    .sgpr_spill_count: 0
    .symbol:         _ZN7rocprim17ROCPRIM_400000_NS6detail17trampoline_kernelINS0_14default_configENS1_21merge_config_selectorIfNS0_10empty_typeEEEZNS1_10merge_implIS3_N6thrust23THRUST_200600_302600_NS6detail15normal_iteratorINS9_10device_ptrIKfEEEESF_NSB_INSC_IfEEEEPS5_SI_SI_NS9_4lessIfEEEE10hipError_tPvRmT0_T1_T2_T3_T4_T5_mmT6_P12ihipStream_tbEUlT_E0_NS1_11comp_targetILNS1_3genE9ELNS1_11target_archE1100ELNS1_3gpuE3ELNS1_3repE0EEENS1_30default_config_static_selectorELNS0_4arch9wavefront6targetE1EEEvSP_.kd
    .uniform_work_group_size: 1
    .uses_dynamic_stack: false
    .vgpr_count:     0
    .vgpr_spill_count: 0
    .wavefront_size: 64
  - .agpr_count:     0
    .args:
      - .offset:         0
        .size:           88
        .value_kind:     by_value
    .group_segment_fixed_size: 0
    .kernarg_segment_align: 8
    .kernarg_segment_size: 88
    .language:       OpenCL C
    .language_version:
      - 2
      - 0
    .max_flat_workgroup_size: 1024
    .name:           _ZN7rocprim17ROCPRIM_400000_NS6detail17trampoline_kernelINS0_14default_configENS1_21merge_config_selectorIfNS0_10empty_typeEEEZNS1_10merge_implIS3_N6thrust23THRUST_200600_302600_NS6detail15normal_iteratorINS9_10device_ptrIKfEEEESF_NSB_INSC_IfEEEEPS5_SI_SI_NS9_4lessIfEEEE10hipError_tPvRmT0_T1_T2_T3_T4_T5_mmT6_P12ihipStream_tbEUlT_E0_NS1_11comp_targetILNS1_3genE8ELNS1_11target_archE1030ELNS1_3gpuE2ELNS1_3repE0EEENS1_30default_config_static_selectorELNS0_4arch9wavefront6targetE1EEEvSP_
    .private_segment_fixed_size: 0
    .sgpr_count:     4
    .sgpr_spill_count: 0
    .symbol:         _ZN7rocprim17ROCPRIM_400000_NS6detail17trampoline_kernelINS0_14default_configENS1_21merge_config_selectorIfNS0_10empty_typeEEEZNS1_10merge_implIS3_N6thrust23THRUST_200600_302600_NS6detail15normal_iteratorINS9_10device_ptrIKfEEEESF_NSB_INSC_IfEEEEPS5_SI_SI_NS9_4lessIfEEEE10hipError_tPvRmT0_T1_T2_T3_T4_T5_mmT6_P12ihipStream_tbEUlT_E0_NS1_11comp_targetILNS1_3genE8ELNS1_11target_archE1030ELNS1_3gpuE2ELNS1_3repE0EEENS1_30default_config_static_selectorELNS0_4arch9wavefront6targetE1EEEvSP_.kd
    .uniform_work_group_size: 1
    .uses_dynamic_stack: false
    .vgpr_count:     0
    .vgpr_spill_count: 0
    .wavefront_size: 64
  - .agpr_count:     0
    .args:
      - .offset:         0
        .size:           104
        .value_kind:     by_value
    .group_segment_fixed_size: 0
    .kernarg_segment_align: 8
    .kernarg_segment_size: 104
    .language:       OpenCL C
    .language_version:
      - 2
      - 0
    .max_flat_workgroup_size: 128
    .name:           _ZN7rocprim17ROCPRIM_400000_NS6detail17trampoline_kernelINS0_14default_configENS1_22reduce_config_selectorIN6thrust23THRUST_200600_302600_NS5tupleIblNS6_9null_typeES8_S8_S8_S8_S8_S8_S8_EEEEZNS1_11reduce_implILb1ES3_NS6_12zip_iteratorINS7_INS6_11hip_rocprim26transform_input_iterator_tIbNSD_35transform_pair_of_input_iterators_tIbNS6_6detail15normal_iteratorINS6_10device_ptrIKfEEEESL_NS6_8equal_toIfEEEENSG_9not_fun_tINSD_8identityEEEEENSD_19counting_iterator_tIlEES8_S8_S8_S8_S8_S8_S8_S8_EEEEPS9_S9_NSD_9__find_if7functorIS9_EEEE10hipError_tPvRmT1_T2_T3_mT4_P12ihipStream_tbEUlT_E0_NS1_11comp_targetILNS1_3genE0ELNS1_11target_archE4294967295ELNS1_3gpuE0ELNS1_3repE0EEENS1_30default_config_static_selectorELNS0_4arch9wavefront6targetE1EEEvS14_
    .private_segment_fixed_size: 0
    .sgpr_count:     4
    .sgpr_spill_count: 0
    .symbol:         _ZN7rocprim17ROCPRIM_400000_NS6detail17trampoline_kernelINS0_14default_configENS1_22reduce_config_selectorIN6thrust23THRUST_200600_302600_NS5tupleIblNS6_9null_typeES8_S8_S8_S8_S8_S8_S8_EEEEZNS1_11reduce_implILb1ES3_NS6_12zip_iteratorINS7_INS6_11hip_rocprim26transform_input_iterator_tIbNSD_35transform_pair_of_input_iterators_tIbNS6_6detail15normal_iteratorINS6_10device_ptrIKfEEEESL_NS6_8equal_toIfEEEENSG_9not_fun_tINSD_8identityEEEEENSD_19counting_iterator_tIlEES8_S8_S8_S8_S8_S8_S8_S8_EEEEPS9_S9_NSD_9__find_if7functorIS9_EEEE10hipError_tPvRmT1_T2_T3_mT4_P12ihipStream_tbEUlT_E0_NS1_11comp_targetILNS1_3genE0ELNS1_11target_archE4294967295ELNS1_3gpuE0ELNS1_3repE0EEENS1_30default_config_static_selectorELNS0_4arch9wavefront6targetE1EEEvS14_.kd
    .uniform_work_group_size: 1
    .uses_dynamic_stack: false
    .vgpr_count:     0
    .vgpr_spill_count: 0
    .wavefront_size: 64
  - .agpr_count:     0
    .args:
      - .offset:         0
        .size:           104
        .value_kind:     by_value
    .group_segment_fixed_size: 0
    .kernarg_segment_align: 8
    .kernarg_segment_size: 104
    .language:       OpenCL C
    .language_version:
      - 2
      - 0
    .max_flat_workgroup_size: 256
    .name:           _ZN7rocprim17ROCPRIM_400000_NS6detail17trampoline_kernelINS0_14default_configENS1_22reduce_config_selectorIN6thrust23THRUST_200600_302600_NS5tupleIblNS6_9null_typeES8_S8_S8_S8_S8_S8_S8_EEEEZNS1_11reduce_implILb1ES3_NS6_12zip_iteratorINS7_INS6_11hip_rocprim26transform_input_iterator_tIbNSD_35transform_pair_of_input_iterators_tIbNS6_6detail15normal_iteratorINS6_10device_ptrIKfEEEESL_NS6_8equal_toIfEEEENSG_9not_fun_tINSD_8identityEEEEENSD_19counting_iterator_tIlEES8_S8_S8_S8_S8_S8_S8_S8_EEEEPS9_S9_NSD_9__find_if7functorIS9_EEEE10hipError_tPvRmT1_T2_T3_mT4_P12ihipStream_tbEUlT_E0_NS1_11comp_targetILNS1_3genE5ELNS1_11target_archE942ELNS1_3gpuE9ELNS1_3repE0EEENS1_30default_config_static_selectorELNS0_4arch9wavefront6targetE1EEEvS14_
    .private_segment_fixed_size: 0
    .sgpr_count:     4
    .sgpr_spill_count: 0
    .symbol:         _ZN7rocprim17ROCPRIM_400000_NS6detail17trampoline_kernelINS0_14default_configENS1_22reduce_config_selectorIN6thrust23THRUST_200600_302600_NS5tupleIblNS6_9null_typeES8_S8_S8_S8_S8_S8_S8_EEEEZNS1_11reduce_implILb1ES3_NS6_12zip_iteratorINS7_INS6_11hip_rocprim26transform_input_iterator_tIbNSD_35transform_pair_of_input_iterators_tIbNS6_6detail15normal_iteratorINS6_10device_ptrIKfEEEESL_NS6_8equal_toIfEEEENSG_9not_fun_tINSD_8identityEEEEENSD_19counting_iterator_tIlEES8_S8_S8_S8_S8_S8_S8_S8_EEEEPS9_S9_NSD_9__find_if7functorIS9_EEEE10hipError_tPvRmT1_T2_T3_mT4_P12ihipStream_tbEUlT_E0_NS1_11comp_targetILNS1_3genE5ELNS1_11target_archE942ELNS1_3gpuE9ELNS1_3repE0EEENS1_30default_config_static_selectorELNS0_4arch9wavefront6targetE1EEEvS14_.kd
    .uniform_work_group_size: 1
    .uses_dynamic_stack: false
    .vgpr_count:     0
    .vgpr_spill_count: 0
    .wavefront_size: 64
  - .agpr_count:     0
    .args:
      - .offset:         0
        .size:           104
        .value_kind:     by_value
    .group_segment_fixed_size: 128
    .kernarg_segment_align: 8
    .kernarg_segment_size: 104
    .language:       OpenCL C
    .language_version:
      - 2
      - 0
    .max_flat_workgroup_size: 256
    .name:           _ZN7rocprim17ROCPRIM_400000_NS6detail17trampoline_kernelINS0_14default_configENS1_22reduce_config_selectorIN6thrust23THRUST_200600_302600_NS5tupleIblNS6_9null_typeES8_S8_S8_S8_S8_S8_S8_EEEEZNS1_11reduce_implILb1ES3_NS6_12zip_iteratorINS7_INS6_11hip_rocprim26transform_input_iterator_tIbNSD_35transform_pair_of_input_iterators_tIbNS6_6detail15normal_iteratorINS6_10device_ptrIKfEEEESL_NS6_8equal_toIfEEEENSG_9not_fun_tINSD_8identityEEEEENSD_19counting_iterator_tIlEES8_S8_S8_S8_S8_S8_S8_S8_EEEEPS9_S9_NSD_9__find_if7functorIS9_EEEE10hipError_tPvRmT1_T2_T3_mT4_P12ihipStream_tbEUlT_E0_NS1_11comp_targetILNS1_3genE4ELNS1_11target_archE910ELNS1_3gpuE8ELNS1_3repE0EEENS1_30default_config_static_selectorELNS0_4arch9wavefront6targetE1EEEvS14_
    .private_segment_fixed_size: 0
    .sgpr_count:     32
    .sgpr_spill_count: 0
    .symbol:         _ZN7rocprim17ROCPRIM_400000_NS6detail17trampoline_kernelINS0_14default_configENS1_22reduce_config_selectorIN6thrust23THRUST_200600_302600_NS5tupleIblNS6_9null_typeES8_S8_S8_S8_S8_S8_S8_EEEEZNS1_11reduce_implILb1ES3_NS6_12zip_iteratorINS7_INS6_11hip_rocprim26transform_input_iterator_tIbNSD_35transform_pair_of_input_iterators_tIbNS6_6detail15normal_iteratorINS6_10device_ptrIKfEEEESL_NS6_8equal_toIfEEEENSG_9not_fun_tINSD_8identityEEEEENSD_19counting_iterator_tIlEES8_S8_S8_S8_S8_S8_S8_S8_EEEEPS9_S9_NSD_9__find_if7functorIS9_EEEE10hipError_tPvRmT1_T2_T3_mT4_P12ihipStream_tbEUlT_E0_NS1_11comp_targetILNS1_3genE4ELNS1_11target_archE910ELNS1_3gpuE8ELNS1_3repE0EEENS1_30default_config_static_selectorELNS0_4arch9wavefront6targetE1EEEvS14_.kd
    .uniform_work_group_size: 1
    .uses_dynamic_stack: false
    .vgpr_count:     12
    .vgpr_spill_count: 0
    .wavefront_size: 64
  - .agpr_count:     0
    .args:
      - .offset:         0
        .size:           104
        .value_kind:     by_value
    .group_segment_fixed_size: 0
    .kernarg_segment_align: 8
    .kernarg_segment_size: 104
    .language:       OpenCL C
    .language_version:
      - 2
      - 0
    .max_flat_workgroup_size: 128
    .name:           _ZN7rocprim17ROCPRIM_400000_NS6detail17trampoline_kernelINS0_14default_configENS1_22reduce_config_selectorIN6thrust23THRUST_200600_302600_NS5tupleIblNS6_9null_typeES8_S8_S8_S8_S8_S8_S8_EEEEZNS1_11reduce_implILb1ES3_NS6_12zip_iteratorINS7_INS6_11hip_rocprim26transform_input_iterator_tIbNSD_35transform_pair_of_input_iterators_tIbNS6_6detail15normal_iteratorINS6_10device_ptrIKfEEEESL_NS6_8equal_toIfEEEENSG_9not_fun_tINSD_8identityEEEEENSD_19counting_iterator_tIlEES8_S8_S8_S8_S8_S8_S8_S8_EEEEPS9_S9_NSD_9__find_if7functorIS9_EEEE10hipError_tPvRmT1_T2_T3_mT4_P12ihipStream_tbEUlT_E0_NS1_11comp_targetILNS1_3genE3ELNS1_11target_archE908ELNS1_3gpuE7ELNS1_3repE0EEENS1_30default_config_static_selectorELNS0_4arch9wavefront6targetE1EEEvS14_
    .private_segment_fixed_size: 0
    .sgpr_count:     4
    .sgpr_spill_count: 0
    .symbol:         _ZN7rocprim17ROCPRIM_400000_NS6detail17trampoline_kernelINS0_14default_configENS1_22reduce_config_selectorIN6thrust23THRUST_200600_302600_NS5tupleIblNS6_9null_typeES8_S8_S8_S8_S8_S8_S8_EEEEZNS1_11reduce_implILb1ES3_NS6_12zip_iteratorINS7_INS6_11hip_rocprim26transform_input_iterator_tIbNSD_35transform_pair_of_input_iterators_tIbNS6_6detail15normal_iteratorINS6_10device_ptrIKfEEEESL_NS6_8equal_toIfEEEENSG_9not_fun_tINSD_8identityEEEEENSD_19counting_iterator_tIlEES8_S8_S8_S8_S8_S8_S8_S8_EEEEPS9_S9_NSD_9__find_if7functorIS9_EEEE10hipError_tPvRmT1_T2_T3_mT4_P12ihipStream_tbEUlT_E0_NS1_11comp_targetILNS1_3genE3ELNS1_11target_archE908ELNS1_3gpuE7ELNS1_3repE0EEENS1_30default_config_static_selectorELNS0_4arch9wavefront6targetE1EEEvS14_.kd
    .uniform_work_group_size: 1
    .uses_dynamic_stack: false
    .vgpr_count:     0
    .vgpr_spill_count: 0
    .wavefront_size: 64
  - .agpr_count:     0
    .args:
      - .offset:         0
        .size:           104
        .value_kind:     by_value
    .group_segment_fixed_size: 0
    .kernarg_segment_align: 8
    .kernarg_segment_size: 104
    .language:       OpenCL C
    .language_version:
      - 2
      - 0
    .max_flat_workgroup_size: 128
    .name:           _ZN7rocprim17ROCPRIM_400000_NS6detail17trampoline_kernelINS0_14default_configENS1_22reduce_config_selectorIN6thrust23THRUST_200600_302600_NS5tupleIblNS6_9null_typeES8_S8_S8_S8_S8_S8_S8_EEEEZNS1_11reduce_implILb1ES3_NS6_12zip_iteratorINS7_INS6_11hip_rocprim26transform_input_iterator_tIbNSD_35transform_pair_of_input_iterators_tIbNS6_6detail15normal_iteratorINS6_10device_ptrIKfEEEESL_NS6_8equal_toIfEEEENSG_9not_fun_tINSD_8identityEEEEENSD_19counting_iterator_tIlEES8_S8_S8_S8_S8_S8_S8_S8_EEEEPS9_S9_NSD_9__find_if7functorIS9_EEEE10hipError_tPvRmT1_T2_T3_mT4_P12ihipStream_tbEUlT_E0_NS1_11comp_targetILNS1_3genE2ELNS1_11target_archE906ELNS1_3gpuE6ELNS1_3repE0EEENS1_30default_config_static_selectorELNS0_4arch9wavefront6targetE1EEEvS14_
    .private_segment_fixed_size: 0
    .sgpr_count:     4
    .sgpr_spill_count: 0
    .symbol:         _ZN7rocprim17ROCPRIM_400000_NS6detail17trampoline_kernelINS0_14default_configENS1_22reduce_config_selectorIN6thrust23THRUST_200600_302600_NS5tupleIblNS6_9null_typeES8_S8_S8_S8_S8_S8_S8_EEEEZNS1_11reduce_implILb1ES3_NS6_12zip_iteratorINS7_INS6_11hip_rocprim26transform_input_iterator_tIbNSD_35transform_pair_of_input_iterators_tIbNS6_6detail15normal_iteratorINS6_10device_ptrIKfEEEESL_NS6_8equal_toIfEEEENSG_9not_fun_tINSD_8identityEEEEENSD_19counting_iterator_tIlEES8_S8_S8_S8_S8_S8_S8_S8_EEEEPS9_S9_NSD_9__find_if7functorIS9_EEEE10hipError_tPvRmT1_T2_T3_mT4_P12ihipStream_tbEUlT_E0_NS1_11comp_targetILNS1_3genE2ELNS1_11target_archE906ELNS1_3gpuE6ELNS1_3repE0EEENS1_30default_config_static_selectorELNS0_4arch9wavefront6targetE1EEEvS14_.kd
    .uniform_work_group_size: 1
    .uses_dynamic_stack: false
    .vgpr_count:     0
    .vgpr_spill_count: 0
    .wavefront_size: 64
  - .agpr_count:     0
    .args:
      - .offset:         0
        .size:           104
        .value_kind:     by_value
    .group_segment_fixed_size: 0
    .kernarg_segment_align: 8
    .kernarg_segment_size: 104
    .language:       OpenCL C
    .language_version:
      - 2
      - 0
    .max_flat_workgroup_size: 256
    .name:           _ZN7rocprim17ROCPRIM_400000_NS6detail17trampoline_kernelINS0_14default_configENS1_22reduce_config_selectorIN6thrust23THRUST_200600_302600_NS5tupleIblNS6_9null_typeES8_S8_S8_S8_S8_S8_S8_EEEEZNS1_11reduce_implILb1ES3_NS6_12zip_iteratorINS7_INS6_11hip_rocprim26transform_input_iterator_tIbNSD_35transform_pair_of_input_iterators_tIbNS6_6detail15normal_iteratorINS6_10device_ptrIKfEEEESL_NS6_8equal_toIfEEEENSG_9not_fun_tINSD_8identityEEEEENSD_19counting_iterator_tIlEES8_S8_S8_S8_S8_S8_S8_S8_EEEEPS9_S9_NSD_9__find_if7functorIS9_EEEE10hipError_tPvRmT1_T2_T3_mT4_P12ihipStream_tbEUlT_E0_NS1_11comp_targetILNS1_3genE10ELNS1_11target_archE1201ELNS1_3gpuE5ELNS1_3repE0EEENS1_30default_config_static_selectorELNS0_4arch9wavefront6targetE1EEEvS14_
    .private_segment_fixed_size: 0
    .sgpr_count:     4
    .sgpr_spill_count: 0
    .symbol:         _ZN7rocprim17ROCPRIM_400000_NS6detail17trampoline_kernelINS0_14default_configENS1_22reduce_config_selectorIN6thrust23THRUST_200600_302600_NS5tupleIblNS6_9null_typeES8_S8_S8_S8_S8_S8_S8_EEEEZNS1_11reduce_implILb1ES3_NS6_12zip_iteratorINS7_INS6_11hip_rocprim26transform_input_iterator_tIbNSD_35transform_pair_of_input_iterators_tIbNS6_6detail15normal_iteratorINS6_10device_ptrIKfEEEESL_NS6_8equal_toIfEEEENSG_9not_fun_tINSD_8identityEEEEENSD_19counting_iterator_tIlEES8_S8_S8_S8_S8_S8_S8_S8_EEEEPS9_S9_NSD_9__find_if7functorIS9_EEEE10hipError_tPvRmT1_T2_T3_mT4_P12ihipStream_tbEUlT_E0_NS1_11comp_targetILNS1_3genE10ELNS1_11target_archE1201ELNS1_3gpuE5ELNS1_3repE0EEENS1_30default_config_static_selectorELNS0_4arch9wavefront6targetE1EEEvS14_.kd
    .uniform_work_group_size: 1
    .uses_dynamic_stack: false
    .vgpr_count:     0
    .vgpr_spill_count: 0
    .wavefront_size: 64
  - .agpr_count:     0
    .args:
      - .offset:         0
        .size:           104
        .value_kind:     by_value
    .group_segment_fixed_size: 0
    .kernarg_segment_align: 8
    .kernarg_segment_size: 104
    .language:       OpenCL C
    .language_version:
      - 2
      - 0
    .max_flat_workgroup_size: 256
    .name:           _ZN7rocprim17ROCPRIM_400000_NS6detail17trampoline_kernelINS0_14default_configENS1_22reduce_config_selectorIN6thrust23THRUST_200600_302600_NS5tupleIblNS6_9null_typeES8_S8_S8_S8_S8_S8_S8_EEEEZNS1_11reduce_implILb1ES3_NS6_12zip_iteratorINS7_INS6_11hip_rocprim26transform_input_iterator_tIbNSD_35transform_pair_of_input_iterators_tIbNS6_6detail15normal_iteratorINS6_10device_ptrIKfEEEESL_NS6_8equal_toIfEEEENSG_9not_fun_tINSD_8identityEEEEENSD_19counting_iterator_tIlEES8_S8_S8_S8_S8_S8_S8_S8_EEEEPS9_S9_NSD_9__find_if7functorIS9_EEEE10hipError_tPvRmT1_T2_T3_mT4_P12ihipStream_tbEUlT_E0_NS1_11comp_targetILNS1_3genE10ELNS1_11target_archE1200ELNS1_3gpuE4ELNS1_3repE0EEENS1_30default_config_static_selectorELNS0_4arch9wavefront6targetE1EEEvS14_
    .private_segment_fixed_size: 0
    .sgpr_count:     4
    .sgpr_spill_count: 0
    .symbol:         _ZN7rocprim17ROCPRIM_400000_NS6detail17trampoline_kernelINS0_14default_configENS1_22reduce_config_selectorIN6thrust23THRUST_200600_302600_NS5tupleIblNS6_9null_typeES8_S8_S8_S8_S8_S8_S8_EEEEZNS1_11reduce_implILb1ES3_NS6_12zip_iteratorINS7_INS6_11hip_rocprim26transform_input_iterator_tIbNSD_35transform_pair_of_input_iterators_tIbNS6_6detail15normal_iteratorINS6_10device_ptrIKfEEEESL_NS6_8equal_toIfEEEENSG_9not_fun_tINSD_8identityEEEEENSD_19counting_iterator_tIlEES8_S8_S8_S8_S8_S8_S8_S8_EEEEPS9_S9_NSD_9__find_if7functorIS9_EEEE10hipError_tPvRmT1_T2_T3_mT4_P12ihipStream_tbEUlT_E0_NS1_11comp_targetILNS1_3genE10ELNS1_11target_archE1200ELNS1_3gpuE4ELNS1_3repE0EEENS1_30default_config_static_selectorELNS0_4arch9wavefront6targetE1EEEvS14_.kd
    .uniform_work_group_size: 1
    .uses_dynamic_stack: false
    .vgpr_count:     0
    .vgpr_spill_count: 0
    .wavefront_size: 64
  - .agpr_count:     0
    .args:
      - .offset:         0
        .size:           104
        .value_kind:     by_value
    .group_segment_fixed_size: 0
    .kernarg_segment_align: 8
    .kernarg_segment_size: 104
    .language:       OpenCL C
    .language_version:
      - 2
      - 0
    .max_flat_workgroup_size: 256
    .name:           _ZN7rocprim17ROCPRIM_400000_NS6detail17trampoline_kernelINS0_14default_configENS1_22reduce_config_selectorIN6thrust23THRUST_200600_302600_NS5tupleIblNS6_9null_typeES8_S8_S8_S8_S8_S8_S8_EEEEZNS1_11reduce_implILb1ES3_NS6_12zip_iteratorINS7_INS6_11hip_rocprim26transform_input_iterator_tIbNSD_35transform_pair_of_input_iterators_tIbNS6_6detail15normal_iteratorINS6_10device_ptrIKfEEEESL_NS6_8equal_toIfEEEENSG_9not_fun_tINSD_8identityEEEEENSD_19counting_iterator_tIlEES8_S8_S8_S8_S8_S8_S8_S8_EEEEPS9_S9_NSD_9__find_if7functorIS9_EEEE10hipError_tPvRmT1_T2_T3_mT4_P12ihipStream_tbEUlT_E0_NS1_11comp_targetILNS1_3genE9ELNS1_11target_archE1100ELNS1_3gpuE3ELNS1_3repE0EEENS1_30default_config_static_selectorELNS0_4arch9wavefront6targetE1EEEvS14_
    .private_segment_fixed_size: 0
    .sgpr_count:     4
    .sgpr_spill_count: 0
    .symbol:         _ZN7rocprim17ROCPRIM_400000_NS6detail17trampoline_kernelINS0_14default_configENS1_22reduce_config_selectorIN6thrust23THRUST_200600_302600_NS5tupleIblNS6_9null_typeES8_S8_S8_S8_S8_S8_S8_EEEEZNS1_11reduce_implILb1ES3_NS6_12zip_iteratorINS7_INS6_11hip_rocprim26transform_input_iterator_tIbNSD_35transform_pair_of_input_iterators_tIbNS6_6detail15normal_iteratorINS6_10device_ptrIKfEEEESL_NS6_8equal_toIfEEEENSG_9not_fun_tINSD_8identityEEEEENSD_19counting_iterator_tIlEES8_S8_S8_S8_S8_S8_S8_S8_EEEEPS9_S9_NSD_9__find_if7functorIS9_EEEE10hipError_tPvRmT1_T2_T3_mT4_P12ihipStream_tbEUlT_E0_NS1_11comp_targetILNS1_3genE9ELNS1_11target_archE1100ELNS1_3gpuE3ELNS1_3repE0EEENS1_30default_config_static_selectorELNS0_4arch9wavefront6targetE1EEEvS14_.kd
    .uniform_work_group_size: 1
    .uses_dynamic_stack: false
    .vgpr_count:     0
    .vgpr_spill_count: 0
    .wavefront_size: 64
  - .agpr_count:     0
    .args:
      - .offset:         0
        .size:           104
        .value_kind:     by_value
    .group_segment_fixed_size: 0
    .kernarg_segment_align: 8
    .kernarg_segment_size: 104
    .language:       OpenCL C
    .language_version:
      - 2
      - 0
    .max_flat_workgroup_size: 256
    .name:           _ZN7rocprim17ROCPRIM_400000_NS6detail17trampoline_kernelINS0_14default_configENS1_22reduce_config_selectorIN6thrust23THRUST_200600_302600_NS5tupleIblNS6_9null_typeES8_S8_S8_S8_S8_S8_S8_EEEEZNS1_11reduce_implILb1ES3_NS6_12zip_iteratorINS7_INS6_11hip_rocprim26transform_input_iterator_tIbNSD_35transform_pair_of_input_iterators_tIbNS6_6detail15normal_iteratorINS6_10device_ptrIKfEEEESL_NS6_8equal_toIfEEEENSG_9not_fun_tINSD_8identityEEEEENSD_19counting_iterator_tIlEES8_S8_S8_S8_S8_S8_S8_S8_EEEEPS9_S9_NSD_9__find_if7functorIS9_EEEE10hipError_tPvRmT1_T2_T3_mT4_P12ihipStream_tbEUlT_E0_NS1_11comp_targetILNS1_3genE8ELNS1_11target_archE1030ELNS1_3gpuE2ELNS1_3repE0EEENS1_30default_config_static_selectorELNS0_4arch9wavefront6targetE1EEEvS14_
    .private_segment_fixed_size: 0
    .sgpr_count:     4
    .sgpr_spill_count: 0
    .symbol:         _ZN7rocprim17ROCPRIM_400000_NS6detail17trampoline_kernelINS0_14default_configENS1_22reduce_config_selectorIN6thrust23THRUST_200600_302600_NS5tupleIblNS6_9null_typeES8_S8_S8_S8_S8_S8_S8_EEEEZNS1_11reduce_implILb1ES3_NS6_12zip_iteratorINS7_INS6_11hip_rocprim26transform_input_iterator_tIbNSD_35transform_pair_of_input_iterators_tIbNS6_6detail15normal_iteratorINS6_10device_ptrIKfEEEESL_NS6_8equal_toIfEEEENSG_9not_fun_tINSD_8identityEEEEENSD_19counting_iterator_tIlEES8_S8_S8_S8_S8_S8_S8_S8_EEEEPS9_S9_NSD_9__find_if7functorIS9_EEEE10hipError_tPvRmT1_T2_T3_mT4_P12ihipStream_tbEUlT_E0_NS1_11comp_targetILNS1_3genE8ELNS1_11target_archE1030ELNS1_3gpuE2ELNS1_3repE0EEENS1_30default_config_static_selectorELNS0_4arch9wavefront6targetE1EEEvS14_.kd
    .uniform_work_group_size: 1
    .uses_dynamic_stack: false
    .vgpr_count:     0
    .vgpr_spill_count: 0
    .wavefront_size: 64
  - .agpr_count:     0
    .args:
      - .offset:         0
        .size:           88
        .value_kind:     by_value
    .group_segment_fixed_size: 0
    .kernarg_segment_align: 8
    .kernarg_segment_size: 88
    .language:       OpenCL C
    .language_version:
      - 2
      - 0
    .max_flat_workgroup_size: 128
    .name:           _ZN7rocprim17ROCPRIM_400000_NS6detail17trampoline_kernelINS0_14default_configENS1_22reduce_config_selectorIN6thrust23THRUST_200600_302600_NS5tupleIblNS6_9null_typeES8_S8_S8_S8_S8_S8_S8_EEEEZNS1_11reduce_implILb1ES3_NS6_12zip_iteratorINS7_INS6_11hip_rocprim26transform_input_iterator_tIbNSD_35transform_pair_of_input_iterators_tIbNS6_6detail15normal_iteratorINS6_10device_ptrIKfEEEESL_NS6_8equal_toIfEEEENSG_9not_fun_tINSD_8identityEEEEENSD_19counting_iterator_tIlEES8_S8_S8_S8_S8_S8_S8_S8_EEEEPS9_S9_NSD_9__find_if7functorIS9_EEEE10hipError_tPvRmT1_T2_T3_mT4_P12ihipStream_tbEUlT_E1_NS1_11comp_targetILNS1_3genE0ELNS1_11target_archE4294967295ELNS1_3gpuE0ELNS1_3repE0EEENS1_30default_config_static_selectorELNS0_4arch9wavefront6targetE1EEEvS14_
    .private_segment_fixed_size: 0
    .sgpr_count:     4
    .sgpr_spill_count: 0
    .symbol:         _ZN7rocprim17ROCPRIM_400000_NS6detail17trampoline_kernelINS0_14default_configENS1_22reduce_config_selectorIN6thrust23THRUST_200600_302600_NS5tupleIblNS6_9null_typeES8_S8_S8_S8_S8_S8_S8_EEEEZNS1_11reduce_implILb1ES3_NS6_12zip_iteratorINS7_INS6_11hip_rocprim26transform_input_iterator_tIbNSD_35transform_pair_of_input_iterators_tIbNS6_6detail15normal_iteratorINS6_10device_ptrIKfEEEESL_NS6_8equal_toIfEEEENSG_9not_fun_tINSD_8identityEEEEENSD_19counting_iterator_tIlEES8_S8_S8_S8_S8_S8_S8_S8_EEEEPS9_S9_NSD_9__find_if7functorIS9_EEEE10hipError_tPvRmT1_T2_T3_mT4_P12ihipStream_tbEUlT_E1_NS1_11comp_targetILNS1_3genE0ELNS1_11target_archE4294967295ELNS1_3gpuE0ELNS1_3repE0EEENS1_30default_config_static_selectorELNS0_4arch9wavefront6targetE1EEEvS14_.kd
    .uniform_work_group_size: 1
    .uses_dynamic_stack: false
    .vgpr_count:     0
    .vgpr_spill_count: 0
    .wavefront_size: 64
  - .agpr_count:     0
    .args:
      - .offset:         0
        .size:           88
        .value_kind:     by_value
    .group_segment_fixed_size: 0
    .kernarg_segment_align: 8
    .kernarg_segment_size: 88
    .language:       OpenCL C
    .language_version:
      - 2
      - 0
    .max_flat_workgroup_size: 256
    .name:           _ZN7rocprim17ROCPRIM_400000_NS6detail17trampoline_kernelINS0_14default_configENS1_22reduce_config_selectorIN6thrust23THRUST_200600_302600_NS5tupleIblNS6_9null_typeES8_S8_S8_S8_S8_S8_S8_EEEEZNS1_11reduce_implILb1ES3_NS6_12zip_iteratorINS7_INS6_11hip_rocprim26transform_input_iterator_tIbNSD_35transform_pair_of_input_iterators_tIbNS6_6detail15normal_iteratorINS6_10device_ptrIKfEEEESL_NS6_8equal_toIfEEEENSG_9not_fun_tINSD_8identityEEEEENSD_19counting_iterator_tIlEES8_S8_S8_S8_S8_S8_S8_S8_EEEEPS9_S9_NSD_9__find_if7functorIS9_EEEE10hipError_tPvRmT1_T2_T3_mT4_P12ihipStream_tbEUlT_E1_NS1_11comp_targetILNS1_3genE5ELNS1_11target_archE942ELNS1_3gpuE9ELNS1_3repE0EEENS1_30default_config_static_selectorELNS0_4arch9wavefront6targetE1EEEvS14_
    .private_segment_fixed_size: 0
    .sgpr_count:     4
    .sgpr_spill_count: 0
    .symbol:         _ZN7rocprim17ROCPRIM_400000_NS6detail17trampoline_kernelINS0_14default_configENS1_22reduce_config_selectorIN6thrust23THRUST_200600_302600_NS5tupleIblNS6_9null_typeES8_S8_S8_S8_S8_S8_S8_EEEEZNS1_11reduce_implILb1ES3_NS6_12zip_iteratorINS7_INS6_11hip_rocprim26transform_input_iterator_tIbNSD_35transform_pair_of_input_iterators_tIbNS6_6detail15normal_iteratorINS6_10device_ptrIKfEEEESL_NS6_8equal_toIfEEEENSG_9not_fun_tINSD_8identityEEEEENSD_19counting_iterator_tIlEES8_S8_S8_S8_S8_S8_S8_S8_EEEEPS9_S9_NSD_9__find_if7functorIS9_EEEE10hipError_tPvRmT1_T2_T3_mT4_P12ihipStream_tbEUlT_E1_NS1_11comp_targetILNS1_3genE5ELNS1_11target_archE942ELNS1_3gpuE9ELNS1_3repE0EEENS1_30default_config_static_selectorELNS0_4arch9wavefront6targetE1EEEvS14_.kd
    .uniform_work_group_size: 1
    .uses_dynamic_stack: false
    .vgpr_count:     0
    .vgpr_spill_count: 0
    .wavefront_size: 64
  - .agpr_count:     0
    .args:
      - .offset:         0
        .size:           88
        .value_kind:     by_value
    .group_segment_fixed_size: 320
    .kernarg_segment_align: 8
    .kernarg_segment_size: 88
    .language:       OpenCL C
    .language_version:
      - 2
      - 0
    .max_flat_workgroup_size: 256
    .name:           _ZN7rocprim17ROCPRIM_400000_NS6detail17trampoline_kernelINS0_14default_configENS1_22reduce_config_selectorIN6thrust23THRUST_200600_302600_NS5tupleIblNS6_9null_typeES8_S8_S8_S8_S8_S8_S8_EEEEZNS1_11reduce_implILb1ES3_NS6_12zip_iteratorINS7_INS6_11hip_rocprim26transform_input_iterator_tIbNSD_35transform_pair_of_input_iterators_tIbNS6_6detail15normal_iteratorINS6_10device_ptrIKfEEEESL_NS6_8equal_toIfEEEENSG_9not_fun_tINSD_8identityEEEEENSD_19counting_iterator_tIlEES8_S8_S8_S8_S8_S8_S8_S8_EEEEPS9_S9_NSD_9__find_if7functorIS9_EEEE10hipError_tPvRmT1_T2_T3_mT4_P12ihipStream_tbEUlT_E1_NS1_11comp_targetILNS1_3genE4ELNS1_11target_archE910ELNS1_3gpuE8ELNS1_3repE0EEENS1_30default_config_static_selectorELNS0_4arch9wavefront6targetE1EEEvS14_
    .private_segment_fixed_size: 0
    .sgpr_count:     44
    .sgpr_spill_count: 0
    .symbol:         _ZN7rocprim17ROCPRIM_400000_NS6detail17trampoline_kernelINS0_14default_configENS1_22reduce_config_selectorIN6thrust23THRUST_200600_302600_NS5tupleIblNS6_9null_typeES8_S8_S8_S8_S8_S8_S8_EEEEZNS1_11reduce_implILb1ES3_NS6_12zip_iteratorINS7_INS6_11hip_rocprim26transform_input_iterator_tIbNSD_35transform_pair_of_input_iterators_tIbNS6_6detail15normal_iteratorINS6_10device_ptrIKfEEEESL_NS6_8equal_toIfEEEENSG_9not_fun_tINSD_8identityEEEEENSD_19counting_iterator_tIlEES8_S8_S8_S8_S8_S8_S8_S8_EEEEPS9_S9_NSD_9__find_if7functorIS9_EEEE10hipError_tPvRmT1_T2_T3_mT4_P12ihipStream_tbEUlT_E1_NS1_11comp_targetILNS1_3genE4ELNS1_11target_archE910ELNS1_3gpuE8ELNS1_3repE0EEENS1_30default_config_static_selectorELNS0_4arch9wavefront6targetE1EEEvS14_.kd
    .uniform_work_group_size: 1
    .uses_dynamic_stack: false
    .vgpr_count:     27
    .vgpr_spill_count: 0
    .wavefront_size: 64
  - .agpr_count:     0
    .args:
      - .offset:         0
        .size:           88
        .value_kind:     by_value
    .group_segment_fixed_size: 0
    .kernarg_segment_align: 8
    .kernarg_segment_size: 88
    .language:       OpenCL C
    .language_version:
      - 2
      - 0
    .max_flat_workgroup_size: 128
    .name:           _ZN7rocprim17ROCPRIM_400000_NS6detail17trampoline_kernelINS0_14default_configENS1_22reduce_config_selectorIN6thrust23THRUST_200600_302600_NS5tupleIblNS6_9null_typeES8_S8_S8_S8_S8_S8_S8_EEEEZNS1_11reduce_implILb1ES3_NS6_12zip_iteratorINS7_INS6_11hip_rocprim26transform_input_iterator_tIbNSD_35transform_pair_of_input_iterators_tIbNS6_6detail15normal_iteratorINS6_10device_ptrIKfEEEESL_NS6_8equal_toIfEEEENSG_9not_fun_tINSD_8identityEEEEENSD_19counting_iterator_tIlEES8_S8_S8_S8_S8_S8_S8_S8_EEEEPS9_S9_NSD_9__find_if7functorIS9_EEEE10hipError_tPvRmT1_T2_T3_mT4_P12ihipStream_tbEUlT_E1_NS1_11comp_targetILNS1_3genE3ELNS1_11target_archE908ELNS1_3gpuE7ELNS1_3repE0EEENS1_30default_config_static_selectorELNS0_4arch9wavefront6targetE1EEEvS14_
    .private_segment_fixed_size: 0
    .sgpr_count:     4
    .sgpr_spill_count: 0
    .symbol:         _ZN7rocprim17ROCPRIM_400000_NS6detail17trampoline_kernelINS0_14default_configENS1_22reduce_config_selectorIN6thrust23THRUST_200600_302600_NS5tupleIblNS6_9null_typeES8_S8_S8_S8_S8_S8_S8_EEEEZNS1_11reduce_implILb1ES3_NS6_12zip_iteratorINS7_INS6_11hip_rocprim26transform_input_iterator_tIbNSD_35transform_pair_of_input_iterators_tIbNS6_6detail15normal_iteratorINS6_10device_ptrIKfEEEESL_NS6_8equal_toIfEEEENSG_9not_fun_tINSD_8identityEEEEENSD_19counting_iterator_tIlEES8_S8_S8_S8_S8_S8_S8_S8_EEEEPS9_S9_NSD_9__find_if7functorIS9_EEEE10hipError_tPvRmT1_T2_T3_mT4_P12ihipStream_tbEUlT_E1_NS1_11comp_targetILNS1_3genE3ELNS1_11target_archE908ELNS1_3gpuE7ELNS1_3repE0EEENS1_30default_config_static_selectorELNS0_4arch9wavefront6targetE1EEEvS14_.kd
    .uniform_work_group_size: 1
    .uses_dynamic_stack: false
    .vgpr_count:     0
    .vgpr_spill_count: 0
    .wavefront_size: 64
  - .agpr_count:     0
    .args:
      - .offset:         0
        .size:           88
        .value_kind:     by_value
    .group_segment_fixed_size: 0
    .kernarg_segment_align: 8
    .kernarg_segment_size: 88
    .language:       OpenCL C
    .language_version:
      - 2
      - 0
    .max_flat_workgroup_size: 128
    .name:           _ZN7rocprim17ROCPRIM_400000_NS6detail17trampoline_kernelINS0_14default_configENS1_22reduce_config_selectorIN6thrust23THRUST_200600_302600_NS5tupleIblNS6_9null_typeES8_S8_S8_S8_S8_S8_S8_EEEEZNS1_11reduce_implILb1ES3_NS6_12zip_iteratorINS7_INS6_11hip_rocprim26transform_input_iterator_tIbNSD_35transform_pair_of_input_iterators_tIbNS6_6detail15normal_iteratorINS6_10device_ptrIKfEEEESL_NS6_8equal_toIfEEEENSG_9not_fun_tINSD_8identityEEEEENSD_19counting_iterator_tIlEES8_S8_S8_S8_S8_S8_S8_S8_EEEEPS9_S9_NSD_9__find_if7functorIS9_EEEE10hipError_tPvRmT1_T2_T3_mT4_P12ihipStream_tbEUlT_E1_NS1_11comp_targetILNS1_3genE2ELNS1_11target_archE906ELNS1_3gpuE6ELNS1_3repE0EEENS1_30default_config_static_selectorELNS0_4arch9wavefront6targetE1EEEvS14_
    .private_segment_fixed_size: 0
    .sgpr_count:     4
    .sgpr_spill_count: 0
    .symbol:         _ZN7rocprim17ROCPRIM_400000_NS6detail17trampoline_kernelINS0_14default_configENS1_22reduce_config_selectorIN6thrust23THRUST_200600_302600_NS5tupleIblNS6_9null_typeES8_S8_S8_S8_S8_S8_S8_EEEEZNS1_11reduce_implILb1ES3_NS6_12zip_iteratorINS7_INS6_11hip_rocprim26transform_input_iterator_tIbNSD_35transform_pair_of_input_iterators_tIbNS6_6detail15normal_iteratorINS6_10device_ptrIKfEEEESL_NS6_8equal_toIfEEEENSG_9not_fun_tINSD_8identityEEEEENSD_19counting_iterator_tIlEES8_S8_S8_S8_S8_S8_S8_S8_EEEEPS9_S9_NSD_9__find_if7functorIS9_EEEE10hipError_tPvRmT1_T2_T3_mT4_P12ihipStream_tbEUlT_E1_NS1_11comp_targetILNS1_3genE2ELNS1_11target_archE906ELNS1_3gpuE6ELNS1_3repE0EEENS1_30default_config_static_selectorELNS0_4arch9wavefront6targetE1EEEvS14_.kd
    .uniform_work_group_size: 1
    .uses_dynamic_stack: false
    .vgpr_count:     0
    .vgpr_spill_count: 0
    .wavefront_size: 64
  - .agpr_count:     0
    .args:
      - .offset:         0
        .size:           88
        .value_kind:     by_value
    .group_segment_fixed_size: 0
    .kernarg_segment_align: 8
    .kernarg_segment_size: 88
    .language:       OpenCL C
    .language_version:
      - 2
      - 0
    .max_flat_workgroup_size: 256
    .name:           _ZN7rocprim17ROCPRIM_400000_NS6detail17trampoline_kernelINS0_14default_configENS1_22reduce_config_selectorIN6thrust23THRUST_200600_302600_NS5tupleIblNS6_9null_typeES8_S8_S8_S8_S8_S8_S8_EEEEZNS1_11reduce_implILb1ES3_NS6_12zip_iteratorINS7_INS6_11hip_rocprim26transform_input_iterator_tIbNSD_35transform_pair_of_input_iterators_tIbNS6_6detail15normal_iteratorINS6_10device_ptrIKfEEEESL_NS6_8equal_toIfEEEENSG_9not_fun_tINSD_8identityEEEEENSD_19counting_iterator_tIlEES8_S8_S8_S8_S8_S8_S8_S8_EEEEPS9_S9_NSD_9__find_if7functorIS9_EEEE10hipError_tPvRmT1_T2_T3_mT4_P12ihipStream_tbEUlT_E1_NS1_11comp_targetILNS1_3genE10ELNS1_11target_archE1201ELNS1_3gpuE5ELNS1_3repE0EEENS1_30default_config_static_selectorELNS0_4arch9wavefront6targetE1EEEvS14_
    .private_segment_fixed_size: 0
    .sgpr_count:     4
    .sgpr_spill_count: 0
    .symbol:         _ZN7rocprim17ROCPRIM_400000_NS6detail17trampoline_kernelINS0_14default_configENS1_22reduce_config_selectorIN6thrust23THRUST_200600_302600_NS5tupleIblNS6_9null_typeES8_S8_S8_S8_S8_S8_S8_EEEEZNS1_11reduce_implILb1ES3_NS6_12zip_iteratorINS7_INS6_11hip_rocprim26transform_input_iterator_tIbNSD_35transform_pair_of_input_iterators_tIbNS6_6detail15normal_iteratorINS6_10device_ptrIKfEEEESL_NS6_8equal_toIfEEEENSG_9not_fun_tINSD_8identityEEEEENSD_19counting_iterator_tIlEES8_S8_S8_S8_S8_S8_S8_S8_EEEEPS9_S9_NSD_9__find_if7functorIS9_EEEE10hipError_tPvRmT1_T2_T3_mT4_P12ihipStream_tbEUlT_E1_NS1_11comp_targetILNS1_3genE10ELNS1_11target_archE1201ELNS1_3gpuE5ELNS1_3repE0EEENS1_30default_config_static_selectorELNS0_4arch9wavefront6targetE1EEEvS14_.kd
    .uniform_work_group_size: 1
    .uses_dynamic_stack: false
    .vgpr_count:     0
    .vgpr_spill_count: 0
    .wavefront_size: 64
  - .agpr_count:     0
    .args:
      - .offset:         0
        .size:           88
        .value_kind:     by_value
    .group_segment_fixed_size: 0
    .kernarg_segment_align: 8
    .kernarg_segment_size: 88
    .language:       OpenCL C
    .language_version:
      - 2
      - 0
    .max_flat_workgroup_size: 256
    .name:           _ZN7rocprim17ROCPRIM_400000_NS6detail17trampoline_kernelINS0_14default_configENS1_22reduce_config_selectorIN6thrust23THRUST_200600_302600_NS5tupleIblNS6_9null_typeES8_S8_S8_S8_S8_S8_S8_EEEEZNS1_11reduce_implILb1ES3_NS6_12zip_iteratorINS7_INS6_11hip_rocprim26transform_input_iterator_tIbNSD_35transform_pair_of_input_iterators_tIbNS6_6detail15normal_iteratorINS6_10device_ptrIKfEEEESL_NS6_8equal_toIfEEEENSG_9not_fun_tINSD_8identityEEEEENSD_19counting_iterator_tIlEES8_S8_S8_S8_S8_S8_S8_S8_EEEEPS9_S9_NSD_9__find_if7functorIS9_EEEE10hipError_tPvRmT1_T2_T3_mT4_P12ihipStream_tbEUlT_E1_NS1_11comp_targetILNS1_3genE10ELNS1_11target_archE1200ELNS1_3gpuE4ELNS1_3repE0EEENS1_30default_config_static_selectorELNS0_4arch9wavefront6targetE1EEEvS14_
    .private_segment_fixed_size: 0
    .sgpr_count:     4
    .sgpr_spill_count: 0
    .symbol:         _ZN7rocprim17ROCPRIM_400000_NS6detail17trampoline_kernelINS0_14default_configENS1_22reduce_config_selectorIN6thrust23THRUST_200600_302600_NS5tupleIblNS6_9null_typeES8_S8_S8_S8_S8_S8_S8_EEEEZNS1_11reduce_implILb1ES3_NS6_12zip_iteratorINS7_INS6_11hip_rocprim26transform_input_iterator_tIbNSD_35transform_pair_of_input_iterators_tIbNS6_6detail15normal_iteratorINS6_10device_ptrIKfEEEESL_NS6_8equal_toIfEEEENSG_9not_fun_tINSD_8identityEEEEENSD_19counting_iterator_tIlEES8_S8_S8_S8_S8_S8_S8_S8_EEEEPS9_S9_NSD_9__find_if7functorIS9_EEEE10hipError_tPvRmT1_T2_T3_mT4_P12ihipStream_tbEUlT_E1_NS1_11comp_targetILNS1_3genE10ELNS1_11target_archE1200ELNS1_3gpuE4ELNS1_3repE0EEENS1_30default_config_static_selectorELNS0_4arch9wavefront6targetE1EEEvS14_.kd
    .uniform_work_group_size: 1
    .uses_dynamic_stack: false
    .vgpr_count:     0
    .vgpr_spill_count: 0
    .wavefront_size: 64
  - .agpr_count:     0
    .args:
      - .offset:         0
        .size:           88
        .value_kind:     by_value
    .group_segment_fixed_size: 0
    .kernarg_segment_align: 8
    .kernarg_segment_size: 88
    .language:       OpenCL C
    .language_version:
      - 2
      - 0
    .max_flat_workgroup_size: 256
    .name:           _ZN7rocprim17ROCPRIM_400000_NS6detail17trampoline_kernelINS0_14default_configENS1_22reduce_config_selectorIN6thrust23THRUST_200600_302600_NS5tupleIblNS6_9null_typeES8_S8_S8_S8_S8_S8_S8_EEEEZNS1_11reduce_implILb1ES3_NS6_12zip_iteratorINS7_INS6_11hip_rocprim26transform_input_iterator_tIbNSD_35transform_pair_of_input_iterators_tIbNS6_6detail15normal_iteratorINS6_10device_ptrIKfEEEESL_NS6_8equal_toIfEEEENSG_9not_fun_tINSD_8identityEEEEENSD_19counting_iterator_tIlEES8_S8_S8_S8_S8_S8_S8_S8_EEEEPS9_S9_NSD_9__find_if7functorIS9_EEEE10hipError_tPvRmT1_T2_T3_mT4_P12ihipStream_tbEUlT_E1_NS1_11comp_targetILNS1_3genE9ELNS1_11target_archE1100ELNS1_3gpuE3ELNS1_3repE0EEENS1_30default_config_static_selectorELNS0_4arch9wavefront6targetE1EEEvS14_
    .private_segment_fixed_size: 0
    .sgpr_count:     4
    .sgpr_spill_count: 0
    .symbol:         _ZN7rocprim17ROCPRIM_400000_NS6detail17trampoline_kernelINS0_14default_configENS1_22reduce_config_selectorIN6thrust23THRUST_200600_302600_NS5tupleIblNS6_9null_typeES8_S8_S8_S8_S8_S8_S8_EEEEZNS1_11reduce_implILb1ES3_NS6_12zip_iteratorINS7_INS6_11hip_rocprim26transform_input_iterator_tIbNSD_35transform_pair_of_input_iterators_tIbNS6_6detail15normal_iteratorINS6_10device_ptrIKfEEEESL_NS6_8equal_toIfEEEENSG_9not_fun_tINSD_8identityEEEEENSD_19counting_iterator_tIlEES8_S8_S8_S8_S8_S8_S8_S8_EEEEPS9_S9_NSD_9__find_if7functorIS9_EEEE10hipError_tPvRmT1_T2_T3_mT4_P12ihipStream_tbEUlT_E1_NS1_11comp_targetILNS1_3genE9ELNS1_11target_archE1100ELNS1_3gpuE3ELNS1_3repE0EEENS1_30default_config_static_selectorELNS0_4arch9wavefront6targetE1EEEvS14_.kd
    .uniform_work_group_size: 1
    .uses_dynamic_stack: false
    .vgpr_count:     0
    .vgpr_spill_count: 0
    .wavefront_size: 64
  - .agpr_count:     0
    .args:
      - .offset:         0
        .size:           88
        .value_kind:     by_value
    .group_segment_fixed_size: 0
    .kernarg_segment_align: 8
    .kernarg_segment_size: 88
    .language:       OpenCL C
    .language_version:
      - 2
      - 0
    .max_flat_workgroup_size: 256
    .name:           _ZN7rocprim17ROCPRIM_400000_NS6detail17trampoline_kernelINS0_14default_configENS1_22reduce_config_selectorIN6thrust23THRUST_200600_302600_NS5tupleIblNS6_9null_typeES8_S8_S8_S8_S8_S8_S8_EEEEZNS1_11reduce_implILb1ES3_NS6_12zip_iteratorINS7_INS6_11hip_rocprim26transform_input_iterator_tIbNSD_35transform_pair_of_input_iterators_tIbNS6_6detail15normal_iteratorINS6_10device_ptrIKfEEEESL_NS6_8equal_toIfEEEENSG_9not_fun_tINSD_8identityEEEEENSD_19counting_iterator_tIlEES8_S8_S8_S8_S8_S8_S8_S8_EEEEPS9_S9_NSD_9__find_if7functorIS9_EEEE10hipError_tPvRmT1_T2_T3_mT4_P12ihipStream_tbEUlT_E1_NS1_11comp_targetILNS1_3genE8ELNS1_11target_archE1030ELNS1_3gpuE2ELNS1_3repE0EEENS1_30default_config_static_selectorELNS0_4arch9wavefront6targetE1EEEvS14_
    .private_segment_fixed_size: 0
    .sgpr_count:     4
    .sgpr_spill_count: 0
    .symbol:         _ZN7rocprim17ROCPRIM_400000_NS6detail17trampoline_kernelINS0_14default_configENS1_22reduce_config_selectorIN6thrust23THRUST_200600_302600_NS5tupleIblNS6_9null_typeES8_S8_S8_S8_S8_S8_S8_EEEEZNS1_11reduce_implILb1ES3_NS6_12zip_iteratorINS7_INS6_11hip_rocprim26transform_input_iterator_tIbNSD_35transform_pair_of_input_iterators_tIbNS6_6detail15normal_iteratorINS6_10device_ptrIKfEEEESL_NS6_8equal_toIfEEEENSG_9not_fun_tINSD_8identityEEEEENSD_19counting_iterator_tIlEES8_S8_S8_S8_S8_S8_S8_S8_EEEEPS9_S9_NSD_9__find_if7functorIS9_EEEE10hipError_tPvRmT1_T2_T3_mT4_P12ihipStream_tbEUlT_E1_NS1_11comp_targetILNS1_3genE8ELNS1_11target_archE1030ELNS1_3gpuE2ELNS1_3repE0EEENS1_30default_config_static_selectorELNS0_4arch9wavefront6targetE1EEEvS14_.kd
    .uniform_work_group_size: 1
    .uses_dynamic_stack: false
    .vgpr_count:     0
    .vgpr_spill_count: 0
    .wavefront_size: 64
  - .agpr_count:     0
    .args:
      - .offset:         0
        .size:           16
        .value_kind:     by_value
      - .offset:         16
        .size:           8
        .value_kind:     by_value
      - .offset:         24
        .size:           8
        .value_kind:     by_value
    .group_segment_fixed_size: 0
    .kernarg_segment_align: 8
    .kernarg_segment_size: 32
    .language:       OpenCL C
    .language_version:
      - 2
      - 0
    .max_flat_workgroup_size: 256
    .name:           _ZN6thrust23THRUST_200600_302600_NS11hip_rocprim14__parallel_for6kernelILj256ENS1_20__uninitialized_fill7functorINS0_10device_ptrIyEEyEEmLj1EEEvT0_T1_SA_
    .private_segment_fixed_size: 0
    .sgpr_count:     20
    .sgpr_spill_count: 0
    .symbol:         _ZN6thrust23THRUST_200600_302600_NS11hip_rocprim14__parallel_for6kernelILj256ENS1_20__uninitialized_fill7functorINS0_10device_ptrIyEEyEEmLj1EEEvT0_T1_SA_.kd
    .uniform_work_group_size: 1
    .uses_dynamic_stack: false
    .vgpr_count:     5
    .vgpr_spill_count: 0
    .wavefront_size: 64
  - .agpr_count:     0
    .args:
      - .offset:         0
        .size:           48
        .value_kind:     by_value
    .group_segment_fixed_size: 0
    .kernarg_segment_align: 8
    .kernarg_segment_size: 48
    .language:       OpenCL C
    .language_version:
      - 2
      - 0
    .max_flat_workgroup_size: 256
    .name:           _ZN7rocprim17ROCPRIM_400000_NS6detail17trampoline_kernelINS0_14default_configENS1_21merge_config_selectorIyNS0_10empty_typeEEEZNS1_10merge_implIS3_N6thrust23THRUST_200600_302600_NS6detail15normal_iteratorINS9_10device_ptrIKyEEEESF_NSB_INSC_IyEEEEPS5_SI_SI_NS9_4lessIyEEEE10hipError_tPvRmT0_T1_T2_T3_T4_T5_mmT6_P12ihipStream_tbEUlT_E_NS1_11comp_targetILNS1_3genE0ELNS1_11target_archE4294967295ELNS1_3gpuE0ELNS1_3repE0EEENS1_30default_config_static_selectorELNS0_4arch9wavefront6targetE1EEEvSP_
    .private_segment_fixed_size: 0
    .sgpr_count:     4
    .sgpr_spill_count: 0
    .symbol:         _ZN7rocprim17ROCPRIM_400000_NS6detail17trampoline_kernelINS0_14default_configENS1_21merge_config_selectorIyNS0_10empty_typeEEEZNS1_10merge_implIS3_N6thrust23THRUST_200600_302600_NS6detail15normal_iteratorINS9_10device_ptrIKyEEEESF_NSB_INSC_IyEEEEPS5_SI_SI_NS9_4lessIyEEEE10hipError_tPvRmT0_T1_T2_T3_T4_T5_mmT6_P12ihipStream_tbEUlT_E_NS1_11comp_targetILNS1_3genE0ELNS1_11target_archE4294967295ELNS1_3gpuE0ELNS1_3repE0EEENS1_30default_config_static_selectorELNS0_4arch9wavefront6targetE1EEEvSP_.kd
    .uniform_work_group_size: 1
    .uses_dynamic_stack: false
    .vgpr_count:     0
    .vgpr_spill_count: 0
    .wavefront_size: 64
  - .agpr_count:     0
    .args:
      - .offset:         0
        .size:           48
        .value_kind:     by_value
    .group_segment_fixed_size: 0
    .kernarg_segment_align: 8
    .kernarg_segment_size: 48
    .language:       OpenCL C
    .language_version:
      - 2
      - 0
    .max_flat_workgroup_size: 256
    .name:           _ZN7rocprim17ROCPRIM_400000_NS6detail17trampoline_kernelINS0_14default_configENS1_21merge_config_selectorIyNS0_10empty_typeEEEZNS1_10merge_implIS3_N6thrust23THRUST_200600_302600_NS6detail15normal_iteratorINS9_10device_ptrIKyEEEESF_NSB_INSC_IyEEEEPS5_SI_SI_NS9_4lessIyEEEE10hipError_tPvRmT0_T1_T2_T3_T4_T5_mmT6_P12ihipStream_tbEUlT_E_NS1_11comp_targetILNS1_3genE5ELNS1_11target_archE942ELNS1_3gpuE9ELNS1_3repE0EEENS1_30default_config_static_selectorELNS0_4arch9wavefront6targetE1EEEvSP_
    .private_segment_fixed_size: 0
    .sgpr_count:     4
    .sgpr_spill_count: 0
    .symbol:         _ZN7rocprim17ROCPRIM_400000_NS6detail17trampoline_kernelINS0_14default_configENS1_21merge_config_selectorIyNS0_10empty_typeEEEZNS1_10merge_implIS3_N6thrust23THRUST_200600_302600_NS6detail15normal_iteratorINS9_10device_ptrIKyEEEESF_NSB_INSC_IyEEEEPS5_SI_SI_NS9_4lessIyEEEE10hipError_tPvRmT0_T1_T2_T3_T4_T5_mmT6_P12ihipStream_tbEUlT_E_NS1_11comp_targetILNS1_3genE5ELNS1_11target_archE942ELNS1_3gpuE9ELNS1_3repE0EEENS1_30default_config_static_selectorELNS0_4arch9wavefront6targetE1EEEvSP_.kd
    .uniform_work_group_size: 1
    .uses_dynamic_stack: false
    .vgpr_count:     0
    .vgpr_spill_count: 0
    .wavefront_size: 64
  - .agpr_count:     0
    .args:
      - .offset:         0
        .size:           48
        .value_kind:     by_value
      - .offset:         48
        .size:           4
        .value_kind:     hidden_block_count_x
      - .offset:         52
        .size:           4
        .value_kind:     hidden_block_count_y
      - .offset:         56
        .size:           4
        .value_kind:     hidden_block_count_z
      - .offset:         60
        .size:           2
        .value_kind:     hidden_group_size_x
      - .offset:         62
        .size:           2
        .value_kind:     hidden_group_size_y
      - .offset:         64
        .size:           2
        .value_kind:     hidden_group_size_z
      - .offset:         66
        .size:           2
        .value_kind:     hidden_remainder_x
      - .offset:         68
        .size:           2
        .value_kind:     hidden_remainder_y
      - .offset:         70
        .size:           2
        .value_kind:     hidden_remainder_z
      - .offset:         88
        .size:           8
        .value_kind:     hidden_global_offset_x
      - .offset:         96
        .size:           8
        .value_kind:     hidden_global_offset_y
      - .offset:         104
        .size:           8
        .value_kind:     hidden_global_offset_z
      - .offset:         112
        .size:           2
        .value_kind:     hidden_grid_dims
    .group_segment_fixed_size: 0
    .kernarg_segment_align: 8
    .kernarg_segment_size: 304
    .language:       OpenCL C
    .language_version:
      - 2
      - 0
    .max_flat_workgroup_size: 256
    .name:           _ZN7rocprim17ROCPRIM_400000_NS6detail17trampoline_kernelINS0_14default_configENS1_21merge_config_selectorIyNS0_10empty_typeEEEZNS1_10merge_implIS3_N6thrust23THRUST_200600_302600_NS6detail15normal_iteratorINS9_10device_ptrIKyEEEESF_NSB_INSC_IyEEEEPS5_SI_SI_NS9_4lessIyEEEE10hipError_tPvRmT0_T1_T2_T3_T4_T5_mmT6_P12ihipStream_tbEUlT_E_NS1_11comp_targetILNS1_3genE4ELNS1_11target_archE910ELNS1_3gpuE8ELNS1_3repE0EEENS1_30default_config_static_selectorELNS0_4arch9wavefront6targetE1EEEvSP_
    .private_segment_fixed_size: 0
    .sgpr_count:     18
    .sgpr_spill_count: 0
    .symbol:         _ZN7rocprim17ROCPRIM_400000_NS6detail17trampoline_kernelINS0_14default_configENS1_21merge_config_selectorIyNS0_10empty_typeEEEZNS1_10merge_implIS3_N6thrust23THRUST_200600_302600_NS6detail15normal_iteratorINS9_10device_ptrIKyEEEESF_NSB_INSC_IyEEEEPS5_SI_SI_NS9_4lessIyEEEE10hipError_tPvRmT0_T1_T2_T3_T4_T5_mmT6_P12ihipStream_tbEUlT_E_NS1_11comp_targetILNS1_3genE4ELNS1_11target_archE910ELNS1_3gpuE8ELNS1_3repE0EEENS1_30default_config_static_selectorELNS0_4arch9wavefront6targetE1EEEvSP_.kd
    .uniform_work_group_size: 1
    .uses_dynamic_stack: false
    .vgpr_count:     16
    .vgpr_spill_count: 0
    .wavefront_size: 64
  - .agpr_count:     0
    .args:
      - .offset:         0
        .size:           48
        .value_kind:     by_value
    .group_segment_fixed_size: 0
    .kernarg_segment_align: 8
    .kernarg_segment_size: 48
    .language:       OpenCL C
    .language_version:
      - 2
      - 0
    .max_flat_workgroup_size: 256
    .name:           _ZN7rocprim17ROCPRIM_400000_NS6detail17trampoline_kernelINS0_14default_configENS1_21merge_config_selectorIyNS0_10empty_typeEEEZNS1_10merge_implIS3_N6thrust23THRUST_200600_302600_NS6detail15normal_iteratorINS9_10device_ptrIKyEEEESF_NSB_INSC_IyEEEEPS5_SI_SI_NS9_4lessIyEEEE10hipError_tPvRmT0_T1_T2_T3_T4_T5_mmT6_P12ihipStream_tbEUlT_E_NS1_11comp_targetILNS1_3genE3ELNS1_11target_archE908ELNS1_3gpuE7ELNS1_3repE0EEENS1_30default_config_static_selectorELNS0_4arch9wavefront6targetE1EEEvSP_
    .private_segment_fixed_size: 0
    .sgpr_count:     4
    .sgpr_spill_count: 0
    .symbol:         _ZN7rocprim17ROCPRIM_400000_NS6detail17trampoline_kernelINS0_14default_configENS1_21merge_config_selectorIyNS0_10empty_typeEEEZNS1_10merge_implIS3_N6thrust23THRUST_200600_302600_NS6detail15normal_iteratorINS9_10device_ptrIKyEEEESF_NSB_INSC_IyEEEEPS5_SI_SI_NS9_4lessIyEEEE10hipError_tPvRmT0_T1_T2_T3_T4_T5_mmT6_P12ihipStream_tbEUlT_E_NS1_11comp_targetILNS1_3genE3ELNS1_11target_archE908ELNS1_3gpuE7ELNS1_3repE0EEENS1_30default_config_static_selectorELNS0_4arch9wavefront6targetE1EEEvSP_.kd
    .uniform_work_group_size: 1
    .uses_dynamic_stack: false
    .vgpr_count:     0
    .vgpr_spill_count: 0
    .wavefront_size: 64
  - .agpr_count:     0
    .args:
      - .offset:         0
        .size:           48
        .value_kind:     by_value
    .group_segment_fixed_size: 0
    .kernarg_segment_align: 8
    .kernarg_segment_size: 48
    .language:       OpenCL C
    .language_version:
      - 2
      - 0
    .max_flat_workgroup_size: 256
    .name:           _ZN7rocprim17ROCPRIM_400000_NS6detail17trampoline_kernelINS0_14default_configENS1_21merge_config_selectorIyNS0_10empty_typeEEEZNS1_10merge_implIS3_N6thrust23THRUST_200600_302600_NS6detail15normal_iteratorINS9_10device_ptrIKyEEEESF_NSB_INSC_IyEEEEPS5_SI_SI_NS9_4lessIyEEEE10hipError_tPvRmT0_T1_T2_T3_T4_T5_mmT6_P12ihipStream_tbEUlT_E_NS1_11comp_targetILNS1_3genE2ELNS1_11target_archE906ELNS1_3gpuE6ELNS1_3repE0EEENS1_30default_config_static_selectorELNS0_4arch9wavefront6targetE1EEEvSP_
    .private_segment_fixed_size: 0
    .sgpr_count:     4
    .sgpr_spill_count: 0
    .symbol:         _ZN7rocprim17ROCPRIM_400000_NS6detail17trampoline_kernelINS0_14default_configENS1_21merge_config_selectorIyNS0_10empty_typeEEEZNS1_10merge_implIS3_N6thrust23THRUST_200600_302600_NS6detail15normal_iteratorINS9_10device_ptrIKyEEEESF_NSB_INSC_IyEEEEPS5_SI_SI_NS9_4lessIyEEEE10hipError_tPvRmT0_T1_T2_T3_T4_T5_mmT6_P12ihipStream_tbEUlT_E_NS1_11comp_targetILNS1_3genE2ELNS1_11target_archE906ELNS1_3gpuE6ELNS1_3repE0EEENS1_30default_config_static_selectorELNS0_4arch9wavefront6targetE1EEEvSP_.kd
    .uniform_work_group_size: 1
    .uses_dynamic_stack: false
    .vgpr_count:     0
    .vgpr_spill_count: 0
    .wavefront_size: 64
  - .agpr_count:     0
    .args:
      - .offset:         0
        .size:           48
        .value_kind:     by_value
    .group_segment_fixed_size: 0
    .kernarg_segment_align: 8
    .kernarg_segment_size: 48
    .language:       OpenCL C
    .language_version:
      - 2
      - 0
    .max_flat_workgroup_size: 512
    .name:           _ZN7rocprim17ROCPRIM_400000_NS6detail17trampoline_kernelINS0_14default_configENS1_21merge_config_selectorIyNS0_10empty_typeEEEZNS1_10merge_implIS3_N6thrust23THRUST_200600_302600_NS6detail15normal_iteratorINS9_10device_ptrIKyEEEESF_NSB_INSC_IyEEEEPS5_SI_SI_NS9_4lessIyEEEE10hipError_tPvRmT0_T1_T2_T3_T4_T5_mmT6_P12ihipStream_tbEUlT_E_NS1_11comp_targetILNS1_3genE10ELNS1_11target_archE1201ELNS1_3gpuE5ELNS1_3repE0EEENS1_30default_config_static_selectorELNS0_4arch9wavefront6targetE1EEEvSP_
    .private_segment_fixed_size: 0
    .sgpr_count:     4
    .sgpr_spill_count: 0
    .symbol:         _ZN7rocprim17ROCPRIM_400000_NS6detail17trampoline_kernelINS0_14default_configENS1_21merge_config_selectorIyNS0_10empty_typeEEEZNS1_10merge_implIS3_N6thrust23THRUST_200600_302600_NS6detail15normal_iteratorINS9_10device_ptrIKyEEEESF_NSB_INSC_IyEEEEPS5_SI_SI_NS9_4lessIyEEEE10hipError_tPvRmT0_T1_T2_T3_T4_T5_mmT6_P12ihipStream_tbEUlT_E_NS1_11comp_targetILNS1_3genE10ELNS1_11target_archE1201ELNS1_3gpuE5ELNS1_3repE0EEENS1_30default_config_static_selectorELNS0_4arch9wavefront6targetE1EEEvSP_.kd
    .uniform_work_group_size: 1
    .uses_dynamic_stack: false
    .vgpr_count:     0
    .vgpr_spill_count: 0
    .wavefront_size: 64
  - .agpr_count:     0
    .args:
      - .offset:         0
        .size:           48
        .value_kind:     by_value
    .group_segment_fixed_size: 0
    .kernarg_segment_align: 8
    .kernarg_segment_size: 48
    .language:       OpenCL C
    .language_version:
      - 2
      - 0
    .max_flat_workgroup_size: 1024
    .name:           _ZN7rocprim17ROCPRIM_400000_NS6detail17trampoline_kernelINS0_14default_configENS1_21merge_config_selectorIyNS0_10empty_typeEEEZNS1_10merge_implIS3_N6thrust23THRUST_200600_302600_NS6detail15normal_iteratorINS9_10device_ptrIKyEEEESF_NSB_INSC_IyEEEEPS5_SI_SI_NS9_4lessIyEEEE10hipError_tPvRmT0_T1_T2_T3_T4_T5_mmT6_P12ihipStream_tbEUlT_E_NS1_11comp_targetILNS1_3genE10ELNS1_11target_archE1200ELNS1_3gpuE4ELNS1_3repE0EEENS1_30default_config_static_selectorELNS0_4arch9wavefront6targetE1EEEvSP_
    .private_segment_fixed_size: 0
    .sgpr_count:     4
    .sgpr_spill_count: 0
    .symbol:         _ZN7rocprim17ROCPRIM_400000_NS6detail17trampoline_kernelINS0_14default_configENS1_21merge_config_selectorIyNS0_10empty_typeEEEZNS1_10merge_implIS3_N6thrust23THRUST_200600_302600_NS6detail15normal_iteratorINS9_10device_ptrIKyEEEESF_NSB_INSC_IyEEEEPS5_SI_SI_NS9_4lessIyEEEE10hipError_tPvRmT0_T1_T2_T3_T4_T5_mmT6_P12ihipStream_tbEUlT_E_NS1_11comp_targetILNS1_3genE10ELNS1_11target_archE1200ELNS1_3gpuE4ELNS1_3repE0EEENS1_30default_config_static_selectorELNS0_4arch9wavefront6targetE1EEEvSP_.kd
    .uniform_work_group_size: 1
    .uses_dynamic_stack: false
    .vgpr_count:     0
    .vgpr_spill_count: 0
    .wavefront_size: 64
  - .agpr_count:     0
    .args:
      - .offset:         0
        .size:           48
        .value_kind:     by_value
    .group_segment_fixed_size: 0
    .kernarg_segment_align: 8
    .kernarg_segment_size: 48
    .language:       OpenCL C
    .language_version:
      - 2
      - 0
    .max_flat_workgroup_size: 1024
    .name:           _ZN7rocprim17ROCPRIM_400000_NS6detail17trampoline_kernelINS0_14default_configENS1_21merge_config_selectorIyNS0_10empty_typeEEEZNS1_10merge_implIS3_N6thrust23THRUST_200600_302600_NS6detail15normal_iteratorINS9_10device_ptrIKyEEEESF_NSB_INSC_IyEEEEPS5_SI_SI_NS9_4lessIyEEEE10hipError_tPvRmT0_T1_T2_T3_T4_T5_mmT6_P12ihipStream_tbEUlT_E_NS1_11comp_targetILNS1_3genE9ELNS1_11target_archE1100ELNS1_3gpuE3ELNS1_3repE0EEENS1_30default_config_static_selectorELNS0_4arch9wavefront6targetE1EEEvSP_
    .private_segment_fixed_size: 0
    .sgpr_count:     4
    .sgpr_spill_count: 0
    .symbol:         _ZN7rocprim17ROCPRIM_400000_NS6detail17trampoline_kernelINS0_14default_configENS1_21merge_config_selectorIyNS0_10empty_typeEEEZNS1_10merge_implIS3_N6thrust23THRUST_200600_302600_NS6detail15normal_iteratorINS9_10device_ptrIKyEEEESF_NSB_INSC_IyEEEEPS5_SI_SI_NS9_4lessIyEEEE10hipError_tPvRmT0_T1_T2_T3_T4_T5_mmT6_P12ihipStream_tbEUlT_E_NS1_11comp_targetILNS1_3genE9ELNS1_11target_archE1100ELNS1_3gpuE3ELNS1_3repE0EEENS1_30default_config_static_selectorELNS0_4arch9wavefront6targetE1EEEvSP_.kd
    .uniform_work_group_size: 1
    .uses_dynamic_stack: false
    .vgpr_count:     0
    .vgpr_spill_count: 0
    .wavefront_size: 64
  - .agpr_count:     0
    .args:
      - .offset:         0
        .size:           48
        .value_kind:     by_value
    .group_segment_fixed_size: 0
    .kernarg_segment_align: 8
    .kernarg_segment_size: 48
    .language:       OpenCL C
    .language_version:
      - 2
      - 0
    .max_flat_workgroup_size: 256
    .name:           _ZN7rocprim17ROCPRIM_400000_NS6detail17trampoline_kernelINS0_14default_configENS1_21merge_config_selectorIyNS0_10empty_typeEEEZNS1_10merge_implIS3_N6thrust23THRUST_200600_302600_NS6detail15normal_iteratorINS9_10device_ptrIKyEEEESF_NSB_INSC_IyEEEEPS5_SI_SI_NS9_4lessIyEEEE10hipError_tPvRmT0_T1_T2_T3_T4_T5_mmT6_P12ihipStream_tbEUlT_E_NS1_11comp_targetILNS1_3genE8ELNS1_11target_archE1030ELNS1_3gpuE2ELNS1_3repE0EEENS1_30default_config_static_selectorELNS0_4arch9wavefront6targetE1EEEvSP_
    .private_segment_fixed_size: 0
    .sgpr_count:     4
    .sgpr_spill_count: 0
    .symbol:         _ZN7rocprim17ROCPRIM_400000_NS6detail17trampoline_kernelINS0_14default_configENS1_21merge_config_selectorIyNS0_10empty_typeEEEZNS1_10merge_implIS3_N6thrust23THRUST_200600_302600_NS6detail15normal_iteratorINS9_10device_ptrIKyEEEESF_NSB_INSC_IyEEEEPS5_SI_SI_NS9_4lessIyEEEE10hipError_tPvRmT0_T1_T2_T3_T4_T5_mmT6_P12ihipStream_tbEUlT_E_NS1_11comp_targetILNS1_3genE8ELNS1_11target_archE1030ELNS1_3gpuE2ELNS1_3repE0EEENS1_30default_config_static_selectorELNS0_4arch9wavefront6targetE1EEEvSP_.kd
    .uniform_work_group_size: 1
    .uses_dynamic_stack: false
    .vgpr_count:     0
    .vgpr_spill_count: 0
    .wavefront_size: 64
  - .agpr_count:     0
    .args:
      - .offset:         0
        .size:           88
        .value_kind:     by_value
    .group_segment_fixed_size: 0
    .kernarg_segment_align: 8
    .kernarg_segment_size: 88
    .language:       OpenCL C
    .language_version:
      - 2
      - 0
    .max_flat_workgroup_size: 256
    .name:           _ZN7rocprim17ROCPRIM_400000_NS6detail17trampoline_kernelINS0_14default_configENS1_21merge_config_selectorIyNS0_10empty_typeEEEZNS1_10merge_implIS3_N6thrust23THRUST_200600_302600_NS6detail15normal_iteratorINS9_10device_ptrIKyEEEESF_NSB_INSC_IyEEEEPS5_SI_SI_NS9_4lessIyEEEE10hipError_tPvRmT0_T1_T2_T3_T4_T5_mmT6_P12ihipStream_tbEUlT_E0_NS1_11comp_targetILNS1_3genE0ELNS1_11target_archE4294967295ELNS1_3gpuE0ELNS1_3repE0EEENS1_30default_config_static_selectorELNS0_4arch9wavefront6targetE1EEEvSP_
    .private_segment_fixed_size: 0
    .sgpr_count:     4
    .sgpr_spill_count: 0
    .symbol:         _ZN7rocprim17ROCPRIM_400000_NS6detail17trampoline_kernelINS0_14default_configENS1_21merge_config_selectorIyNS0_10empty_typeEEEZNS1_10merge_implIS3_N6thrust23THRUST_200600_302600_NS6detail15normal_iteratorINS9_10device_ptrIKyEEEESF_NSB_INSC_IyEEEEPS5_SI_SI_NS9_4lessIyEEEE10hipError_tPvRmT0_T1_T2_T3_T4_T5_mmT6_P12ihipStream_tbEUlT_E0_NS1_11comp_targetILNS1_3genE0ELNS1_11target_archE4294967295ELNS1_3gpuE0ELNS1_3repE0EEENS1_30default_config_static_selectorELNS0_4arch9wavefront6targetE1EEEvSP_.kd
    .uniform_work_group_size: 1
    .uses_dynamic_stack: false
    .vgpr_count:     0
    .vgpr_spill_count: 0
    .wavefront_size: 64
  - .agpr_count:     0
    .args:
      - .offset:         0
        .size:           88
        .value_kind:     by_value
    .group_segment_fixed_size: 0
    .kernarg_segment_align: 8
    .kernarg_segment_size: 88
    .language:       OpenCL C
    .language_version:
      - 2
      - 0
    .max_flat_workgroup_size: 256
    .name:           _ZN7rocprim17ROCPRIM_400000_NS6detail17trampoline_kernelINS0_14default_configENS1_21merge_config_selectorIyNS0_10empty_typeEEEZNS1_10merge_implIS3_N6thrust23THRUST_200600_302600_NS6detail15normal_iteratorINS9_10device_ptrIKyEEEESF_NSB_INSC_IyEEEEPS5_SI_SI_NS9_4lessIyEEEE10hipError_tPvRmT0_T1_T2_T3_T4_T5_mmT6_P12ihipStream_tbEUlT_E0_NS1_11comp_targetILNS1_3genE5ELNS1_11target_archE942ELNS1_3gpuE9ELNS1_3repE0EEENS1_30default_config_static_selectorELNS0_4arch9wavefront6targetE1EEEvSP_
    .private_segment_fixed_size: 0
    .sgpr_count:     4
    .sgpr_spill_count: 0
    .symbol:         _ZN7rocprim17ROCPRIM_400000_NS6detail17trampoline_kernelINS0_14default_configENS1_21merge_config_selectorIyNS0_10empty_typeEEEZNS1_10merge_implIS3_N6thrust23THRUST_200600_302600_NS6detail15normal_iteratorINS9_10device_ptrIKyEEEESF_NSB_INSC_IyEEEEPS5_SI_SI_NS9_4lessIyEEEE10hipError_tPvRmT0_T1_T2_T3_T4_T5_mmT6_P12ihipStream_tbEUlT_E0_NS1_11comp_targetILNS1_3genE5ELNS1_11target_archE942ELNS1_3gpuE9ELNS1_3repE0EEENS1_30default_config_static_selectorELNS0_4arch9wavefront6targetE1EEEvSP_.kd
    .uniform_work_group_size: 1
    .uses_dynamic_stack: false
    .vgpr_count:     0
    .vgpr_spill_count: 0
    .wavefront_size: 64
  - .agpr_count:     0
    .args:
      - .offset:         0
        .size:           88
        .value_kind:     by_value
    .group_segment_fixed_size: 8448
    .kernarg_segment_align: 8
    .kernarg_segment_size: 88
    .language:       OpenCL C
    .language_version:
      - 2
      - 0
    .max_flat_workgroup_size: 256
    .name:           _ZN7rocprim17ROCPRIM_400000_NS6detail17trampoline_kernelINS0_14default_configENS1_21merge_config_selectorIyNS0_10empty_typeEEEZNS1_10merge_implIS3_N6thrust23THRUST_200600_302600_NS6detail15normal_iteratorINS9_10device_ptrIKyEEEESF_NSB_INSC_IyEEEEPS5_SI_SI_NS9_4lessIyEEEE10hipError_tPvRmT0_T1_T2_T3_T4_T5_mmT6_P12ihipStream_tbEUlT_E0_NS1_11comp_targetILNS1_3genE4ELNS1_11target_archE910ELNS1_3gpuE8ELNS1_3repE0EEENS1_30default_config_static_selectorELNS0_4arch9wavefront6targetE1EEEvSP_
    .private_segment_fixed_size: 0
    .sgpr_count:     22
    .sgpr_spill_count: 0
    .symbol:         _ZN7rocprim17ROCPRIM_400000_NS6detail17trampoline_kernelINS0_14default_configENS1_21merge_config_selectorIyNS0_10empty_typeEEEZNS1_10merge_implIS3_N6thrust23THRUST_200600_302600_NS6detail15normal_iteratorINS9_10device_ptrIKyEEEESF_NSB_INSC_IyEEEEPS5_SI_SI_NS9_4lessIyEEEE10hipError_tPvRmT0_T1_T2_T3_T4_T5_mmT6_P12ihipStream_tbEUlT_E0_NS1_11comp_targetILNS1_3genE4ELNS1_11target_archE910ELNS1_3gpuE8ELNS1_3repE0EEENS1_30default_config_static_selectorELNS0_4arch9wavefront6targetE1EEEvSP_.kd
    .uniform_work_group_size: 1
    .uses_dynamic_stack: false
    .vgpr_count:     23
    .vgpr_spill_count: 0
    .wavefront_size: 64
  - .agpr_count:     0
    .args:
      - .offset:         0
        .size:           88
        .value_kind:     by_value
    .group_segment_fixed_size: 0
    .kernarg_segment_align: 8
    .kernarg_segment_size: 88
    .language:       OpenCL C
    .language_version:
      - 2
      - 0
    .max_flat_workgroup_size: 256
    .name:           _ZN7rocprim17ROCPRIM_400000_NS6detail17trampoline_kernelINS0_14default_configENS1_21merge_config_selectorIyNS0_10empty_typeEEEZNS1_10merge_implIS3_N6thrust23THRUST_200600_302600_NS6detail15normal_iteratorINS9_10device_ptrIKyEEEESF_NSB_INSC_IyEEEEPS5_SI_SI_NS9_4lessIyEEEE10hipError_tPvRmT0_T1_T2_T3_T4_T5_mmT6_P12ihipStream_tbEUlT_E0_NS1_11comp_targetILNS1_3genE3ELNS1_11target_archE908ELNS1_3gpuE7ELNS1_3repE0EEENS1_30default_config_static_selectorELNS0_4arch9wavefront6targetE1EEEvSP_
    .private_segment_fixed_size: 0
    .sgpr_count:     4
    .sgpr_spill_count: 0
    .symbol:         _ZN7rocprim17ROCPRIM_400000_NS6detail17trampoline_kernelINS0_14default_configENS1_21merge_config_selectorIyNS0_10empty_typeEEEZNS1_10merge_implIS3_N6thrust23THRUST_200600_302600_NS6detail15normal_iteratorINS9_10device_ptrIKyEEEESF_NSB_INSC_IyEEEEPS5_SI_SI_NS9_4lessIyEEEE10hipError_tPvRmT0_T1_T2_T3_T4_T5_mmT6_P12ihipStream_tbEUlT_E0_NS1_11comp_targetILNS1_3genE3ELNS1_11target_archE908ELNS1_3gpuE7ELNS1_3repE0EEENS1_30default_config_static_selectorELNS0_4arch9wavefront6targetE1EEEvSP_.kd
    .uniform_work_group_size: 1
    .uses_dynamic_stack: false
    .vgpr_count:     0
    .vgpr_spill_count: 0
    .wavefront_size: 64
  - .agpr_count:     0
    .args:
      - .offset:         0
        .size:           88
        .value_kind:     by_value
    .group_segment_fixed_size: 0
    .kernarg_segment_align: 8
    .kernarg_segment_size: 88
    .language:       OpenCL C
    .language_version:
      - 2
      - 0
    .max_flat_workgroup_size: 256
    .name:           _ZN7rocprim17ROCPRIM_400000_NS6detail17trampoline_kernelINS0_14default_configENS1_21merge_config_selectorIyNS0_10empty_typeEEEZNS1_10merge_implIS3_N6thrust23THRUST_200600_302600_NS6detail15normal_iteratorINS9_10device_ptrIKyEEEESF_NSB_INSC_IyEEEEPS5_SI_SI_NS9_4lessIyEEEE10hipError_tPvRmT0_T1_T2_T3_T4_T5_mmT6_P12ihipStream_tbEUlT_E0_NS1_11comp_targetILNS1_3genE2ELNS1_11target_archE906ELNS1_3gpuE6ELNS1_3repE0EEENS1_30default_config_static_selectorELNS0_4arch9wavefront6targetE1EEEvSP_
    .private_segment_fixed_size: 0
    .sgpr_count:     4
    .sgpr_spill_count: 0
    .symbol:         _ZN7rocprim17ROCPRIM_400000_NS6detail17trampoline_kernelINS0_14default_configENS1_21merge_config_selectorIyNS0_10empty_typeEEEZNS1_10merge_implIS3_N6thrust23THRUST_200600_302600_NS6detail15normal_iteratorINS9_10device_ptrIKyEEEESF_NSB_INSC_IyEEEEPS5_SI_SI_NS9_4lessIyEEEE10hipError_tPvRmT0_T1_T2_T3_T4_T5_mmT6_P12ihipStream_tbEUlT_E0_NS1_11comp_targetILNS1_3genE2ELNS1_11target_archE906ELNS1_3gpuE6ELNS1_3repE0EEENS1_30default_config_static_selectorELNS0_4arch9wavefront6targetE1EEEvSP_.kd
    .uniform_work_group_size: 1
    .uses_dynamic_stack: false
    .vgpr_count:     0
    .vgpr_spill_count: 0
    .wavefront_size: 64
  - .agpr_count:     0
    .args:
      - .offset:         0
        .size:           88
        .value_kind:     by_value
    .group_segment_fixed_size: 0
    .kernarg_segment_align: 8
    .kernarg_segment_size: 88
    .language:       OpenCL C
    .language_version:
      - 2
      - 0
    .max_flat_workgroup_size: 512
    .name:           _ZN7rocprim17ROCPRIM_400000_NS6detail17trampoline_kernelINS0_14default_configENS1_21merge_config_selectorIyNS0_10empty_typeEEEZNS1_10merge_implIS3_N6thrust23THRUST_200600_302600_NS6detail15normal_iteratorINS9_10device_ptrIKyEEEESF_NSB_INSC_IyEEEEPS5_SI_SI_NS9_4lessIyEEEE10hipError_tPvRmT0_T1_T2_T3_T4_T5_mmT6_P12ihipStream_tbEUlT_E0_NS1_11comp_targetILNS1_3genE10ELNS1_11target_archE1201ELNS1_3gpuE5ELNS1_3repE0EEENS1_30default_config_static_selectorELNS0_4arch9wavefront6targetE1EEEvSP_
    .private_segment_fixed_size: 0
    .sgpr_count:     4
    .sgpr_spill_count: 0
    .symbol:         _ZN7rocprim17ROCPRIM_400000_NS6detail17trampoline_kernelINS0_14default_configENS1_21merge_config_selectorIyNS0_10empty_typeEEEZNS1_10merge_implIS3_N6thrust23THRUST_200600_302600_NS6detail15normal_iteratorINS9_10device_ptrIKyEEEESF_NSB_INSC_IyEEEEPS5_SI_SI_NS9_4lessIyEEEE10hipError_tPvRmT0_T1_T2_T3_T4_T5_mmT6_P12ihipStream_tbEUlT_E0_NS1_11comp_targetILNS1_3genE10ELNS1_11target_archE1201ELNS1_3gpuE5ELNS1_3repE0EEENS1_30default_config_static_selectorELNS0_4arch9wavefront6targetE1EEEvSP_.kd
    .uniform_work_group_size: 1
    .uses_dynamic_stack: false
    .vgpr_count:     0
    .vgpr_spill_count: 0
    .wavefront_size: 64
  - .agpr_count:     0
    .args:
      - .offset:         0
        .size:           88
        .value_kind:     by_value
    .group_segment_fixed_size: 0
    .kernarg_segment_align: 8
    .kernarg_segment_size: 88
    .language:       OpenCL C
    .language_version:
      - 2
      - 0
    .max_flat_workgroup_size: 1024
    .name:           _ZN7rocprim17ROCPRIM_400000_NS6detail17trampoline_kernelINS0_14default_configENS1_21merge_config_selectorIyNS0_10empty_typeEEEZNS1_10merge_implIS3_N6thrust23THRUST_200600_302600_NS6detail15normal_iteratorINS9_10device_ptrIKyEEEESF_NSB_INSC_IyEEEEPS5_SI_SI_NS9_4lessIyEEEE10hipError_tPvRmT0_T1_T2_T3_T4_T5_mmT6_P12ihipStream_tbEUlT_E0_NS1_11comp_targetILNS1_3genE10ELNS1_11target_archE1200ELNS1_3gpuE4ELNS1_3repE0EEENS1_30default_config_static_selectorELNS0_4arch9wavefront6targetE1EEEvSP_
    .private_segment_fixed_size: 0
    .sgpr_count:     4
    .sgpr_spill_count: 0
    .symbol:         _ZN7rocprim17ROCPRIM_400000_NS6detail17trampoline_kernelINS0_14default_configENS1_21merge_config_selectorIyNS0_10empty_typeEEEZNS1_10merge_implIS3_N6thrust23THRUST_200600_302600_NS6detail15normal_iteratorINS9_10device_ptrIKyEEEESF_NSB_INSC_IyEEEEPS5_SI_SI_NS9_4lessIyEEEE10hipError_tPvRmT0_T1_T2_T3_T4_T5_mmT6_P12ihipStream_tbEUlT_E0_NS1_11comp_targetILNS1_3genE10ELNS1_11target_archE1200ELNS1_3gpuE4ELNS1_3repE0EEENS1_30default_config_static_selectorELNS0_4arch9wavefront6targetE1EEEvSP_.kd
    .uniform_work_group_size: 1
    .uses_dynamic_stack: false
    .vgpr_count:     0
    .vgpr_spill_count: 0
    .wavefront_size: 64
  - .agpr_count:     0
    .args:
      - .offset:         0
        .size:           88
        .value_kind:     by_value
    .group_segment_fixed_size: 0
    .kernarg_segment_align: 8
    .kernarg_segment_size: 88
    .language:       OpenCL C
    .language_version:
      - 2
      - 0
    .max_flat_workgroup_size: 1024
    .name:           _ZN7rocprim17ROCPRIM_400000_NS6detail17trampoline_kernelINS0_14default_configENS1_21merge_config_selectorIyNS0_10empty_typeEEEZNS1_10merge_implIS3_N6thrust23THRUST_200600_302600_NS6detail15normal_iteratorINS9_10device_ptrIKyEEEESF_NSB_INSC_IyEEEEPS5_SI_SI_NS9_4lessIyEEEE10hipError_tPvRmT0_T1_T2_T3_T4_T5_mmT6_P12ihipStream_tbEUlT_E0_NS1_11comp_targetILNS1_3genE9ELNS1_11target_archE1100ELNS1_3gpuE3ELNS1_3repE0EEENS1_30default_config_static_selectorELNS0_4arch9wavefront6targetE1EEEvSP_
    .private_segment_fixed_size: 0
    .sgpr_count:     4
    .sgpr_spill_count: 0
    .symbol:         _ZN7rocprim17ROCPRIM_400000_NS6detail17trampoline_kernelINS0_14default_configENS1_21merge_config_selectorIyNS0_10empty_typeEEEZNS1_10merge_implIS3_N6thrust23THRUST_200600_302600_NS6detail15normal_iteratorINS9_10device_ptrIKyEEEESF_NSB_INSC_IyEEEEPS5_SI_SI_NS9_4lessIyEEEE10hipError_tPvRmT0_T1_T2_T3_T4_T5_mmT6_P12ihipStream_tbEUlT_E0_NS1_11comp_targetILNS1_3genE9ELNS1_11target_archE1100ELNS1_3gpuE3ELNS1_3repE0EEENS1_30default_config_static_selectorELNS0_4arch9wavefront6targetE1EEEvSP_.kd
    .uniform_work_group_size: 1
    .uses_dynamic_stack: false
    .vgpr_count:     0
    .vgpr_spill_count: 0
    .wavefront_size: 64
  - .agpr_count:     0
    .args:
      - .offset:         0
        .size:           88
        .value_kind:     by_value
    .group_segment_fixed_size: 0
    .kernarg_segment_align: 8
    .kernarg_segment_size: 88
    .language:       OpenCL C
    .language_version:
      - 2
      - 0
    .max_flat_workgroup_size: 256
    .name:           _ZN7rocprim17ROCPRIM_400000_NS6detail17trampoline_kernelINS0_14default_configENS1_21merge_config_selectorIyNS0_10empty_typeEEEZNS1_10merge_implIS3_N6thrust23THRUST_200600_302600_NS6detail15normal_iteratorINS9_10device_ptrIKyEEEESF_NSB_INSC_IyEEEEPS5_SI_SI_NS9_4lessIyEEEE10hipError_tPvRmT0_T1_T2_T3_T4_T5_mmT6_P12ihipStream_tbEUlT_E0_NS1_11comp_targetILNS1_3genE8ELNS1_11target_archE1030ELNS1_3gpuE2ELNS1_3repE0EEENS1_30default_config_static_selectorELNS0_4arch9wavefront6targetE1EEEvSP_
    .private_segment_fixed_size: 0
    .sgpr_count:     4
    .sgpr_spill_count: 0
    .symbol:         _ZN7rocprim17ROCPRIM_400000_NS6detail17trampoline_kernelINS0_14default_configENS1_21merge_config_selectorIyNS0_10empty_typeEEEZNS1_10merge_implIS3_N6thrust23THRUST_200600_302600_NS6detail15normal_iteratorINS9_10device_ptrIKyEEEESF_NSB_INSC_IyEEEEPS5_SI_SI_NS9_4lessIyEEEE10hipError_tPvRmT0_T1_T2_T3_T4_T5_mmT6_P12ihipStream_tbEUlT_E0_NS1_11comp_targetILNS1_3genE8ELNS1_11target_archE1030ELNS1_3gpuE2ELNS1_3repE0EEENS1_30default_config_static_selectorELNS0_4arch9wavefront6targetE1EEEvSP_.kd
    .uniform_work_group_size: 1
    .uses_dynamic_stack: false
    .vgpr_count:     0
    .vgpr_spill_count: 0
    .wavefront_size: 64
  - .agpr_count:     0
    .args:
      - .offset:         0
        .size:           104
        .value_kind:     by_value
    .group_segment_fixed_size: 0
    .kernarg_segment_align: 8
    .kernarg_segment_size: 104
    .language:       OpenCL C
    .language_version:
      - 2
      - 0
    .max_flat_workgroup_size: 128
    .name:           _ZN7rocprim17ROCPRIM_400000_NS6detail17trampoline_kernelINS0_14default_configENS1_22reduce_config_selectorIN6thrust23THRUST_200600_302600_NS5tupleIblNS6_9null_typeES8_S8_S8_S8_S8_S8_S8_EEEEZNS1_11reduce_implILb1ES3_NS6_12zip_iteratorINS7_INS6_11hip_rocprim26transform_input_iterator_tIbNSD_35transform_pair_of_input_iterators_tIbNS6_6detail15normal_iteratorINS6_10device_ptrIKyEEEESL_NS6_8equal_toIyEEEENSG_9not_fun_tINSD_8identityEEEEENSD_19counting_iterator_tIlEES8_S8_S8_S8_S8_S8_S8_S8_EEEEPS9_S9_NSD_9__find_if7functorIS9_EEEE10hipError_tPvRmT1_T2_T3_mT4_P12ihipStream_tbEUlT_E0_NS1_11comp_targetILNS1_3genE0ELNS1_11target_archE4294967295ELNS1_3gpuE0ELNS1_3repE0EEENS1_30default_config_static_selectorELNS0_4arch9wavefront6targetE1EEEvS14_
    .private_segment_fixed_size: 0
    .sgpr_count:     4
    .sgpr_spill_count: 0
    .symbol:         _ZN7rocprim17ROCPRIM_400000_NS6detail17trampoline_kernelINS0_14default_configENS1_22reduce_config_selectorIN6thrust23THRUST_200600_302600_NS5tupleIblNS6_9null_typeES8_S8_S8_S8_S8_S8_S8_EEEEZNS1_11reduce_implILb1ES3_NS6_12zip_iteratorINS7_INS6_11hip_rocprim26transform_input_iterator_tIbNSD_35transform_pair_of_input_iterators_tIbNS6_6detail15normal_iteratorINS6_10device_ptrIKyEEEESL_NS6_8equal_toIyEEEENSG_9not_fun_tINSD_8identityEEEEENSD_19counting_iterator_tIlEES8_S8_S8_S8_S8_S8_S8_S8_EEEEPS9_S9_NSD_9__find_if7functorIS9_EEEE10hipError_tPvRmT1_T2_T3_mT4_P12ihipStream_tbEUlT_E0_NS1_11comp_targetILNS1_3genE0ELNS1_11target_archE4294967295ELNS1_3gpuE0ELNS1_3repE0EEENS1_30default_config_static_selectorELNS0_4arch9wavefront6targetE1EEEvS14_.kd
    .uniform_work_group_size: 1
    .uses_dynamic_stack: false
    .vgpr_count:     0
    .vgpr_spill_count: 0
    .wavefront_size: 64
  - .agpr_count:     0
    .args:
      - .offset:         0
        .size:           104
        .value_kind:     by_value
    .group_segment_fixed_size: 0
    .kernarg_segment_align: 8
    .kernarg_segment_size: 104
    .language:       OpenCL C
    .language_version:
      - 2
      - 0
    .max_flat_workgroup_size: 256
    .name:           _ZN7rocprim17ROCPRIM_400000_NS6detail17trampoline_kernelINS0_14default_configENS1_22reduce_config_selectorIN6thrust23THRUST_200600_302600_NS5tupleIblNS6_9null_typeES8_S8_S8_S8_S8_S8_S8_EEEEZNS1_11reduce_implILb1ES3_NS6_12zip_iteratorINS7_INS6_11hip_rocprim26transform_input_iterator_tIbNSD_35transform_pair_of_input_iterators_tIbNS6_6detail15normal_iteratorINS6_10device_ptrIKyEEEESL_NS6_8equal_toIyEEEENSG_9not_fun_tINSD_8identityEEEEENSD_19counting_iterator_tIlEES8_S8_S8_S8_S8_S8_S8_S8_EEEEPS9_S9_NSD_9__find_if7functorIS9_EEEE10hipError_tPvRmT1_T2_T3_mT4_P12ihipStream_tbEUlT_E0_NS1_11comp_targetILNS1_3genE5ELNS1_11target_archE942ELNS1_3gpuE9ELNS1_3repE0EEENS1_30default_config_static_selectorELNS0_4arch9wavefront6targetE1EEEvS14_
    .private_segment_fixed_size: 0
    .sgpr_count:     4
    .sgpr_spill_count: 0
    .symbol:         _ZN7rocprim17ROCPRIM_400000_NS6detail17trampoline_kernelINS0_14default_configENS1_22reduce_config_selectorIN6thrust23THRUST_200600_302600_NS5tupleIblNS6_9null_typeES8_S8_S8_S8_S8_S8_S8_EEEEZNS1_11reduce_implILb1ES3_NS6_12zip_iteratorINS7_INS6_11hip_rocprim26transform_input_iterator_tIbNSD_35transform_pair_of_input_iterators_tIbNS6_6detail15normal_iteratorINS6_10device_ptrIKyEEEESL_NS6_8equal_toIyEEEENSG_9not_fun_tINSD_8identityEEEEENSD_19counting_iterator_tIlEES8_S8_S8_S8_S8_S8_S8_S8_EEEEPS9_S9_NSD_9__find_if7functorIS9_EEEE10hipError_tPvRmT1_T2_T3_mT4_P12ihipStream_tbEUlT_E0_NS1_11comp_targetILNS1_3genE5ELNS1_11target_archE942ELNS1_3gpuE9ELNS1_3repE0EEENS1_30default_config_static_selectorELNS0_4arch9wavefront6targetE1EEEvS14_.kd
    .uniform_work_group_size: 1
    .uses_dynamic_stack: false
    .vgpr_count:     0
    .vgpr_spill_count: 0
    .wavefront_size: 64
  - .agpr_count:     0
    .args:
      - .offset:         0
        .size:           104
        .value_kind:     by_value
    .group_segment_fixed_size: 128
    .kernarg_segment_align: 8
    .kernarg_segment_size: 104
    .language:       OpenCL C
    .language_version:
      - 2
      - 0
    .max_flat_workgroup_size: 256
    .name:           _ZN7rocprim17ROCPRIM_400000_NS6detail17trampoline_kernelINS0_14default_configENS1_22reduce_config_selectorIN6thrust23THRUST_200600_302600_NS5tupleIblNS6_9null_typeES8_S8_S8_S8_S8_S8_S8_EEEEZNS1_11reduce_implILb1ES3_NS6_12zip_iteratorINS7_INS6_11hip_rocprim26transform_input_iterator_tIbNSD_35transform_pair_of_input_iterators_tIbNS6_6detail15normal_iteratorINS6_10device_ptrIKyEEEESL_NS6_8equal_toIyEEEENSG_9not_fun_tINSD_8identityEEEEENSD_19counting_iterator_tIlEES8_S8_S8_S8_S8_S8_S8_S8_EEEEPS9_S9_NSD_9__find_if7functorIS9_EEEE10hipError_tPvRmT1_T2_T3_mT4_P12ihipStream_tbEUlT_E0_NS1_11comp_targetILNS1_3genE4ELNS1_11target_archE910ELNS1_3gpuE8ELNS1_3repE0EEENS1_30default_config_static_selectorELNS0_4arch9wavefront6targetE1EEEvS14_
    .private_segment_fixed_size: 0
    .sgpr_count:     32
    .sgpr_spill_count: 0
    .symbol:         _ZN7rocprim17ROCPRIM_400000_NS6detail17trampoline_kernelINS0_14default_configENS1_22reduce_config_selectorIN6thrust23THRUST_200600_302600_NS5tupleIblNS6_9null_typeES8_S8_S8_S8_S8_S8_S8_EEEEZNS1_11reduce_implILb1ES3_NS6_12zip_iteratorINS7_INS6_11hip_rocprim26transform_input_iterator_tIbNSD_35transform_pair_of_input_iterators_tIbNS6_6detail15normal_iteratorINS6_10device_ptrIKyEEEESL_NS6_8equal_toIyEEEENSG_9not_fun_tINSD_8identityEEEEENSD_19counting_iterator_tIlEES8_S8_S8_S8_S8_S8_S8_S8_EEEEPS9_S9_NSD_9__find_if7functorIS9_EEEE10hipError_tPvRmT1_T2_T3_mT4_P12ihipStream_tbEUlT_E0_NS1_11comp_targetILNS1_3genE4ELNS1_11target_archE910ELNS1_3gpuE8ELNS1_3repE0EEENS1_30default_config_static_selectorELNS0_4arch9wavefront6targetE1EEEvS14_.kd
    .uniform_work_group_size: 1
    .uses_dynamic_stack: false
    .vgpr_count:     14
    .vgpr_spill_count: 0
    .wavefront_size: 64
  - .agpr_count:     0
    .args:
      - .offset:         0
        .size:           104
        .value_kind:     by_value
    .group_segment_fixed_size: 0
    .kernarg_segment_align: 8
    .kernarg_segment_size: 104
    .language:       OpenCL C
    .language_version:
      - 2
      - 0
    .max_flat_workgroup_size: 128
    .name:           _ZN7rocprim17ROCPRIM_400000_NS6detail17trampoline_kernelINS0_14default_configENS1_22reduce_config_selectorIN6thrust23THRUST_200600_302600_NS5tupleIblNS6_9null_typeES8_S8_S8_S8_S8_S8_S8_EEEEZNS1_11reduce_implILb1ES3_NS6_12zip_iteratorINS7_INS6_11hip_rocprim26transform_input_iterator_tIbNSD_35transform_pair_of_input_iterators_tIbNS6_6detail15normal_iteratorINS6_10device_ptrIKyEEEESL_NS6_8equal_toIyEEEENSG_9not_fun_tINSD_8identityEEEEENSD_19counting_iterator_tIlEES8_S8_S8_S8_S8_S8_S8_S8_EEEEPS9_S9_NSD_9__find_if7functorIS9_EEEE10hipError_tPvRmT1_T2_T3_mT4_P12ihipStream_tbEUlT_E0_NS1_11comp_targetILNS1_3genE3ELNS1_11target_archE908ELNS1_3gpuE7ELNS1_3repE0EEENS1_30default_config_static_selectorELNS0_4arch9wavefront6targetE1EEEvS14_
    .private_segment_fixed_size: 0
    .sgpr_count:     4
    .sgpr_spill_count: 0
    .symbol:         _ZN7rocprim17ROCPRIM_400000_NS6detail17trampoline_kernelINS0_14default_configENS1_22reduce_config_selectorIN6thrust23THRUST_200600_302600_NS5tupleIblNS6_9null_typeES8_S8_S8_S8_S8_S8_S8_EEEEZNS1_11reduce_implILb1ES3_NS6_12zip_iteratorINS7_INS6_11hip_rocprim26transform_input_iterator_tIbNSD_35transform_pair_of_input_iterators_tIbNS6_6detail15normal_iteratorINS6_10device_ptrIKyEEEESL_NS6_8equal_toIyEEEENSG_9not_fun_tINSD_8identityEEEEENSD_19counting_iterator_tIlEES8_S8_S8_S8_S8_S8_S8_S8_EEEEPS9_S9_NSD_9__find_if7functorIS9_EEEE10hipError_tPvRmT1_T2_T3_mT4_P12ihipStream_tbEUlT_E0_NS1_11comp_targetILNS1_3genE3ELNS1_11target_archE908ELNS1_3gpuE7ELNS1_3repE0EEENS1_30default_config_static_selectorELNS0_4arch9wavefront6targetE1EEEvS14_.kd
    .uniform_work_group_size: 1
    .uses_dynamic_stack: false
    .vgpr_count:     0
    .vgpr_spill_count: 0
    .wavefront_size: 64
  - .agpr_count:     0
    .args:
      - .offset:         0
        .size:           104
        .value_kind:     by_value
    .group_segment_fixed_size: 0
    .kernarg_segment_align: 8
    .kernarg_segment_size: 104
    .language:       OpenCL C
    .language_version:
      - 2
      - 0
    .max_flat_workgroup_size: 128
    .name:           _ZN7rocprim17ROCPRIM_400000_NS6detail17trampoline_kernelINS0_14default_configENS1_22reduce_config_selectorIN6thrust23THRUST_200600_302600_NS5tupleIblNS6_9null_typeES8_S8_S8_S8_S8_S8_S8_EEEEZNS1_11reduce_implILb1ES3_NS6_12zip_iteratorINS7_INS6_11hip_rocprim26transform_input_iterator_tIbNSD_35transform_pair_of_input_iterators_tIbNS6_6detail15normal_iteratorINS6_10device_ptrIKyEEEESL_NS6_8equal_toIyEEEENSG_9not_fun_tINSD_8identityEEEEENSD_19counting_iterator_tIlEES8_S8_S8_S8_S8_S8_S8_S8_EEEEPS9_S9_NSD_9__find_if7functorIS9_EEEE10hipError_tPvRmT1_T2_T3_mT4_P12ihipStream_tbEUlT_E0_NS1_11comp_targetILNS1_3genE2ELNS1_11target_archE906ELNS1_3gpuE6ELNS1_3repE0EEENS1_30default_config_static_selectorELNS0_4arch9wavefront6targetE1EEEvS14_
    .private_segment_fixed_size: 0
    .sgpr_count:     4
    .sgpr_spill_count: 0
    .symbol:         _ZN7rocprim17ROCPRIM_400000_NS6detail17trampoline_kernelINS0_14default_configENS1_22reduce_config_selectorIN6thrust23THRUST_200600_302600_NS5tupleIblNS6_9null_typeES8_S8_S8_S8_S8_S8_S8_EEEEZNS1_11reduce_implILb1ES3_NS6_12zip_iteratorINS7_INS6_11hip_rocprim26transform_input_iterator_tIbNSD_35transform_pair_of_input_iterators_tIbNS6_6detail15normal_iteratorINS6_10device_ptrIKyEEEESL_NS6_8equal_toIyEEEENSG_9not_fun_tINSD_8identityEEEEENSD_19counting_iterator_tIlEES8_S8_S8_S8_S8_S8_S8_S8_EEEEPS9_S9_NSD_9__find_if7functorIS9_EEEE10hipError_tPvRmT1_T2_T3_mT4_P12ihipStream_tbEUlT_E0_NS1_11comp_targetILNS1_3genE2ELNS1_11target_archE906ELNS1_3gpuE6ELNS1_3repE0EEENS1_30default_config_static_selectorELNS0_4arch9wavefront6targetE1EEEvS14_.kd
    .uniform_work_group_size: 1
    .uses_dynamic_stack: false
    .vgpr_count:     0
    .vgpr_spill_count: 0
    .wavefront_size: 64
  - .agpr_count:     0
    .args:
      - .offset:         0
        .size:           104
        .value_kind:     by_value
    .group_segment_fixed_size: 0
    .kernarg_segment_align: 8
    .kernarg_segment_size: 104
    .language:       OpenCL C
    .language_version:
      - 2
      - 0
    .max_flat_workgroup_size: 256
    .name:           _ZN7rocprim17ROCPRIM_400000_NS6detail17trampoline_kernelINS0_14default_configENS1_22reduce_config_selectorIN6thrust23THRUST_200600_302600_NS5tupleIblNS6_9null_typeES8_S8_S8_S8_S8_S8_S8_EEEEZNS1_11reduce_implILb1ES3_NS6_12zip_iteratorINS7_INS6_11hip_rocprim26transform_input_iterator_tIbNSD_35transform_pair_of_input_iterators_tIbNS6_6detail15normal_iteratorINS6_10device_ptrIKyEEEESL_NS6_8equal_toIyEEEENSG_9not_fun_tINSD_8identityEEEEENSD_19counting_iterator_tIlEES8_S8_S8_S8_S8_S8_S8_S8_EEEEPS9_S9_NSD_9__find_if7functorIS9_EEEE10hipError_tPvRmT1_T2_T3_mT4_P12ihipStream_tbEUlT_E0_NS1_11comp_targetILNS1_3genE10ELNS1_11target_archE1201ELNS1_3gpuE5ELNS1_3repE0EEENS1_30default_config_static_selectorELNS0_4arch9wavefront6targetE1EEEvS14_
    .private_segment_fixed_size: 0
    .sgpr_count:     4
    .sgpr_spill_count: 0
    .symbol:         _ZN7rocprim17ROCPRIM_400000_NS6detail17trampoline_kernelINS0_14default_configENS1_22reduce_config_selectorIN6thrust23THRUST_200600_302600_NS5tupleIblNS6_9null_typeES8_S8_S8_S8_S8_S8_S8_EEEEZNS1_11reduce_implILb1ES3_NS6_12zip_iteratorINS7_INS6_11hip_rocprim26transform_input_iterator_tIbNSD_35transform_pair_of_input_iterators_tIbNS6_6detail15normal_iteratorINS6_10device_ptrIKyEEEESL_NS6_8equal_toIyEEEENSG_9not_fun_tINSD_8identityEEEEENSD_19counting_iterator_tIlEES8_S8_S8_S8_S8_S8_S8_S8_EEEEPS9_S9_NSD_9__find_if7functorIS9_EEEE10hipError_tPvRmT1_T2_T3_mT4_P12ihipStream_tbEUlT_E0_NS1_11comp_targetILNS1_3genE10ELNS1_11target_archE1201ELNS1_3gpuE5ELNS1_3repE0EEENS1_30default_config_static_selectorELNS0_4arch9wavefront6targetE1EEEvS14_.kd
    .uniform_work_group_size: 1
    .uses_dynamic_stack: false
    .vgpr_count:     0
    .vgpr_spill_count: 0
    .wavefront_size: 64
  - .agpr_count:     0
    .args:
      - .offset:         0
        .size:           104
        .value_kind:     by_value
    .group_segment_fixed_size: 0
    .kernarg_segment_align: 8
    .kernarg_segment_size: 104
    .language:       OpenCL C
    .language_version:
      - 2
      - 0
    .max_flat_workgroup_size: 256
    .name:           _ZN7rocprim17ROCPRIM_400000_NS6detail17trampoline_kernelINS0_14default_configENS1_22reduce_config_selectorIN6thrust23THRUST_200600_302600_NS5tupleIblNS6_9null_typeES8_S8_S8_S8_S8_S8_S8_EEEEZNS1_11reduce_implILb1ES3_NS6_12zip_iteratorINS7_INS6_11hip_rocprim26transform_input_iterator_tIbNSD_35transform_pair_of_input_iterators_tIbNS6_6detail15normal_iteratorINS6_10device_ptrIKyEEEESL_NS6_8equal_toIyEEEENSG_9not_fun_tINSD_8identityEEEEENSD_19counting_iterator_tIlEES8_S8_S8_S8_S8_S8_S8_S8_EEEEPS9_S9_NSD_9__find_if7functorIS9_EEEE10hipError_tPvRmT1_T2_T3_mT4_P12ihipStream_tbEUlT_E0_NS1_11comp_targetILNS1_3genE10ELNS1_11target_archE1200ELNS1_3gpuE4ELNS1_3repE0EEENS1_30default_config_static_selectorELNS0_4arch9wavefront6targetE1EEEvS14_
    .private_segment_fixed_size: 0
    .sgpr_count:     4
    .sgpr_spill_count: 0
    .symbol:         _ZN7rocprim17ROCPRIM_400000_NS6detail17trampoline_kernelINS0_14default_configENS1_22reduce_config_selectorIN6thrust23THRUST_200600_302600_NS5tupleIblNS6_9null_typeES8_S8_S8_S8_S8_S8_S8_EEEEZNS1_11reduce_implILb1ES3_NS6_12zip_iteratorINS7_INS6_11hip_rocprim26transform_input_iterator_tIbNSD_35transform_pair_of_input_iterators_tIbNS6_6detail15normal_iteratorINS6_10device_ptrIKyEEEESL_NS6_8equal_toIyEEEENSG_9not_fun_tINSD_8identityEEEEENSD_19counting_iterator_tIlEES8_S8_S8_S8_S8_S8_S8_S8_EEEEPS9_S9_NSD_9__find_if7functorIS9_EEEE10hipError_tPvRmT1_T2_T3_mT4_P12ihipStream_tbEUlT_E0_NS1_11comp_targetILNS1_3genE10ELNS1_11target_archE1200ELNS1_3gpuE4ELNS1_3repE0EEENS1_30default_config_static_selectorELNS0_4arch9wavefront6targetE1EEEvS14_.kd
    .uniform_work_group_size: 1
    .uses_dynamic_stack: false
    .vgpr_count:     0
    .vgpr_spill_count: 0
    .wavefront_size: 64
  - .agpr_count:     0
    .args:
      - .offset:         0
        .size:           104
        .value_kind:     by_value
    .group_segment_fixed_size: 0
    .kernarg_segment_align: 8
    .kernarg_segment_size: 104
    .language:       OpenCL C
    .language_version:
      - 2
      - 0
    .max_flat_workgroup_size: 256
    .name:           _ZN7rocprim17ROCPRIM_400000_NS6detail17trampoline_kernelINS0_14default_configENS1_22reduce_config_selectorIN6thrust23THRUST_200600_302600_NS5tupleIblNS6_9null_typeES8_S8_S8_S8_S8_S8_S8_EEEEZNS1_11reduce_implILb1ES3_NS6_12zip_iteratorINS7_INS6_11hip_rocprim26transform_input_iterator_tIbNSD_35transform_pair_of_input_iterators_tIbNS6_6detail15normal_iteratorINS6_10device_ptrIKyEEEESL_NS6_8equal_toIyEEEENSG_9not_fun_tINSD_8identityEEEEENSD_19counting_iterator_tIlEES8_S8_S8_S8_S8_S8_S8_S8_EEEEPS9_S9_NSD_9__find_if7functorIS9_EEEE10hipError_tPvRmT1_T2_T3_mT4_P12ihipStream_tbEUlT_E0_NS1_11comp_targetILNS1_3genE9ELNS1_11target_archE1100ELNS1_3gpuE3ELNS1_3repE0EEENS1_30default_config_static_selectorELNS0_4arch9wavefront6targetE1EEEvS14_
    .private_segment_fixed_size: 0
    .sgpr_count:     4
    .sgpr_spill_count: 0
    .symbol:         _ZN7rocprim17ROCPRIM_400000_NS6detail17trampoline_kernelINS0_14default_configENS1_22reduce_config_selectorIN6thrust23THRUST_200600_302600_NS5tupleIblNS6_9null_typeES8_S8_S8_S8_S8_S8_S8_EEEEZNS1_11reduce_implILb1ES3_NS6_12zip_iteratorINS7_INS6_11hip_rocprim26transform_input_iterator_tIbNSD_35transform_pair_of_input_iterators_tIbNS6_6detail15normal_iteratorINS6_10device_ptrIKyEEEESL_NS6_8equal_toIyEEEENSG_9not_fun_tINSD_8identityEEEEENSD_19counting_iterator_tIlEES8_S8_S8_S8_S8_S8_S8_S8_EEEEPS9_S9_NSD_9__find_if7functorIS9_EEEE10hipError_tPvRmT1_T2_T3_mT4_P12ihipStream_tbEUlT_E0_NS1_11comp_targetILNS1_3genE9ELNS1_11target_archE1100ELNS1_3gpuE3ELNS1_3repE0EEENS1_30default_config_static_selectorELNS0_4arch9wavefront6targetE1EEEvS14_.kd
    .uniform_work_group_size: 1
    .uses_dynamic_stack: false
    .vgpr_count:     0
    .vgpr_spill_count: 0
    .wavefront_size: 64
  - .agpr_count:     0
    .args:
      - .offset:         0
        .size:           104
        .value_kind:     by_value
    .group_segment_fixed_size: 0
    .kernarg_segment_align: 8
    .kernarg_segment_size: 104
    .language:       OpenCL C
    .language_version:
      - 2
      - 0
    .max_flat_workgroup_size: 256
    .name:           _ZN7rocprim17ROCPRIM_400000_NS6detail17trampoline_kernelINS0_14default_configENS1_22reduce_config_selectorIN6thrust23THRUST_200600_302600_NS5tupleIblNS6_9null_typeES8_S8_S8_S8_S8_S8_S8_EEEEZNS1_11reduce_implILb1ES3_NS6_12zip_iteratorINS7_INS6_11hip_rocprim26transform_input_iterator_tIbNSD_35transform_pair_of_input_iterators_tIbNS6_6detail15normal_iteratorINS6_10device_ptrIKyEEEESL_NS6_8equal_toIyEEEENSG_9not_fun_tINSD_8identityEEEEENSD_19counting_iterator_tIlEES8_S8_S8_S8_S8_S8_S8_S8_EEEEPS9_S9_NSD_9__find_if7functorIS9_EEEE10hipError_tPvRmT1_T2_T3_mT4_P12ihipStream_tbEUlT_E0_NS1_11comp_targetILNS1_3genE8ELNS1_11target_archE1030ELNS1_3gpuE2ELNS1_3repE0EEENS1_30default_config_static_selectorELNS0_4arch9wavefront6targetE1EEEvS14_
    .private_segment_fixed_size: 0
    .sgpr_count:     4
    .sgpr_spill_count: 0
    .symbol:         _ZN7rocprim17ROCPRIM_400000_NS6detail17trampoline_kernelINS0_14default_configENS1_22reduce_config_selectorIN6thrust23THRUST_200600_302600_NS5tupleIblNS6_9null_typeES8_S8_S8_S8_S8_S8_S8_EEEEZNS1_11reduce_implILb1ES3_NS6_12zip_iteratorINS7_INS6_11hip_rocprim26transform_input_iterator_tIbNSD_35transform_pair_of_input_iterators_tIbNS6_6detail15normal_iteratorINS6_10device_ptrIKyEEEESL_NS6_8equal_toIyEEEENSG_9not_fun_tINSD_8identityEEEEENSD_19counting_iterator_tIlEES8_S8_S8_S8_S8_S8_S8_S8_EEEEPS9_S9_NSD_9__find_if7functorIS9_EEEE10hipError_tPvRmT1_T2_T3_mT4_P12ihipStream_tbEUlT_E0_NS1_11comp_targetILNS1_3genE8ELNS1_11target_archE1030ELNS1_3gpuE2ELNS1_3repE0EEENS1_30default_config_static_selectorELNS0_4arch9wavefront6targetE1EEEvS14_.kd
    .uniform_work_group_size: 1
    .uses_dynamic_stack: false
    .vgpr_count:     0
    .vgpr_spill_count: 0
    .wavefront_size: 64
  - .agpr_count:     0
    .args:
      - .offset:         0
        .size:           88
        .value_kind:     by_value
    .group_segment_fixed_size: 0
    .kernarg_segment_align: 8
    .kernarg_segment_size: 88
    .language:       OpenCL C
    .language_version:
      - 2
      - 0
    .max_flat_workgroup_size: 128
    .name:           _ZN7rocprim17ROCPRIM_400000_NS6detail17trampoline_kernelINS0_14default_configENS1_22reduce_config_selectorIN6thrust23THRUST_200600_302600_NS5tupleIblNS6_9null_typeES8_S8_S8_S8_S8_S8_S8_EEEEZNS1_11reduce_implILb1ES3_NS6_12zip_iteratorINS7_INS6_11hip_rocprim26transform_input_iterator_tIbNSD_35transform_pair_of_input_iterators_tIbNS6_6detail15normal_iteratorINS6_10device_ptrIKyEEEESL_NS6_8equal_toIyEEEENSG_9not_fun_tINSD_8identityEEEEENSD_19counting_iterator_tIlEES8_S8_S8_S8_S8_S8_S8_S8_EEEEPS9_S9_NSD_9__find_if7functorIS9_EEEE10hipError_tPvRmT1_T2_T3_mT4_P12ihipStream_tbEUlT_E1_NS1_11comp_targetILNS1_3genE0ELNS1_11target_archE4294967295ELNS1_3gpuE0ELNS1_3repE0EEENS1_30default_config_static_selectorELNS0_4arch9wavefront6targetE1EEEvS14_
    .private_segment_fixed_size: 0
    .sgpr_count:     4
    .sgpr_spill_count: 0
    .symbol:         _ZN7rocprim17ROCPRIM_400000_NS6detail17trampoline_kernelINS0_14default_configENS1_22reduce_config_selectorIN6thrust23THRUST_200600_302600_NS5tupleIblNS6_9null_typeES8_S8_S8_S8_S8_S8_S8_EEEEZNS1_11reduce_implILb1ES3_NS6_12zip_iteratorINS7_INS6_11hip_rocprim26transform_input_iterator_tIbNSD_35transform_pair_of_input_iterators_tIbNS6_6detail15normal_iteratorINS6_10device_ptrIKyEEEESL_NS6_8equal_toIyEEEENSG_9not_fun_tINSD_8identityEEEEENSD_19counting_iterator_tIlEES8_S8_S8_S8_S8_S8_S8_S8_EEEEPS9_S9_NSD_9__find_if7functorIS9_EEEE10hipError_tPvRmT1_T2_T3_mT4_P12ihipStream_tbEUlT_E1_NS1_11comp_targetILNS1_3genE0ELNS1_11target_archE4294967295ELNS1_3gpuE0ELNS1_3repE0EEENS1_30default_config_static_selectorELNS0_4arch9wavefront6targetE1EEEvS14_.kd
    .uniform_work_group_size: 1
    .uses_dynamic_stack: false
    .vgpr_count:     0
    .vgpr_spill_count: 0
    .wavefront_size: 64
  - .agpr_count:     0
    .args:
      - .offset:         0
        .size:           88
        .value_kind:     by_value
    .group_segment_fixed_size: 0
    .kernarg_segment_align: 8
    .kernarg_segment_size: 88
    .language:       OpenCL C
    .language_version:
      - 2
      - 0
    .max_flat_workgroup_size: 256
    .name:           _ZN7rocprim17ROCPRIM_400000_NS6detail17trampoline_kernelINS0_14default_configENS1_22reduce_config_selectorIN6thrust23THRUST_200600_302600_NS5tupleIblNS6_9null_typeES8_S8_S8_S8_S8_S8_S8_EEEEZNS1_11reduce_implILb1ES3_NS6_12zip_iteratorINS7_INS6_11hip_rocprim26transform_input_iterator_tIbNSD_35transform_pair_of_input_iterators_tIbNS6_6detail15normal_iteratorINS6_10device_ptrIKyEEEESL_NS6_8equal_toIyEEEENSG_9not_fun_tINSD_8identityEEEEENSD_19counting_iterator_tIlEES8_S8_S8_S8_S8_S8_S8_S8_EEEEPS9_S9_NSD_9__find_if7functorIS9_EEEE10hipError_tPvRmT1_T2_T3_mT4_P12ihipStream_tbEUlT_E1_NS1_11comp_targetILNS1_3genE5ELNS1_11target_archE942ELNS1_3gpuE9ELNS1_3repE0EEENS1_30default_config_static_selectorELNS0_4arch9wavefront6targetE1EEEvS14_
    .private_segment_fixed_size: 0
    .sgpr_count:     4
    .sgpr_spill_count: 0
    .symbol:         _ZN7rocprim17ROCPRIM_400000_NS6detail17trampoline_kernelINS0_14default_configENS1_22reduce_config_selectorIN6thrust23THRUST_200600_302600_NS5tupleIblNS6_9null_typeES8_S8_S8_S8_S8_S8_S8_EEEEZNS1_11reduce_implILb1ES3_NS6_12zip_iteratorINS7_INS6_11hip_rocprim26transform_input_iterator_tIbNSD_35transform_pair_of_input_iterators_tIbNS6_6detail15normal_iteratorINS6_10device_ptrIKyEEEESL_NS6_8equal_toIyEEEENSG_9not_fun_tINSD_8identityEEEEENSD_19counting_iterator_tIlEES8_S8_S8_S8_S8_S8_S8_S8_EEEEPS9_S9_NSD_9__find_if7functorIS9_EEEE10hipError_tPvRmT1_T2_T3_mT4_P12ihipStream_tbEUlT_E1_NS1_11comp_targetILNS1_3genE5ELNS1_11target_archE942ELNS1_3gpuE9ELNS1_3repE0EEENS1_30default_config_static_selectorELNS0_4arch9wavefront6targetE1EEEvS14_.kd
    .uniform_work_group_size: 1
    .uses_dynamic_stack: false
    .vgpr_count:     0
    .vgpr_spill_count: 0
    .wavefront_size: 64
  - .agpr_count:     0
    .args:
      - .offset:         0
        .size:           88
        .value_kind:     by_value
    .group_segment_fixed_size: 320
    .kernarg_segment_align: 8
    .kernarg_segment_size: 88
    .language:       OpenCL C
    .language_version:
      - 2
      - 0
    .max_flat_workgroup_size: 256
    .name:           _ZN7rocprim17ROCPRIM_400000_NS6detail17trampoline_kernelINS0_14default_configENS1_22reduce_config_selectorIN6thrust23THRUST_200600_302600_NS5tupleIblNS6_9null_typeES8_S8_S8_S8_S8_S8_S8_EEEEZNS1_11reduce_implILb1ES3_NS6_12zip_iteratorINS7_INS6_11hip_rocprim26transform_input_iterator_tIbNSD_35transform_pair_of_input_iterators_tIbNS6_6detail15normal_iteratorINS6_10device_ptrIKyEEEESL_NS6_8equal_toIyEEEENSG_9not_fun_tINSD_8identityEEEEENSD_19counting_iterator_tIlEES8_S8_S8_S8_S8_S8_S8_S8_EEEEPS9_S9_NSD_9__find_if7functorIS9_EEEE10hipError_tPvRmT1_T2_T3_mT4_P12ihipStream_tbEUlT_E1_NS1_11comp_targetILNS1_3genE4ELNS1_11target_archE910ELNS1_3gpuE8ELNS1_3repE0EEENS1_30default_config_static_selectorELNS0_4arch9wavefront6targetE1EEEvS14_
    .private_segment_fixed_size: 0
    .sgpr_count:     44
    .sgpr_spill_count: 0
    .symbol:         _ZN7rocprim17ROCPRIM_400000_NS6detail17trampoline_kernelINS0_14default_configENS1_22reduce_config_selectorIN6thrust23THRUST_200600_302600_NS5tupleIblNS6_9null_typeES8_S8_S8_S8_S8_S8_S8_EEEEZNS1_11reduce_implILb1ES3_NS6_12zip_iteratorINS7_INS6_11hip_rocprim26transform_input_iterator_tIbNSD_35transform_pair_of_input_iterators_tIbNS6_6detail15normal_iteratorINS6_10device_ptrIKyEEEESL_NS6_8equal_toIyEEEENSG_9not_fun_tINSD_8identityEEEEENSD_19counting_iterator_tIlEES8_S8_S8_S8_S8_S8_S8_S8_EEEEPS9_S9_NSD_9__find_if7functorIS9_EEEE10hipError_tPvRmT1_T2_T3_mT4_P12ihipStream_tbEUlT_E1_NS1_11comp_targetILNS1_3genE4ELNS1_11target_archE910ELNS1_3gpuE8ELNS1_3repE0EEENS1_30default_config_static_selectorELNS0_4arch9wavefront6targetE1EEEvS14_.kd
    .uniform_work_group_size: 1
    .uses_dynamic_stack: false
    .vgpr_count:     44
    .vgpr_spill_count: 0
    .wavefront_size: 64
  - .agpr_count:     0
    .args:
      - .offset:         0
        .size:           88
        .value_kind:     by_value
    .group_segment_fixed_size: 0
    .kernarg_segment_align: 8
    .kernarg_segment_size: 88
    .language:       OpenCL C
    .language_version:
      - 2
      - 0
    .max_flat_workgroup_size: 128
    .name:           _ZN7rocprim17ROCPRIM_400000_NS6detail17trampoline_kernelINS0_14default_configENS1_22reduce_config_selectorIN6thrust23THRUST_200600_302600_NS5tupleIblNS6_9null_typeES8_S8_S8_S8_S8_S8_S8_EEEEZNS1_11reduce_implILb1ES3_NS6_12zip_iteratorINS7_INS6_11hip_rocprim26transform_input_iterator_tIbNSD_35transform_pair_of_input_iterators_tIbNS6_6detail15normal_iteratorINS6_10device_ptrIKyEEEESL_NS6_8equal_toIyEEEENSG_9not_fun_tINSD_8identityEEEEENSD_19counting_iterator_tIlEES8_S8_S8_S8_S8_S8_S8_S8_EEEEPS9_S9_NSD_9__find_if7functorIS9_EEEE10hipError_tPvRmT1_T2_T3_mT4_P12ihipStream_tbEUlT_E1_NS1_11comp_targetILNS1_3genE3ELNS1_11target_archE908ELNS1_3gpuE7ELNS1_3repE0EEENS1_30default_config_static_selectorELNS0_4arch9wavefront6targetE1EEEvS14_
    .private_segment_fixed_size: 0
    .sgpr_count:     4
    .sgpr_spill_count: 0
    .symbol:         _ZN7rocprim17ROCPRIM_400000_NS6detail17trampoline_kernelINS0_14default_configENS1_22reduce_config_selectorIN6thrust23THRUST_200600_302600_NS5tupleIblNS6_9null_typeES8_S8_S8_S8_S8_S8_S8_EEEEZNS1_11reduce_implILb1ES3_NS6_12zip_iteratorINS7_INS6_11hip_rocprim26transform_input_iterator_tIbNSD_35transform_pair_of_input_iterators_tIbNS6_6detail15normal_iteratorINS6_10device_ptrIKyEEEESL_NS6_8equal_toIyEEEENSG_9not_fun_tINSD_8identityEEEEENSD_19counting_iterator_tIlEES8_S8_S8_S8_S8_S8_S8_S8_EEEEPS9_S9_NSD_9__find_if7functorIS9_EEEE10hipError_tPvRmT1_T2_T3_mT4_P12ihipStream_tbEUlT_E1_NS1_11comp_targetILNS1_3genE3ELNS1_11target_archE908ELNS1_3gpuE7ELNS1_3repE0EEENS1_30default_config_static_selectorELNS0_4arch9wavefront6targetE1EEEvS14_.kd
    .uniform_work_group_size: 1
    .uses_dynamic_stack: false
    .vgpr_count:     0
    .vgpr_spill_count: 0
    .wavefront_size: 64
  - .agpr_count:     0
    .args:
      - .offset:         0
        .size:           88
        .value_kind:     by_value
    .group_segment_fixed_size: 0
    .kernarg_segment_align: 8
    .kernarg_segment_size: 88
    .language:       OpenCL C
    .language_version:
      - 2
      - 0
    .max_flat_workgroup_size: 128
    .name:           _ZN7rocprim17ROCPRIM_400000_NS6detail17trampoline_kernelINS0_14default_configENS1_22reduce_config_selectorIN6thrust23THRUST_200600_302600_NS5tupleIblNS6_9null_typeES8_S8_S8_S8_S8_S8_S8_EEEEZNS1_11reduce_implILb1ES3_NS6_12zip_iteratorINS7_INS6_11hip_rocprim26transform_input_iterator_tIbNSD_35transform_pair_of_input_iterators_tIbNS6_6detail15normal_iteratorINS6_10device_ptrIKyEEEESL_NS6_8equal_toIyEEEENSG_9not_fun_tINSD_8identityEEEEENSD_19counting_iterator_tIlEES8_S8_S8_S8_S8_S8_S8_S8_EEEEPS9_S9_NSD_9__find_if7functorIS9_EEEE10hipError_tPvRmT1_T2_T3_mT4_P12ihipStream_tbEUlT_E1_NS1_11comp_targetILNS1_3genE2ELNS1_11target_archE906ELNS1_3gpuE6ELNS1_3repE0EEENS1_30default_config_static_selectorELNS0_4arch9wavefront6targetE1EEEvS14_
    .private_segment_fixed_size: 0
    .sgpr_count:     4
    .sgpr_spill_count: 0
    .symbol:         _ZN7rocprim17ROCPRIM_400000_NS6detail17trampoline_kernelINS0_14default_configENS1_22reduce_config_selectorIN6thrust23THRUST_200600_302600_NS5tupleIblNS6_9null_typeES8_S8_S8_S8_S8_S8_S8_EEEEZNS1_11reduce_implILb1ES3_NS6_12zip_iteratorINS7_INS6_11hip_rocprim26transform_input_iterator_tIbNSD_35transform_pair_of_input_iterators_tIbNS6_6detail15normal_iteratorINS6_10device_ptrIKyEEEESL_NS6_8equal_toIyEEEENSG_9not_fun_tINSD_8identityEEEEENSD_19counting_iterator_tIlEES8_S8_S8_S8_S8_S8_S8_S8_EEEEPS9_S9_NSD_9__find_if7functorIS9_EEEE10hipError_tPvRmT1_T2_T3_mT4_P12ihipStream_tbEUlT_E1_NS1_11comp_targetILNS1_3genE2ELNS1_11target_archE906ELNS1_3gpuE6ELNS1_3repE0EEENS1_30default_config_static_selectorELNS0_4arch9wavefront6targetE1EEEvS14_.kd
    .uniform_work_group_size: 1
    .uses_dynamic_stack: false
    .vgpr_count:     0
    .vgpr_spill_count: 0
    .wavefront_size: 64
  - .agpr_count:     0
    .args:
      - .offset:         0
        .size:           88
        .value_kind:     by_value
    .group_segment_fixed_size: 0
    .kernarg_segment_align: 8
    .kernarg_segment_size: 88
    .language:       OpenCL C
    .language_version:
      - 2
      - 0
    .max_flat_workgroup_size: 256
    .name:           _ZN7rocprim17ROCPRIM_400000_NS6detail17trampoline_kernelINS0_14default_configENS1_22reduce_config_selectorIN6thrust23THRUST_200600_302600_NS5tupleIblNS6_9null_typeES8_S8_S8_S8_S8_S8_S8_EEEEZNS1_11reduce_implILb1ES3_NS6_12zip_iteratorINS7_INS6_11hip_rocprim26transform_input_iterator_tIbNSD_35transform_pair_of_input_iterators_tIbNS6_6detail15normal_iteratorINS6_10device_ptrIKyEEEESL_NS6_8equal_toIyEEEENSG_9not_fun_tINSD_8identityEEEEENSD_19counting_iterator_tIlEES8_S8_S8_S8_S8_S8_S8_S8_EEEEPS9_S9_NSD_9__find_if7functorIS9_EEEE10hipError_tPvRmT1_T2_T3_mT4_P12ihipStream_tbEUlT_E1_NS1_11comp_targetILNS1_3genE10ELNS1_11target_archE1201ELNS1_3gpuE5ELNS1_3repE0EEENS1_30default_config_static_selectorELNS0_4arch9wavefront6targetE1EEEvS14_
    .private_segment_fixed_size: 0
    .sgpr_count:     4
    .sgpr_spill_count: 0
    .symbol:         _ZN7rocprim17ROCPRIM_400000_NS6detail17trampoline_kernelINS0_14default_configENS1_22reduce_config_selectorIN6thrust23THRUST_200600_302600_NS5tupleIblNS6_9null_typeES8_S8_S8_S8_S8_S8_S8_EEEEZNS1_11reduce_implILb1ES3_NS6_12zip_iteratorINS7_INS6_11hip_rocprim26transform_input_iterator_tIbNSD_35transform_pair_of_input_iterators_tIbNS6_6detail15normal_iteratorINS6_10device_ptrIKyEEEESL_NS6_8equal_toIyEEEENSG_9not_fun_tINSD_8identityEEEEENSD_19counting_iterator_tIlEES8_S8_S8_S8_S8_S8_S8_S8_EEEEPS9_S9_NSD_9__find_if7functorIS9_EEEE10hipError_tPvRmT1_T2_T3_mT4_P12ihipStream_tbEUlT_E1_NS1_11comp_targetILNS1_3genE10ELNS1_11target_archE1201ELNS1_3gpuE5ELNS1_3repE0EEENS1_30default_config_static_selectorELNS0_4arch9wavefront6targetE1EEEvS14_.kd
    .uniform_work_group_size: 1
    .uses_dynamic_stack: false
    .vgpr_count:     0
    .vgpr_spill_count: 0
    .wavefront_size: 64
  - .agpr_count:     0
    .args:
      - .offset:         0
        .size:           88
        .value_kind:     by_value
    .group_segment_fixed_size: 0
    .kernarg_segment_align: 8
    .kernarg_segment_size: 88
    .language:       OpenCL C
    .language_version:
      - 2
      - 0
    .max_flat_workgroup_size: 256
    .name:           _ZN7rocprim17ROCPRIM_400000_NS6detail17trampoline_kernelINS0_14default_configENS1_22reduce_config_selectorIN6thrust23THRUST_200600_302600_NS5tupleIblNS6_9null_typeES8_S8_S8_S8_S8_S8_S8_EEEEZNS1_11reduce_implILb1ES3_NS6_12zip_iteratorINS7_INS6_11hip_rocprim26transform_input_iterator_tIbNSD_35transform_pair_of_input_iterators_tIbNS6_6detail15normal_iteratorINS6_10device_ptrIKyEEEESL_NS6_8equal_toIyEEEENSG_9not_fun_tINSD_8identityEEEEENSD_19counting_iterator_tIlEES8_S8_S8_S8_S8_S8_S8_S8_EEEEPS9_S9_NSD_9__find_if7functorIS9_EEEE10hipError_tPvRmT1_T2_T3_mT4_P12ihipStream_tbEUlT_E1_NS1_11comp_targetILNS1_3genE10ELNS1_11target_archE1200ELNS1_3gpuE4ELNS1_3repE0EEENS1_30default_config_static_selectorELNS0_4arch9wavefront6targetE1EEEvS14_
    .private_segment_fixed_size: 0
    .sgpr_count:     4
    .sgpr_spill_count: 0
    .symbol:         _ZN7rocprim17ROCPRIM_400000_NS6detail17trampoline_kernelINS0_14default_configENS1_22reduce_config_selectorIN6thrust23THRUST_200600_302600_NS5tupleIblNS6_9null_typeES8_S8_S8_S8_S8_S8_S8_EEEEZNS1_11reduce_implILb1ES3_NS6_12zip_iteratorINS7_INS6_11hip_rocprim26transform_input_iterator_tIbNSD_35transform_pair_of_input_iterators_tIbNS6_6detail15normal_iteratorINS6_10device_ptrIKyEEEESL_NS6_8equal_toIyEEEENSG_9not_fun_tINSD_8identityEEEEENSD_19counting_iterator_tIlEES8_S8_S8_S8_S8_S8_S8_S8_EEEEPS9_S9_NSD_9__find_if7functorIS9_EEEE10hipError_tPvRmT1_T2_T3_mT4_P12ihipStream_tbEUlT_E1_NS1_11comp_targetILNS1_3genE10ELNS1_11target_archE1200ELNS1_3gpuE4ELNS1_3repE0EEENS1_30default_config_static_selectorELNS0_4arch9wavefront6targetE1EEEvS14_.kd
    .uniform_work_group_size: 1
    .uses_dynamic_stack: false
    .vgpr_count:     0
    .vgpr_spill_count: 0
    .wavefront_size: 64
  - .agpr_count:     0
    .args:
      - .offset:         0
        .size:           88
        .value_kind:     by_value
    .group_segment_fixed_size: 0
    .kernarg_segment_align: 8
    .kernarg_segment_size: 88
    .language:       OpenCL C
    .language_version:
      - 2
      - 0
    .max_flat_workgroup_size: 256
    .name:           _ZN7rocprim17ROCPRIM_400000_NS6detail17trampoline_kernelINS0_14default_configENS1_22reduce_config_selectorIN6thrust23THRUST_200600_302600_NS5tupleIblNS6_9null_typeES8_S8_S8_S8_S8_S8_S8_EEEEZNS1_11reduce_implILb1ES3_NS6_12zip_iteratorINS7_INS6_11hip_rocprim26transform_input_iterator_tIbNSD_35transform_pair_of_input_iterators_tIbNS6_6detail15normal_iteratorINS6_10device_ptrIKyEEEESL_NS6_8equal_toIyEEEENSG_9not_fun_tINSD_8identityEEEEENSD_19counting_iterator_tIlEES8_S8_S8_S8_S8_S8_S8_S8_EEEEPS9_S9_NSD_9__find_if7functorIS9_EEEE10hipError_tPvRmT1_T2_T3_mT4_P12ihipStream_tbEUlT_E1_NS1_11comp_targetILNS1_3genE9ELNS1_11target_archE1100ELNS1_3gpuE3ELNS1_3repE0EEENS1_30default_config_static_selectorELNS0_4arch9wavefront6targetE1EEEvS14_
    .private_segment_fixed_size: 0
    .sgpr_count:     4
    .sgpr_spill_count: 0
    .symbol:         _ZN7rocprim17ROCPRIM_400000_NS6detail17trampoline_kernelINS0_14default_configENS1_22reduce_config_selectorIN6thrust23THRUST_200600_302600_NS5tupleIblNS6_9null_typeES8_S8_S8_S8_S8_S8_S8_EEEEZNS1_11reduce_implILb1ES3_NS6_12zip_iteratorINS7_INS6_11hip_rocprim26transform_input_iterator_tIbNSD_35transform_pair_of_input_iterators_tIbNS6_6detail15normal_iteratorINS6_10device_ptrIKyEEEESL_NS6_8equal_toIyEEEENSG_9not_fun_tINSD_8identityEEEEENSD_19counting_iterator_tIlEES8_S8_S8_S8_S8_S8_S8_S8_EEEEPS9_S9_NSD_9__find_if7functorIS9_EEEE10hipError_tPvRmT1_T2_T3_mT4_P12ihipStream_tbEUlT_E1_NS1_11comp_targetILNS1_3genE9ELNS1_11target_archE1100ELNS1_3gpuE3ELNS1_3repE0EEENS1_30default_config_static_selectorELNS0_4arch9wavefront6targetE1EEEvS14_.kd
    .uniform_work_group_size: 1
    .uses_dynamic_stack: false
    .vgpr_count:     0
    .vgpr_spill_count: 0
    .wavefront_size: 64
  - .agpr_count:     0
    .args:
      - .offset:         0
        .size:           88
        .value_kind:     by_value
    .group_segment_fixed_size: 0
    .kernarg_segment_align: 8
    .kernarg_segment_size: 88
    .language:       OpenCL C
    .language_version:
      - 2
      - 0
    .max_flat_workgroup_size: 256
    .name:           _ZN7rocprim17ROCPRIM_400000_NS6detail17trampoline_kernelINS0_14default_configENS1_22reduce_config_selectorIN6thrust23THRUST_200600_302600_NS5tupleIblNS6_9null_typeES8_S8_S8_S8_S8_S8_S8_EEEEZNS1_11reduce_implILb1ES3_NS6_12zip_iteratorINS7_INS6_11hip_rocprim26transform_input_iterator_tIbNSD_35transform_pair_of_input_iterators_tIbNS6_6detail15normal_iteratorINS6_10device_ptrIKyEEEESL_NS6_8equal_toIyEEEENSG_9not_fun_tINSD_8identityEEEEENSD_19counting_iterator_tIlEES8_S8_S8_S8_S8_S8_S8_S8_EEEEPS9_S9_NSD_9__find_if7functorIS9_EEEE10hipError_tPvRmT1_T2_T3_mT4_P12ihipStream_tbEUlT_E1_NS1_11comp_targetILNS1_3genE8ELNS1_11target_archE1030ELNS1_3gpuE2ELNS1_3repE0EEENS1_30default_config_static_selectorELNS0_4arch9wavefront6targetE1EEEvS14_
    .private_segment_fixed_size: 0
    .sgpr_count:     4
    .sgpr_spill_count: 0
    .symbol:         _ZN7rocprim17ROCPRIM_400000_NS6detail17trampoline_kernelINS0_14default_configENS1_22reduce_config_selectorIN6thrust23THRUST_200600_302600_NS5tupleIblNS6_9null_typeES8_S8_S8_S8_S8_S8_S8_EEEEZNS1_11reduce_implILb1ES3_NS6_12zip_iteratorINS7_INS6_11hip_rocprim26transform_input_iterator_tIbNSD_35transform_pair_of_input_iterators_tIbNS6_6detail15normal_iteratorINS6_10device_ptrIKyEEEESL_NS6_8equal_toIyEEEENSG_9not_fun_tINSD_8identityEEEEENSD_19counting_iterator_tIlEES8_S8_S8_S8_S8_S8_S8_S8_EEEEPS9_S9_NSD_9__find_if7functorIS9_EEEE10hipError_tPvRmT1_T2_T3_mT4_P12ihipStream_tbEUlT_E1_NS1_11comp_targetILNS1_3genE8ELNS1_11target_archE1030ELNS1_3gpuE2ELNS1_3repE0EEENS1_30default_config_static_selectorELNS0_4arch9wavefront6targetE1EEEvS14_.kd
    .uniform_work_group_size: 1
    .uses_dynamic_stack: false
    .vgpr_count:     0
    .vgpr_spill_count: 0
    .wavefront_size: 64
  - .agpr_count:     0
    .args:
      - .offset:         0
        .size:           16
        .value_kind:     by_value
      - .offset:         16
        .size:           8
        .value_kind:     by_value
      - .offset:         24
        .size:           8
        .value_kind:     by_value
    .group_segment_fixed_size: 0
    .kernarg_segment_align: 8
    .kernarg_segment_size: 32
    .language:       OpenCL C
    .language_version:
      - 2
      - 0
    .max_flat_workgroup_size: 256
    .name:           _ZN6thrust23THRUST_200600_302600_NS11hip_rocprim14__parallel_for6kernelILj256ENS1_20__uninitialized_fill7functorINS0_10device_ptrIjEEjEEmLj1EEEvT0_T1_SA_
    .private_segment_fixed_size: 0
    .sgpr_count:     16
    .sgpr_spill_count: 0
    .symbol:         _ZN6thrust23THRUST_200600_302600_NS11hip_rocprim14__parallel_for6kernelILj256ENS1_20__uninitialized_fill7functorINS0_10device_ptrIjEEjEEmLj1EEEvT0_T1_SA_.kd
    .uniform_work_group_size: 1
    .uses_dynamic_stack: false
    .vgpr_count:     4
    .vgpr_spill_count: 0
    .wavefront_size: 64
  - .agpr_count:     0
    .args:
      - .offset:         0
        .size:           48
        .value_kind:     by_value
    .group_segment_fixed_size: 0
    .kernarg_segment_align: 8
    .kernarg_segment_size: 48
    .language:       OpenCL C
    .language_version:
      - 2
      - 0
    .max_flat_workgroup_size: 256
    .name:           _ZN7rocprim17ROCPRIM_400000_NS6detail17trampoline_kernelINS0_14default_configENS1_21merge_config_selectorIjNS0_10empty_typeEEEZNS1_10merge_implIS3_N6thrust23THRUST_200600_302600_NS6detail15normal_iteratorINS9_10device_ptrIKjEEEESF_NSB_INSC_IjEEEEPS5_SI_SI_NS9_4lessIjEEEE10hipError_tPvRmT0_T1_T2_T3_T4_T5_mmT6_P12ihipStream_tbEUlT_E_NS1_11comp_targetILNS1_3genE0ELNS1_11target_archE4294967295ELNS1_3gpuE0ELNS1_3repE0EEENS1_30default_config_static_selectorELNS0_4arch9wavefront6targetE1EEEvSP_
    .private_segment_fixed_size: 0
    .sgpr_count:     4
    .sgpr_spill_count: 0
    .symbol:         _ZN7rocprim17ROCPRIM_400000_NS6detail17trampoline_kernelINS0_14default_configENS1_21merge_config_selectorIjNS0_10empty_typeEEEZNS1_10merge_implIS3_N6thrust23THRUST_200600_302600_NS6detail15normal_iteratorINS9_10device_ptrIKjEEEESF_NSB_INSC_IjEEEEPS5_SI_SI_NS9_4lessIjEEEE10hipError_tPvRmT0_T1_T2_T3_T4_T5_mmT6_P12ihipStream_tbEUlT_E_NS1_11comp_targetILNS1_3genE0ELNS1_11target_archE4294967295ELNS1_3gpuE0ELNS1_3repE0EEENS1_30default_config_static_selectorELNS0_4arch9wavefront6targetE1EEEvSP_.kd
    .uniform_work_group_size: 1
    .uses_dynamic_stack: false
    .vgpr_count:     0
    .vgpr_spill_count: 0
    .wavefront_size: 64
  - .agpr_count:     0
    .args:
      - .offset:         0
        .size:           48
        .value_kind:     by_value
    .group_segment_fixed_size: 0
    .kernarg_segment_align: 8
    .kernarg_segment_size: 48
    .language:       OpenCL C
    .language_version:
      - 2
      - 0
    .max_flat_workgroup_size: 256
    .name:           _ZN7rocprim17ROCPRIM_400000_NS6detail17trampoline_kernelINS0_14default_configENS1_21merge_config_selectorIjNS0_10empty_typeEEEZNS1_10merge_implIS3_N6thrust23THRUST_200600_302600_NS6detail15normal_iteratorINS9_10device_ptrIKjEEEESF_NSB_INSC_IjEEEEPS5_SI_SI_NS9_4lessIjEEEE10hipError_tPvRmT0_T1_T2_T3_T4_T5_mmT6_P12ihipStream_tbEUlT_E_NS1_11comp_targetILNS1_3genE5ELNS1_11target_archE942ELNS1_3gpuE9ELNS1_3repE0EEENS1_30default_config_static_selectorELNS0_4arch9wavefront6targetE1EEEvSP_
    .private_segment_fixed_size: 0
    .sgpr_count:     4
    .sgpr_spill_count: 0
    .symbol:         _ZN7rocprim17ROCPRIM_400000_NS6detail17trampoline_kernelINS0_14default_configENS1_21merge_config_selectorIjNS0_10empty_typeEEEZNS1_10merge_implIS3_N6thrust23THRUST_200600_302600_NS6detail15normal_iteratorINS9_10device_ptrIKjEEEESF_NSB_INSC_IjEEEEPS5_SI_SI_NS9_4lessIjEEEE10hipError_tPvRmT0_T1_T2_T3_T4_T5_mmT6_P12ihipStream_tbEUlT_E_NS1_11comp_targetILNS1_3genE5ELNS1_11target_archE942ELNS1_3gpuE9ELNS1_3repE0EEENS1_30default_config_static_selectorELNS0_4arch9wavefront6targetE1EEEvSP_.kd
    .uniform_work_group_size: 1
    .uses_dynamic_stack: false
    .vgpr_count:     0
    .vgpr_spill_count: 0
    .wavefront_size: 64
  - .agpr_count:     0
    .args:
      - .offset:         0
        .size:           48
        .value_kind:     by_value
      - .offset:         48
        .size:           4
        .value_kind:     hidden_block_count_x
      - .offset:         52
        .size:           4
        .value_kind:     hidden_block_count_y
      - .offset:         56
        .size:           4
        .value_kind:     hidden_block_count_z
      - .offset:         60
        .size:           2
        .value_kind:     hidden_group_size_x
      - .offset:         62
        .size:           2
        .value_kind:     hidden_group_size_y
      - .offset:         64
        .size:           2
        .value_kind:     hidden_group_size_z
      - .offset:         66
        .size:           2
        .value_kind:     hidden_remainder_x
      - .offset:         68
        .size:           2
        .value_kind:     hidden_remainder_y
      - .offset:         70
        .size:           2
        .value_kind:     hidden_remainder_z
      - .offset:         88
        .size:           8
        .value_kind:     hidden_global_offset_x
      - .offset:         96
        .size:           8
        .value_kind:     hidden_global_offset_y
      - .offset:         104
        .size:           8
        .value_kind:     hidden_global_offset_z
      - .offset:         112
        .size:           2
        .value_kind:     hidden_grid_dims
    .group_segment_fixed_size: 0
    .kernarg_segment_align: 8
    .kernarg_segment_size: 304
    .language:       OpenCL C
    .language_version:
      - 2
      - 0
    .max_flat_workgroup_size: 256
    .name:           _ZN7rocprim17ROCPRIM_400000_NS6detail17trampoline_kernelINS0_14default_configENS1_21merge_config_selectorIjNS0_10empty_typeEEEZNS1_10merge_implIS3_N6thrust23THRUST_200600_302600_NS6detail15normal_iteratorINS9_10device_ptrIKjEEEESF_NSB_INSC_IjEEEEPS5_SI_SI_NS9_4lessIjEEEE10hipError_tPvRmT0_T1_T2_T3_T4_T5_mmT6_P12ihipStream_tbEUlT_E_NS1_11comp_targetILNS1_3genE4ELNS1_11target_archE910ELNS1_3gpuE8ELNS1_3repE0EEENS1_30default_config_static_selectorELNS0_4arch9wavefront6targetE1EEEvSP_
    .private_segment_fixed_size: 0
    .sgpr_count:     18
    .sgpr_spill_count: 0
    .symbol:         _ZN7rocprim17ROCPRIM_400000_NS6detail17trampoline_kernelINS0_14default_configENS1_21merge_config_selectorIjNS0_10empty_typeEEEZNS1_10merge_implIS3_N6thrust23THRUST_200600_302600_NS6detail15normal_iteratorINS9_10device_ptrIKjEEEESF_NSB_INSC_IjEEEEPS5_SI_SI_NS9_4lessIjEEEE10hipError_tPvRmT0_T1_T2_T3_T4_T5_mmT6_P12ihipStream_tbEUlT_E_NS1_11comp_targetILNS1_3genE4ELNS1_11target_archE910ELNS1_3gpuE8ELNS1_3repE0EEENS1_30default_config_static_selectorELNS0_4arch9wavefront6targetE1EEEvSP_.kd
    .uniform_work_group_size: 1
    .uses_dynamic_stack: false
    .vgpr_count:     14
    .vgpr_spill_count: 0
    .wavefront_size: 64
  - .agpr_count:     0
    .args:
      - .offset:         0
        .size:           48
        .value_kind:     by_value
    .group_segment_fixed_size: 0
    .kernarg_segment_align: 8
    .kernarg_segment_size: 48
    .language:       OpenCL C
    .language_version:
      - 2
      - 0
    .max_flat_workgroup_size: 256
    .name:           _ZN7rocprim17ROCPRIM_400000_NS6detail17trampoline_kernelINS0_14default_configENS1_21merge_config_selectorIjNS0_10empty_typeEEEZNS1_10merge_implIS3_N6thrust23THRUST_200600_302600_NS6detail15normal_iteratorINS9_10device_ptrIKjEEEESF_NSB_INSC_IjEEEEPS5_SI_SI_NS9_4lessIjEEEE10hipError_tPvRmT0_T1_T2_T3_T4_T5_mmT6_P12ihipStream_tbEUlT_E_NS1_11comp_targetILNS1_3genE3ELNS1_11target_archE908ELNS1_3gpuE7ELNS1_3repE0EEENS1_30default_config_static_selectorELNS0_4arch9wavefront6targetE1EEEvSP_
    .private_segment_fixed_size: 0
    .sgpr_count:     4
    .sgpr_spill_count: 0
    .symbol:         _ZN7rocprim17ROCPRIM_400000_NS6detail17trampoline_kernelINS0_14default_configENS1_21merge_config_selectorIjNS0_10empty_typeEEEZNS1_10merge_implIS3_N6thrust23THRUST_200600_302600_NS6detail15normal_iteratorINS9_10device_ptrIKjEEEESF_NSB_INSC_IjEEEEPS5_SI_SI_NS9_4lessIjEEEE10hipError_tPvRmT0_T1_T2_T3_T4_T5_mmT6_P12ihipStream_tbEUlT_E_NS1_11comp_targetILNS1_3genE3ELNS1_11target_archE908ELNS1_3gpuE7ELNS1_3repE0EEENS1_30default_config_static_selectorELNS0_4arch9wavefront6targetE1EEEvSP_.kd
    .uniform_work_group_size: 1
    .uses_dynamic_stack: false
    .vgpr_count:     0
    .vgpr_spill_count: 0
    .wavefront_size: 64
  - .agpr_count:     0
    .args:
      - .offset:         0
        .size:           48
        .value_kind:     by_value
    .group_segment_fixed_size: 0
    .kernarg_segment_align: 8
    .kernarg_segment_size: 48
    .language:       OpenCL C
    .language_version:
      - 2
      - 0
    .max_flat_workgroup_size: 256
    .name:           _ZN7rocprim17ROCPRIM_400000_NS6detail17trampoline_kernelINS0_14default_configENS1_21merge_config_selectorIjNS0_10empty_typeEEEZNS1_10merge_implIS3_N6thrust23THRUST_200600_302600_NS6detail15normal_iteratorINS9_10device_ptrIKjEEEESF_NSB_INSC_IjEEEEPS5_SI_SI_NS9_4lessIjEEEE10hipError_tPvRmT0_T1_T2_T3_T4_T5_mmT6_P12ihipStream_tbEUlT_E_NS1_11comp_targetILNS1_3genE2ELNS1_11target_archE906ELNS1_3gpuE6ELNS1_3repE0EEENS1_30default_config_static_selectorELNS0_4arch9wavefront6targetE1EEEvSP_
    .private_segment_fixed_size: 0
    .sgpr_count:     4
    .sgpr_spill_count: 0
    .symbol:         _ZN7rocprim17ROCPRIM_400000_NS6detail17trampoline_kernelINS0_14default_configENS1_21merge_config_selectorIjNS0_10empty_typeEEEZNS1_10merge_implIS3_N6thrust23THRUST_200600_302600_NS6detail15normal_iteratorINS9_10device_ptrIKjEEEESF_NSB_INSC_IjEEEEPS5_SI_SI_NS9_4lessIjEEEE10hipError_tPvRmT0_T1_T2_T3_T4_T5_mmT6_P12ihipStream_tbEUlT_E_NS1_11comp_targetILNS1_3genE2ELNS1_11target_archE906ELNS1_3gpuE6ELNS1_3repE0EEENS1_30default_config_static_selectorELNS0_4arch9wavefront6targetE1EEEvSP_.kd
    .uniform_work_group_size: 1
    .uses_dynamic_stack: false
    .vgpr_count:     0
    .vgpr_spill_count: 0
    .wavefront_size: 64
  - .agpr_count:     0
    .args:
      - .offset:         0
        .size:           48
        .value_kind:     by_value
    .group_segment_fixed_size: 0
    .kernarg_segment_align: 8
    .kernarg_segment_size: 48
    .language:       OpenCL C
    .language_version:
      - 2
      - 0
    .max_flat_workgroup_size: 1024
    .name:           _ZN7rocprim17ROCPRIM_400000_NS6detail17trampoline_kernelINS0_14default_configENS1_21merge_config_selectorIjNS0_10empty_typeEEEZNS1_10merge_implIS3_N6thrust23THRUST_200600_302600_NS6detail15normal_iteratorINS9_10device_ptrIKjEEEESF_NSB_INSC_IjEEEEPS5_SI_SI_NS9_4lessIjEEEE10hipError_tPvRmT0_T1_T2_T3_T4_T5_mmT6_P12ihipStream_tbEUlT_E_NS1_11comp_targetILNS1_3genE10ELNS1_11target_archE1201ELNS1_3gpuE5ELNS1_3repE0EEENS1_30default_config_static_selectorELNS0_4arch9wavefront6targetE1EEEvSP_
    .private_segment_fixed_size: 0
    .sgpr_count:     4
    .sgpr_spill_count: 0
    .symbol:         _ZN7rocprim17ROCPRIM_400000_NS6detail17trampoline_kernelINS0_14default_configENS1_21merge_config_selectorIjNS0_10empty_typeEEEZNS1_10merge_implIS3_N6thrust23THRUST_200600_302600_NS6detail15normal_iteratorINS9_10device_ptrIKjEEEESF_NSB_INSC_IjEEEEPS5_SI_SI_NS9_4lessIjEEEE10hipError_tPvRmT0_T1_T2_T3_T4_T5_mmT6_P12ihipStream_tbEUlT_E_NS1_11comp_targetILNS1_3genE10ELNS1_11target_archE1201ELNS1_3gpuE5ELNS1_3repE0EEENS1_30default_config_static_selectorELNS0_4arch9wavefront6targetE1EEEvSP_.kd
    .uniform_work_group_size: 1
    .uses_dynamic_stack: false
    .vgpr_count:     0
    .vgpr_spill_count: 0
    .wavefront_size: 64
  - .agpr_count:     0
    .args:
      - .offset:         0
        .size:           48
        .value_kind:     by_value
    .group_segment_fixed_size: 0
    .kernarg_segment_align: 8
    .kernarg_segment_size: 48
    .language:       OpenCL C
    .language_version:
      - 2
      - 0
    .max_flat_workgroup_size: 1024
    .name:           _ZN7rocprim17ROCPRIM_400000_NS6detail17trampoline_kernelINS0_14default_configENS1_21merge_config_selectorIjNS0_10empty_typeEEEZNS1_10merge_implIS3_N6thrust23THRUST_200600_302600_NS6detail15normal_iteratorINS9_10device_ptrIKjEEEESF_NSB_INSC_IjEEEEPS5_SI_SI_NS9_4lessIjEEEE10hipError_tPvRmT0_T1_T2_T3_T4_T5_mmT6_P12ihipStream_tbEUlT_E_NS1_11comp_targetILNS1_3genE10ELNS1_11target_archE1200ELNS1_3gpuE4ELNS1_3repE0EEENS1_30default_config_static_selectorELNS0_4arch9wavefront6targetE1EEEvSP_
    .private_segment_fixed_size: 0
    .sgpr_count:     4
    .sgpr_spill_count: 0
    .symbol:         _ZN7rocprim17ROCPRIM_400000_NS6detail17trampoline_kernelINS0_14default_configENS1_21merge_config_selectorIjNS0_10empty_typeEEEZNS1_10merge_implIS3_N6thrust23THRUST_200600_302600_NS6detail15normal_iteratorINS9_10device_ptrIKjEEEESF_NSB_INSC_IjEEEEPS5_SI_SI_NS9_4lessIjEEEE10hipError_tPvRmT0_T1_T2_T3_T4_T5_mmT6_P12ihipStream_tbEUlT_E_NS1_11comp_targetILNS1_3genE10ELNS1_11target_archE1200ELNS1_3gpuE4ELNS1_3repE0EEENS1_30default_config_static_selectorELNS0_4arch9wavefront6targetE1EEEvSP_.kd
    .uniform_work_group_size: 1
    .uses_dynamic_stack: false
    .vgpr_count:     0
    .vgpr_spill_count: 0
    .wavefront_size: 64
  - .agpr_count:     0
    .args:
      - .offset:         0
        .size:           48
        .value_kind:     by_value
    .group_segment_fixed_size: 0
    .kernarg_segment_align: 8
    .kernarg_segment_size: 48
    .language:       OpenCL C
    .language_version:
      - 2
      - 0
    .max_flat_workgroup_size: 1024
    .name:           _ZN7rocprim17ROCPRIM_400000_NS6detail17trampoline_kernelINS0_14default_configENS1_21merge_config_selectorIjNS0_10empty_typeEEEZNS1_10merge_implIS3_N6thrust23THRUST_200600_302600_NS6detail15normal_iteratorINS9_10device_ptrIKjEEEESF_NSB_INSC_IjEEEEPS5_SI_SI_NS9_4lessIjEEEE10hipError_tPvRmT0_T1_T2_T3_T4_T5_mmT6_P12ihipStream_tbEUlT_E_NS1_11comp_targetILNS1_3genE9ELNS1_11target_archE1100ELNS1_3gpuE3ELNS1_3repE0EEENS1_30default_config_static_selectorELNS0_4arch9wavefront6targetE1EEEvSP_
    .private_segment_fixed_size: 0
    .sgpr_count:     4
    .sgpr_spill_count: 0
    .symbol:         _ZN7rocprim17ROCPRIM_400000_NS6detail17trampoline_kernelINS0_14default_configENS1_21merge_config_selectorIjNS0_10empty_typeEEEZNS1_10merge_implIS3_N6thrust23THRUST_200600_302600_NS6detail15normal_iteratorINS9_10device_ptrIKjEEEESF_NSB_INSC_IjEEEEPS5_SI_SI_NS9_4lessIjEEEE10hipError_tPvRmT0_T1_T2_T3_T4_T5_mmT6_P12ihipStream_tbEUlT_E_NS1_11comp_targetILNS1_3genE9ELNS1_11target_archE1100ELNS1_3gpuE3ELNS1_3repE0EEENS1_30default_config_static_selectorELNS0_4arch9wavefront6targetE1EEEvSP_.kd
    .uniform_work_group_size: 1
    .uses_dynamic_stack: false
    .vgpr_count:     0
    .vgpr_spill_count: 0
    .wavefront_size: 64
  - .agpr_count:     0
    .args:
      - .offset:         0
        .size:           48
        .value_kind:     by_value
    .group_segment_fixed_size: 0
    .kernarg_segment_align: 8
    .kernarg_segment_size: 48
    .language:       OpenCL C
    .language_version:
      - 2
      - 0
    .max_flat_workgroup_size: 1024
    .name:           _ZN7rocprim17ROCPRIM_400000_NS6detail17trampoline_kernelINS0_14default_configENS1_21merge_config_selectorIjNS0_10empty_typeEEEZNS1_10merge_implIS3_N6thrust23THRUST_200600_302600_NS6detail15normal_iteratorINS9_10device_ptrIKjEEEESF_NSB_INSC_IjEEEEPS5_SI_SI_NS9_4lessIjEEEE10hipError_tPvRmT0_T1_T2_T3_T4_T5_mmT6_P12ihipStream_tbEUlT_E_NS1_11comp_targetILNS1_3genE8ELNS1_11target_archE1030ELNS1_3gpuE2ELNS1_3repE0EEENS1_30default_config_static_selectorELNS0_4arch9wavefront6targetE1EEEvSP_
    .private_segment_fixed_size: 0
    .sgpr_count:     4
    .sgpr_spill_count: 0
    .symbol:         _ZN7rocprim17ROCPRIM_400000_NS6detail17trampoline_kernelINS0_14default_configENS1_21merge_config_selectorIjNS0_10empty_typeEEEZNS1_10merge_implIS3_N6thrust23THRUST_200600_302600_NS6detail15normal_iteratorINS9_10device_ptrIKjEEEESF_NSB_INSC_IjEEEEPS5_SI_SI_NS9_4lessIjEEEE10hipError_tPvRmT0_T1_T2_T3_T4_T5_mmT6_P12ihipStream_tbEUlT_E_NS1_11comp_targetILNS1_3genE8ELNS1_11target_archE1030ELNS1_3gpuE2ELNS1_3repE0EEENS1_30default_config_static_selectorELNS0_4arch9wavefront6targetE1EEEvSP_.kd
    .uniform_work_group_size: 1
    .uses_dynamic_stack: false
    .vgpr_count:     0
    .vgpr_spill_count: 0
    .wavefront_size: 64
  - .agpr_count:     0
    .args:
      - .offset:         0
        .size:           88
        .value_kind:     by_value
    .group_segment_fixed_size: 0
    .kernarg_segment_align: 8
    .kernarg_segment_size: 88
    .language:       OpenCL C
    .language_version:
      - 2
      - 0
    .max_flat_workgroup_size: 256
    .name:           _ZN7rocprim17ROCPRIM_400000_NS6detail17trampoline_kernelINS0_14default_configENS1_21merge_config_selectorIjNS0_10empty_typeEEEZNS1_10merge_implIS3_N6thrust23THRUST_200600_302600_NS6detail15normal_iteratorINS9_10device_ptrIKjEEEESF_NSB_INSC_IjEEEEPS5_SI_SI_NS9_4lessIjEEEE10hipError_tPvRmT0_T1_T2_T3_T4_T5_mmT6_P12ihipStream_tbEUlT_E0_NS1_11comp_targetILNS1_3genE0ELNS1_11target_archE4294967295ELNS1_3gpuE0ELNS1_3repE0EEENS1_30default_config_static_selectorELNS0_4arch9wavefront6targetE1EEEvSP_
    .private_segment_fixed_size: 0
    .sgpr_count:     4
    .sgpr_spill_count: 0
    .symbol:         _ZN7rocprim17ROCPRIM_400000_NS6detail17trampoline_kernelINS0_14default_configENS1_21merge_config_selectorIjNS0_10empty_typeEEEZNS1_10merge_implIS3_N6thrust23THRUST_200600_302600_NS6detail15normal_iteratorINS9_10device_ptrIKjEEEESF_NSB_INSC_IjEEEEPS5_SI_SI_NS9_4lessIjEEEE10hipError_tPvRmT0_T1_T2_T3_T4_T5_mmT6_P12ihipStream_tbEUlT_E0_NS1_11comp_targetILNS1_3genE0ELNS1_11target_archE4294967295ELNS1_3gpuE0ELNS1_3repE0EEENS1_30default_config_static_selectorELNS0_4arch9wavefront6targetE1EEEvSP_.kd
    .uniform_work_group_size: 1
    .uses_dynamic_stack: false
    .vgpr_count:     0
    .vgpr_spill_count: 0
    .wavefront_size: 64
  - .agpr_count:     0
    .args:
      - .offset:         0
        .size:           88
        .value_kind:     by_value
    .group_segment_fixed_size: 0
    .kernarg_segment_align: 8
    .kernarg_segment_size: 88
    .language:       OpenCL C
    .language_version:
      - 2
      - 0
    .max_flat_workgroup_size: 256
    .name:           _ZN7rocprim17ROCPRIM_400000_NS6detail17trampoline_kernelINS0_14default_configENS1_21merge_config_selectorIjNS0_10empty_typeEEEZNS1_10merge_implIS3_N6thrust23THRUST_200600_302600_NS6detail15normal_iteratorINS9_10device_ptrIKjEEEESF_NSB_INSC_IjEEEEPS5_SI_SI_NS9_4lessIjEEEE10hipError_tPvRmT0_T1_T2_T3_T4_T5_mmT6_P12ihipStream_tbEUlT_E0_NS1_11comp_targetILNS1_3genE5ELNS1_11target_archE942ELNS1_3gpuE9ELNS1_3repE0EEENS1_30default_config_static_selectorELNS0_4arch9wavefront6targetE1EEEvSP_
    .private_segment_fixed_size: 0
    .sgpr_count:     4
    .sgpr_spill_count: 0
    .symbol:         _ZN7rocprim17ROCPRIM_400000_NS6detail17trampoline_kernelINS0_14default_configENS1_21merge_config_selectorIjNS0_10empty_typeEEEZNS1_10merge_implIS3_N6thrust23THRUST_200600_302600_NS6detail15normal_iteratorINS9_10device_ptrIKjEEEESF_NSB_INSC_IjEEEEPS5_SI_SI_NS9_4lessIjEEEE10hipError_tPvRmT0_T1_T2_T3_T4_T5_mmT6_P12ihipStream_tbEUlT_E0_NS1_11comp_targetILNS1_3genE5ELNS1_11target_archE942ELNS1_3gpuE9ELNS1_3repE0EEENS1_30default_config_static_selectorELNS0_4arch9wavefront6targetE1EEEvSP_.kd
    .uniform_work_group_size: 1
    .uses_dynamic_stack: false
    .vgpr_count:     0
    .vgpr_spill_count: 0
    .wavefront_size: 64
  - .agpr_count:     0
    .args:
      - .offset:         0
        .size:           88
        .value_kind:     by_value
    .group_segment_fixed_size: 10256
    .kernarg_segment_align: 8
    .kernarg_segment_size: 88
    .language:       OpenCL C
    .language_version:
      - 2
      - 0
    .max_flat_workgroup_size: 256
    .name:           _ZN7rocprim17ROCPRIM_400000_NS6detail17trampoline_kernelINS0_14default_configENS1_21merge_config_selectorIjNS0_10empty_typeEEEZNS1_10merge_implIS3_N6thrust23THRUST_200600_302600_NS6detail15normal_iteratorINS9_10device_ptrIKjEEEESF_NSB_INSC_IjEEEEPS5_SI_SI_NS9_4lessIjEEEE10hipError_tPvRmT0_T1_T2_T3_T4_T5_mmT6_P12ihipStream_tbEUlT_E0_NS1_11comp_targetILNS1_3genE4ELNS1_11target_archE910ELNS1_3gpuE8ELNS1_3repE0EEENS1_30default_config_static_selectorELNS0_4arch9wavefront6targetE1EEEvSP_
    .private_segment_fixed_size: 0
    .sgpr_count:     28
    .sgpr_spill_count: 0
    .symbol:         _ZN7rocprim17ROCPRIM_400000_NS6detail17trampoline_kernelINS0_14default_configENS1_21merge_config_selectorIjNS0_10empty_typeEEEZNS1_10merge_implIS3_N6thrust23THRUST_200600_302600_NS6detail15normal_iteratorINS9_10device_ptrIKjEEEESF_NSB_INSC_IjEEEEPS5_SI_SI_NS9_4lessIjEEEE10hipError_tPvRmT0_T1_T2_T3_T4_T5_mmT6_P12ihipStream_tbEUlT_E0_NS1_11comp_targetILNS1_3genE4ELNS1_11target_archE910ELNS1_3gpuE8ELNS1_3repE0EEENS1_30default_config_static_selectorELNS0_4arch9wavefront6targetE1EEEvSP_.kd
    .uniform_work_group_size: 1
    .uses_dynamic_stack: false
    .vgpr_count:     36
    .vgpr_spill_count: 0
    .wavefront_size: 64
  - .agpr_count:     0
    .args:
      - .offset:         0
        .size:           88
        .value_kind:     by_value
    .group_segment_fixed_size: 0
    .kernarg_segment_align: 8
    .kernarg_segment_size: 88
    .language:       OpenCL C
    .language_version:
      - 2
      - 0
    .max_flat_workgroup_size: 256
    .name:           _ZN7rocprim17ROCPRIM_400000_NS6detail17trampoline_kernelINS0_14default_configENS1_21merge_config_selectorIjNS0_10empty_typeEEEZNS1_10merge_implIS3_N6thrust23THRUST_200600_302600_NS6detail15normal_iteratorINS9_10device_ptrIKjEEEESF_NSB_INSC_IjEEEEPS5_SI_SI_NS9_4lessIjEEEE10hipError_tPvRmT0_T1_T2_T3_T4_T5_mmT6_P12ihipStream_tbEUlT_E0_NS1_11comp_targetILNS1_3genE3ELNS1_11target_archE908ELNS1_3gpuE7ELNS1_3repE0EEENS1_30default_config_static_selectorELNS0_4arch9wavefront6targetE1EEEvSP_
    .private_segment_fixed_size: 0
    .sgpr_count:     4
    .sgpr_spill_count: 0
    .symbol:         _ZN7rocprim17ROCPRIM_400000_NS6detail17trampoline_kernelINS0_14default_configENS1_21merge_config_selectorIjNS0_10empty_typeEEEZNS1_10merge_implIS3_N6thrust23THRUST_200600_302600_NS6detail15normal_iteratorINS9_10device_ptrIKjEEEESF_NSB_INSC_IjEEEEPS5_SI_SI_NS9_4lessIjEEEE10hipError_tPvRmT0_T1_T2_T3_T4_T5_mmT6_P12ihipStream_tbEUlT_E0_NS1_11comp_targetILNS1_3genE3ELNS1_11target_archE908ELNS1_3gpuE7ELNS1_3repE0EEENS1_30default_config_static_selectorELNS0_4arch9wavefront6targetE1EEEvSP_.kd
    .uniform_work_group_size: 1
    .uses_dynamic_stack: false
    .vgpr_count:     0
    .vgpr_spill_count: 0
    .wavefront_size: 64
  - .agpr_count:     0
    .args:
      - .offset:         0
        .size:           88
        .value_kind:     by_value
    .group_segment_fixed_size: 0
    .kernarg_segment_align: 8
    .kernarg_segment_size: 88
    .language:       OpenCL C
    .language_version:
      - 2
      - 0
    .max_flat_workgroup_size: 256
    .name:           _ZN7rocprim17ROCPRIM_400000_NS6detail17trampoline_kernelINS0_14default_configENS1_21merge_config_selectorIjNS0_10empty_typeEEEZNS1_10merge_implIS3_N6thrust23THRUST_200600_302600_NS6detail15normal_iteratorINS9_10device_ptrIKjEEEESF_NSB_INSC_IjEEEEPS5_SI_SI_NS9_4lessIjEEEE10hipError_tPvRmT0_T1_T2_T3_T4_T5_mmT6_P12ihipStream_tbEUlT_E0_NS1_11comp_targetILNS1_3genE2ELNS1_11target_archE906ELNS1_3gpuE6ELNS1_3repE0EEENS1_30default_config_static_selectorELNS0_4arch9wavefront6targetE1EEEvSP_
    .private_segment_fixed_size: 0
    .sgpr_count:     4
    .sgpr_spill_count: 0
    .symbol:         _ZN7rocprim17ROCPRIM_400000_NS6detail17trampoline_kernelINS0_14default_configENS1_21merge_config_selectorIjNS0_10empty_typeEEEZNS1_10merge_implIS3_N6thrust23THRUST_200600_302600_NS6detail15normal_iteratorINS9_10device_ptrIKjEEEESF_NSB_INSC_IjEEEEPS5_SI_SI_NS9_4lessIjEEEE10hipError_tPvRmT0_T1_T2_T3_T4_T5_mmT6_P12ihipStream_tbEUlT_E0_NS1_11comp_targetILNS1_3genE2ELNS1_11target_archE906ELNS1_3gpuE6ELNS1_3repE0EEENS1_30default_config_static_selectorELNS0_4arch9wavefront6targetE1EEEvSP_.kd
    .uniform_work_group_size: 1
    .uses_dynamic_stack: false
    .vgpr_count:     0
    .vgpr_spill_count: 0
    .wavefront_size: 64
  - .agpr_count:     0
    .args:
      - .offset:         0
        .size:           88
        .value_kind:     by_value
    .group_segment_fixed_size: 0
    .kernarg_segment_align: 8
    .kernarg_segment_size: 88
    .language:       OpenCL C
    .language_version:
      - 2
      - 0
    .max_flat_workgroup_size: 1024
    .name:           _ZN7rocprim17ROCPRIM_400000_NS6detail17trampoline_kernelINS0_14default_configENS1_21merge_config_selectorIjNS0_10empty_typeEEEZNS1_10merge_implIS3_N6thrust23THRUST_200600_302600_NS6detail15normal_iteratorINS9_10device_ptrIKjEEEESF_NSB_INSC_IjEEEEPS5_SI_SI_NS9_4lessIjEEEE10hipError_tPvRmT0_T1_T2_T3_T4_T5_mmT6_P12ihipStream_tbEUlT_E0_NS1_11comp_targetILNS1_3genE10ELNS1_11target_archE1201ELNS1_3gpuE5ELNS1_3repE0EEENS1_30default_config_static_selectorELNS0_4arch9wavefront6targetE1EEEvSP_
    .private_segment_fixed_size: 0
    .sgpr_count:     4
    .sgpr_spill_count: 0
    .symbol:         _ZN7rocprim17ROCPRIM_400000_NS6detail17trampoline_kernelINS0_14default_configENS1_21merge_config_selectorIjNS0_10empty_typeEEEZNS1_10merge_implIS3_N6thrust23THRUST_200600_302600_NS6detail15normal_iteratorINS9_10device_ptrIKjEEEESF_NSB_INSC_IjEEEEPS5_SI_SI_NS9_4lessIjEEEE10hipError_tPvRmT0_T1_T2_T3_T4_T5_mmT6_P12ihipStream_tbEUlT_E0_NS1_11comp_targetILNS1_3genE10ELNS1_11target_archE1201ELNS1_3gpuE5ELNS1_3repE0EEENS1_30default_config_static_selectorELNS0_4arch9wavefront6targetE1EEEvSP_.kd
    .uniform_work_group_size: 1
    .uses_dynamic_stack: false
    .vgpr_count:     0
    .vgpr_spill_count: 0
    .wavefront_size: 64
  - .agpr_count:     0
    .args:
      - .offset:         0
        .size:           88
        .value_kind:     by_value
    .group_segment_fixed_size: 0
    .kernarg_segment_align: 8
    .kernarg_segment_size: 88
    .language:       OpenCL C
    .language_version:
      - 2
      - 0
    .max_flat_workgroup_size: 1024
    .name:           _ZN7rocprim17ROCPRIM_400000_NS6detail17trampoline_kernelINS0_14default_configENS1_21merge_config_selectorIjNS0_10empty_typeEEEZNS1_10merge_implIS3_N6thrust23THRUST_200600_302600_NS6detail15normal_iteratorINS9_10device_ptrIKjEEEESF_NSB_INSC_IjEEEEPS5_SI_SI_NS9_4lessIjEEEE10hipError_tPvRmT0_T1_T2_T3_T4_T5_mmT6_P12ihipStream_tbEUlT_E0_NS1_11comp_targetILNS1_3genE10ELNS1_11target_archE1200ELNS1_3gpuE4ELNS1_3repE0EEENS1_30default_config_static_selectorELNS0_4arch9wavefront6targetE1EEEvSP_
    .private_segment_fixed_size: 0
    .sgpr_count:     4
    .sgpr_spill_count: 0
    .symbol:         _ZN7rocprim17ROCPRIM_400000_NS6detail17trampoline_kernelINS0_14default_configENS1_21merge_config_selectorIjNS0_10empty_typeEEEZNS1_10merge_implIS3_N6thrust23THRUST_200600_302600_NS6detail15normal_iteratorINS9_10device_ptrIKjEEEESF_NSB_INSC_IjEEEEPS5_SI_SI_NS9_4lessIjEEEE10hipError_tPvRmT0_T1_T2_T3_T4_T5_mmT6_P12ihipStream_tbEUlT_E0_NS1_11comp_targetILNS1_3genE10ELNS1_11target_archE1200ELNS1_3gpuE4ELNS1_3repE0EEENS1_30default_config_static_selectorELNS0_4arch9wavefront6targetE1EEEvSP_.kd
    .uniform_work_group_size: 1
    .uses_dynamic_stack: false
    .vgpr_count:     0
    .vgpr_spill_count: 0
    .wavefront_size: 64
  - .agpr_count:     0
    .args:
      - .offset:         0
        .size:           88
        .value_kind:     by_value
    .group_segment_fixed_size: 0
    .kernarg_segment_align: 8
    .kernarg_segment_size: 88
    .language:       OpenCL C
    .language_version:
      - 2
      - 0
    .max_flat_workgroup_size: 1024
    .name:           _ZN7rocprim17ROCPRIM_400000_NS6detail17trampoline_kernelINS0_14default_configENS1_21merge_config_selectorIjNS0_10empty_typeEEEZNS1_10merge_implIS3_N6thrust23THRUST_200600_302600_NS6detail15normal_iteratorINS9_10device_ptrIKjEEEESF_NSB_INSC_IjEEEEPS5_SI_SI_NS9_4lessIjEEEE10hipError_tPvRmT0_T1_T2_T3_T4_T5_mmT6_P12ihipStream_tbEUlT_E0_NS1_11comp_targetILNS1_3genE9ELNS1_11target_archE1100ELNS1_3gpuE3ELNS1_3repE0EEENS1_30default_config_static_selectorELNS0_4arch9wavefront6targetE1EEEvSP_
    .private_segment_fixed_size: 0
    .sgpr_count:     4
    .sgpr_spill_count: 0
    .symbol:         _ZN7rocprim17ROCPRIM_400000_NS6detail17trampoline_kernelINS0_14default_configENS1_21merge_config_selectorIjNS0_10empty_typeEEEZNS1_10merge_implIS3_N6thrust23THRUST_200600_302600_NS6detail15normal_iteratorINS9_10device_ptrIKjEEEESF_NSB_INSC_IjEEEEPS5_SI_SI_NS9_4lessIjEEEE10hipError_tPvRmT0_T1_T2_T3_T4_T5_mmT6_P12ihipStream_tbEUlT_E0_NS1_11comp_targetILNS1_3genE9ELNS1_11target_archE1100ELNS1_3gpuE3ELNS1_3repE0EEENS1_30default_config_static_selectorELNS0_4arch9wavefront6targetE1EEEvSP_.kd
    .uniform_work_group_size: 1
    .uses_dynamic_stack: false
    .vgpr_count:     0
    .vgpr_spill_count: 0
    .wavefront_size: 64
  - .agpr_count:     0
    .args:
      - .offset:         0
        .size:           88
        .value_kind:     by_value
    .group_segment_fixed_size: 0
    .kernarg_segment_align: 8
    .kernarg_segment_size: 88
    .language:       OpenCL C
    .language_version:
      - 2
      - 0
    .max_flat_workgroup_size: 1024
    .name:           _ZN7rocprim17ROCPRIM_400000_NS6detail17trampoline_kernelINS0_14default_configENS1_21merge_config_selectorIjNS0_10empty_typeEEEZNS1_10merge_implIS3_N6thrust23THRUST_200600_302600_NS6detail15normal_iteratorINS9_10device_ptrIKjEEEESF_NSB_INSC_IjEEEEPS5_SI_SI_NS9_4lessIjEEEE10hipError_tPvRmT0_T1_T2_T3_T4_T5_mmT6_P12ihipStream_tbEUlT_E0_NS1_11comp_targetILNS1_3genE8ELNS1_11target_archE1030ELNS1_3gpuE2ELNS1_3repE0EEENS1_30default_config_static_selectorELNS0_4arch9wavefront6targetE1EEEvSP_
    .private_segment_fixed_size: 0
    .sgpr_count:     4
    .sgpr_spill_count: 0
    .symbol:         _ZN7rocprim17ROCPRIM_400000_NS6detail17trampoline_kernelINS0_14default_configENS1_21merge_config_selectorIjNS0_10empty_typeEEEZNS1_10merge_implIS3_N6thrust23THRUST_200600_302600_NS6detail15normal_iteratorINS9_10device_ptrIKjEEEESF_NSB_INSC_IjEEEEPS5_SI_SI_NS9_4lessIjEEEE10hipError_tPvRmT0_T1_T2_T3_T4_T5_mmT6_P12ihipStream_tbEUlT_E0_NS1_11comp_targetILNS1_3genE8ELNS1_11target_archE1030ELNS1_3gpuE2ELNS1_3repE0EEENS1_30default_config_static_selectorELNS0_4arch9wavefront6targetE1EEEvSP_.kd
    .uniform_work_group_size: 1
    .uses_dynamic_stack: false
    .vgpr_count:     0
    .vgpr_spill_count: 0
    .wavefront_size: 64
  - .agpr_count:     0
    .args:
      - .offset:         0
        .size:           104
        .value_kind:     by_value
    .group_segment_fixed_size: 0
    .kernarg_segment_align: 8
    .kernarg_segment_size: 104
    .language:       OpenCL C
    .language_version:
      - 2
      - 0
    .max_flat_workgroup_size: 128
    .name:           _ZN7rocprim17ROCPRIM_400000_NS6detail17trampoline_kernelINS0_14default_configENS1_22reduce_config_selectorIN6thrust23THRUST_200600_302600_NS5tupleIblNS6_9null_typeES8_S8_S8_S8_S8_S8_S8_EEEEZNS1_11reduce_implILb1ES3_NS6_12zip_iteratorINS7_INS6_11hip_rocprim26transform_input_iterator_tIbNSD_35transform_pair_of_input_iterators_tIbNS6_6detail15normal_iteratorINS6_10device_ptrIKjEEEESL_NS6_8equal_toIjEEEENSG_9not_fun_tINSD_8identityEEEEENSD_19counting_iterator_tIlEES8_S8_S8_S8_S8_S8_S8_S8_EEEEPS9_S9_NSD_9__find_if7functorIS9_EEEE10hipError_tPvRmT1_T2_T3_mT4_P12ihipStream_tbEUlT_E0_NS1_11comp_targetILNS1_3genE0ELNS1_11target_archE4294967295ELNS1_3gpuE0ELNS1_3repE0EEENS1_30default_config_static_selectorELNS0_4arch9wavefront6targetE1EEEvS14_
    .private_segment_fixed_size: 0
    .sgpr_count:     4
    .sgpr_spill_count: 0
    .symbol:         _ZN7rocprim17ROCPRIM_400000_NS6detail17trampoline_kernelINS0_14default_configENS1_22reduce_config_selectorIN6thrust23THRUST_200600_302600_NS5tupleIblNS6_9null_typeES8_S8_S8_S8_S8_S8_S8_EEEEZNS1_11reduce_implILb1ES3_NS6_12zip_iteratorINS7_INS6_11hip_rocprim26transform_input_iterator_tIbNSD_35transform_pair_of_input_iterators_tIbNS6_6detail15normal_iteratorINS6_10device_ptrIKjEEEESL_NS6_8equal_toIjEEEENSG_9not_fun_tINSD_8identityEEEEENSD_19counting_iterator_tIlEES8_S8_S8_S8_S8_S8_S8_S8_EEEEPS9_S9_NSD_9__find_if7functorIS9_EEEE10hipError_tPvRmT1_T2_T3_mT4_P12ihipStream_tbEUlT_E0_NS1_11comp_targetILNS1_3genE0ELNS1_11target_archE4294967295ELNS1_3gpuE0ELNS1_3repE0EEENS1_30default_config_static_selectorELNS0_4arch9wavefront6targetE1EEEvS14_.kd
    .uniform_work_group_size: 1
    .uses_dynamic_stack: false
    .vgpr_count:     0
    .vgpr_spill_count: 0
    .wavefront_size: 64
  - .agpr_count:     0
    .args:
      - .offset:         0
        .size:           104
        .value_kind:     by_value
    .group_segment_fixed_size: 0
    .kernarg_segment_align: 8
    .kernarg_segment_size: 104
    .language:       OpenCL C
    .language_version:
      - 2
      - 0
    .max_flat_workgroup_size: 256
    .name:           _ZN7rocprim17ROCPRIM_400000_NS6detail17trampoline_kernelINS0_14default_configENS1_22reduce_config_selectorIN6thrust23THRUST_200600_302600_NS5tupleIblNS6_9null_typeES8_S8_S8_S8_S8_S8_S8_EEEEZNS1_11reduce_implILb1ES3_NS6_12zip_iteratorINS7_INS6_11hip_rocprim26transform_input_iterator_tIbNSD_35transform_pair_of_input_iterators_tIbNS6_6detail15normal_iteratorINS6_10device_ptrIKjEEEESL_NS6_8equal_toIjEEEENSG_9not_fun_tINSD_8identityEEEEENSD_19counting_iterator_tIlEES8_S8_S8_S8_S8_S8_S8_S8_EEEEPS9_S9_NSD_9__find_if7functorIS9_EEEE10hipError_tPvRmT1_T2_T3_mT4_P12ihipStream_tbEUlT_E0_NS1_11comp_targetILNS1_3genE5ELNS1_11target_archE942ELNS1_3gpuE9ELNS1_3repE0EEENS1_30default_config_static_selectorELNS0_4arch9wavefront6targetE1EEEvS14_
    .private_segment_fixed_size: 0
    .sgpr_count:     4
    .sgpr_spill_count: 0
    .symbol:         _ZN7rocprim17ROCPRIM_400000_NS6detail17trampoline_kernelINS0_14default_configENS1_22reduce_config_selectorIN6thrust23THRUST_200600_302600_NS5tupleIblNS6_9null_typeES8_S8_S8_S8_S8_S8_S8_EEEEZNS1_11reduce_implILb1ES3_NS6_12zip_iteratorINS7_INS6_11hip_rocprim26transform_input_iterator_tIbNSD_35transform_pair_of_input_iterators_tIbNS6_6detail15normal_iteratorINS6_10device_ptrIKjEEEESL_NS6_8equal_toIjEEEENSG_9not_fun_tINSD_8identityEEEEENSD_19counting_iterator_tIlEES8_S8_S8_S8_S8_S8_S8_S8_EEEEPS9_S9_NSD_9__find_if7functorIS9_EEEE10hipError_tPvRmT1_T2_T3_mT4_P12ihipStream_tbEUlT_E0_NS1_11comp_targetILNS1_3genE5ELNS1_11target_archE942ELNS1_3gpuE9ELNS1_3repE0EEENS1_30default_config_static_selectorELNS0_4arch9wavefront6targetE1EEEvS14_.kd
    .uniform_work_group_size: 1
    .uses_dynamic_stack: false
    .vgpr_count:     0
    .vgpr_spill_count: 0
    .wavefront_size: 64
  - .agpr_count:     0
    .args:
      - .offset:         0
        .size:           104
        .value_kind:     by_value
    .group_segment_fixed_size: 128
    .kernarg_segment_align: 8
    .kernarg_segment_size: 104
    .language:       OpenCL C
    .language_version:
      - 2
      - 0
    .max_flat_workgroup_size: 256
    .name:           _ZN7rocprim17ROCPRIM_400000_NS6detail17trampoline_kernelINS0_14default_configENS1_22reduce_config_selectorIN6thrust23THRUST_200600_302600_NS5tupleIblNS6_9null_typeES8_S8_S8_S8_S8_S8_S8_EEEEZNS1_11reduce_implILb1ES3_NS6_12zip_iteratorINS7_INS6_11hip_rocprim26transform_input_iterator_tIbNSD_35transform_pair_of_input_iterators_tIbNS6_6detail15normal_iteratorINS6_10device_ptrIKjEEEESL_NS6_8equal_toIjEEEENSG_9not_fun_tINSD_8identityEEEEENSD_19counting_iterator_tIlEES8_S8_S8_S8_S8_S8_S8_S8_EEEEPS9_S9_NSD_9__find_if7functorIS9_EEEE10hipError_tPvRmT1_T2_T3_mT4_P12ihipStream_tbEUlT_E0_NS1_11comp_targetILNS1_3genE4ELNS1_11target_archE910ELNS1_3gpuE8ELNS1_3repE0EEENS1_30default_config_static_selectorELNS0_4arch9wavefront6targetE1EEEvS14_
    .private_segment_fixed_size: 0
    .sgpr_count:     32
    .sgpr_spill_count: 0
    .symbol:         _ZN7rocprim17ROCPRIM_400000_NS6detail17trampoline_kernelINS0_14default_configENS1_22reduce_config_selectorIN6thrust23THRUST_200600_302600_NS5tupleIblNS6_9null_typeES8_S8_S8_S8_S8_S8_S8_EEEEZNS1_11reduce_implILb1ES3_NS6_12zip_iteratorINS7_INS6_11hip_rocprim26transform_input_iterator_tIbNSD_35transform_pair_of_input_iterators_tIbNS6_6detail15normal_iteratorINS6_10device_ptrIKjEEEESL_NS6_8equal_toIjEEEENSG_9not_fun_tINSD_8identityEEEEENSD_19counting_iterator_tIlEES8_S8_S8_S8_S8_S8_S8_S8_EEEEPS9_S9_NSD_9__find_if7functorIS9_EEEE10hipError_tPvRmT1_T2_T3_mT4_P12ihipStream_tbEUlT_E0_NS1_11comp_targetILNS1_3genE4ELNS1_11target_archE910ELNS1_3gpuE8ELNS1_3repE0EEENS1_30default_config_static_selectorELNS0_4arch9wavefront6targetE1EEEvS14_.kd
    .uniform_work_group_size: 1
    .uses_dynamic_stack: false
    .vgpr_count:     12
    .vgpr_spill_count: 0
    .wavefront_size: 64
  - .agpr_count:     0
    .args:
      - .offset:         0
        .size:           104
        .value_kind:     by_value
    .group_segment_fixed_size: 0
    .kernarg_segment_align: 8
    .kernarg_segment_size: 104
    .language:       OpenCL C
    .language_version:
      - 2
      - 0
    .max_flat_workgroup_size: 128
    .name:           _ZN7rocprim17ROCPRIM_400000_NS6detail17trampoline_kernelINS0_14default_configENS1_22reduce_config_selectorIN6thrust23THRUST_200600_302600_NS5tupleIblNS6_9null_typeES8_S8_S8_S8_S8_S8_S8_EEEEZNS1_11reduce_implILb1ES3_NS6_12zip_iteratorINS7_INS6_11hip_rocprim26transform_input_iterator_tIbNSD_35transform_pair_of_input_iterators_tIbNS6_6detail15normal_iteratorINS6_10device_ptrIKjEEEESL_NS6_8equal_toIjEEEENSG_9not_fun_tINSD_8identityEEEEENSD_19counting_iterator_tIlEES8_S8_S8_S8_S8_S8_S8_S8_EEEEPS9_S9_NSD_9__find_if7functorIS9_EEEE10hipError_tPvRmT1_T2_T3_mT4_P12ihipStream_tbEUlT_E0_NS1_11comp_targetILNS1_3genE3ELNS1_11target_archE908ELNS1_3gpuE7ELNS1_3repE0EEENS1_30default_config_static_selectorELNS0_4arch9wavefront6targetE1EEEvS14_
    .private_segment_fixed_size: 0
    .sgpr_count:     4
    .sgpr_spill_count: 0
    .symbol:         _ZN7rocprim17ROCPRIM_400000_NS6detail17trampoline_kernelINS0_14default_configENS1_22reduce_config_selectorIN6thrust23THRUST_200600_302600_NS5tupleIblNS6_9null_typeES8_S8_S8_S8_S8_S8_S8_EEEEZNS1_11reduce_implILb1ES3_NS6_12zip_iteratorINS7_INS6_11hip_rocprim26transform_input_iterator_tIbNSD_35transform_pair_of_input_iterators_tIbNS6_6detail15normal_iteratorINS6_10device_ptrIKjEEEESL_NS6_8equal_toIjEEEENSG_9not_fun_tINSD_8identityEEEEENSD_19counting_iterator_tIlEES8_S8_S8_S8_S8_S8_S8_S8_EEEEPS9_S9_NSD_9__find_if7functorIS9_EEEE10hipError_tPvRmT1_T2_T3_mT4_P12ihipStream_tbEUlT_E0_NS1_11comp_targetILNS1_3genE3ELNS1_11target_archE908ELNS1_3gpuE7ELNS1_3repE0EEENS1_30default_config_static_selectorELNS0_4arch9wavefront6targetE1EEEvS14_.kd
    .uniform_work_group_size: 1
    .uses_dynamic_stack: false
    .vgpr_count:     0
    .vgpr_spill_count: 0
    .wavefront_size: 64
  - .agpr_count:     0
    .args:
      - .offset:         0
        .size:           104
        .value_kind:     by_value
    .group_segment_fixed_size: 0
    .kernarg_segment_align: 8
    .kernarg_segment_size: 104
    .language:       OpenCL C
    .language_version:
      - 2
      - 0
    .max_flat_workgroup_size: 128
    .name:           _ZN7rocprim17ROCPRIM_400000_NS6detail17trampoline_kernelINS0_14default_configENS1_22reduce_config_selectorIN6thrust23THRUST_200600_302600_NS5tupleIblNS6_9null_typeES8_S8_S8_S8_S8_S8_S8_EEEEZNS1_11reduce_implILb1ES3_NS6_12zip_iteratorINS7_INS6_11hip_rocprim26transform_input_iterator_tIbNSD_35transform_pair_of_input_iterators_tIbNS6_6detail15normal_iteratorINS6_10device_ptrIKjEEEESL_NS6_8equal_toIjEEEENSG_9not_fun_tINSD_8identityEEEEENSD_19counting_iterator_tIlEES8_S8_S8_S8_S8_S8_S8_S8_EEEEPS9_S9_NSD_9__find_if7functorIS9_EEEE10hipError_tPvRmT1_T2_T3_mT4_P12ihipStream_tbEUlT_E0_NS1_11comp_targetILNS1_3genE2ELNS1_11target_archE906ELNS1_3gpuE6ELNS1_3repE0EEENS1_30default_config_static_selectorELNS0_4arch9wavefront6targetE1EEEvS14_
    .private_segment_fixed_size: 0
    .sgpr_count:     4
    .sgpr_spill_count: 0
    .symbol:         _ZN7rocprim17ROCPRIM_400000_NS6detail17trampoline_kernelINS0_14default_configENS1_22reduce_config_selectorIN6thrust23THRUST_200600_302600_NS5tupleIblNS6_9null_typeES8_S8_S8_S8_S8_S8_S8_EEEEZNS1_11reduce_implILb1ES3_NS6_12zip_iteratorINS7_INS6_11hip_rocprim26transform_input_iterator_tIbNSD_35transform_pair_of_input_iterators_tIbNS6_6detail15normal_iteratorINS6_10device_ptrIKjEEEESL_NS6_8equal_toIjEEEENSG_9not_fun_tINSD_8identityEEEEENSD_19counting_iterator_tIlEES8_S8_S8_S8_S8_S8_S8_S8_EEEEPS9_S9_NSD_9__find_if7functorIS9_EEEE10hipError_tPvRmT1_T2_T3_mT4_P12ihipStream_tbEUlT_E0_NS1_11comp_targetILNS1_3genE2ELNS1_11target_archE906ELNS1_3gpuE6ELNS1_3repE0EEENS1_30default_config_static_selectorELNS0_4arch9wavefront6targetE1EEEvS14_.kd
    .uniform_work_group_size: 1
    .uses_dynamic_stack: false
    .vgpr_count:     0
    .vgpr_spill_count: 0
    .wavefront_size: 64
  - .agpr_count:     0
    .args:
      - .offset:         0
        .size:           104
        .value_kind:     by_value
    .group_segment_fixed_size: 0
    .kernarg_segment_align: 8
    .kernarg_segment_size: 104
    .language:       OpenCL C
    .language_version:
      - 2
      - 0
    .max_flat_workgroup_size: 256
    .name:           _ZN7rocprim17ROCPRIM_400000_NS6detail17trampoline_kernelINS0_14default_configENS1_22reduce_config_selectorIN6thrust23THRUST_200600_302600_NS5tupleIblNS6_9null_typeES8_S8_S8_S8_S8_S8_S8_EEEEZNS1_11reduce_implILb1ES3_NS6_12zip_iteratorINS7_INS6_11hip_rocprim26transform_input_iterator_tIbNSD_35transform_pair_of_input_iterators_tIbNS6_6detail15normal_iteratorINS6_10device_ptrIKjEEEESL_NS6_8equal_toIjEEEENSG_9not_fun_tINSD_8identityEEEEENSD_19counting_iterator_tIlEES8_S8_S8_S8_S8_S8_S8_S8_EEEEPS9_S9_NSD_9__find_if7functorIS9_EEEE10hipError_tPvRmT1_T2_T3_mT4_P12ihipStream_tbEUlT_E0_NS1_11comp_targetILNS1_3genE10ELNS1_11target_archE1201ELNS1_3gpuE5ELNS1_3repE0EEENS1_30default_config_static_selectorELNS0_4arch9wavefront6targetE1EEEvS14_
    .private_segment_fixed_size: 0
    .sgpr_count:     4
    .sgpr_spill_count: 0
    .symbol:         _ZN7rocprim17ROCPRIM_400000_NS6detail17trampoline_kernelINS0_14default_configENS1_22reduce_config_selectorIN6thrust23THRUST_200600_302600_NS5tupleIblNS6_9null_typeES8_S8_S8_S8_S8_S8_S8_EEEEZNS1_11reduce_implILb1ES3_NS6_12zip_iteratorINS7_INS6_11hip_rocprim26transform_input_iterator_tIbNSD_35transform_pair_of_input_iterators_tIbNS6_6detail15normal_iteratorINS6_10device_ptrIKjEEEESL_NS6_8equal_toIjEEEENSG_9not_fun_tINSD_8identityEEEEENSD_19counting_iterator_tIlEES8_S8_S8_S8_S8_S8_S8_S8_EEEEPS9_S9_NSD_9__find_if7functorIS9_EEEE10hipError_tPvRmT1_T2_T3_mT4_P12ihipStream_tbEUlT_E0_NS1_11comp_targetILNS1_3genE10ELNS1_11target_archE1201ELNS1_3gpuE5ELNS1_3repE0EEENS1_30default_config_static_selectorELNS0_4arch9wavefront6targetE1EEEvS14_.kd
    .uniform_work_group_size: 1
    .uses_dynamic_stack: false
    .vgpr_count:     0
    .vgpr_spill_count: 0
    .wavefront_size: 64
  - .agpr_count:     0
    .args:
      - .offset:         0
        .size:           104
        .value_kind:     by_value
    .group_segment_fixed_size: 0
    .kernarg_segment_align: 8
    .kernarg_segment_size: 104
    .language:       OpenCL C
    .language_version:
      - 2
      - 0
    .max_flat_workgroup_size: 256
    .name:           _ZN7rocprim17ROCPRIM_400000_NS6detail17trampoline_kernelINS0_14default_configENS1_22reduce_config_selectorIN6thrust23THRUST_200600_302600_NS5tupleIblNS6_9null_typeES8_S8_S8_S8_S8_S8_S8_EEEEZNS1_11reduce_implILb1ES3_NS6_12zip_iteratorINS7_INS6_11hip_rocprim26transform_input_iterator_tIbNSD_35transform_pair_of_input_iterators_tIbNS6_6detail15normal_iteratorINS6_10device_ptrIKjEEEESL_NS6_8equal_toIjEEEENSG_9not_fun_tINSD_8identityEEEEENSD_19counting_iterator_tIlEES8_S8_S8_S8_S8_S8_S8_S8_EEEEPS9_S9_NSD_9__find_if7functorIS9_EEEE10hipError_tPvRmT1_T2_T3_mT4_P12ihipStream_tbEUlT_E0_NS1_11comp_targetILNS1_3genE10ELNS1_11target_archE1200ELNS1_3gpuE4ELNS1_3repE0EEENS1_30default_config_static_selectorELNS0_4arch9wavefront6targetE1EEEvS14_
    .private_segment_fixed_size: 0
    .sgpr_count:     4
    .sgpr_spill_count: 0
    .symbol:         _ZN7rocprim17ROCPRIM_400000_NS6detail17trampoline_kernelINS0_14default_configENS1_22reduce_config_selectorIN6thrust23THRUST_200600_302600_NS5tupleIblNS6_9null_typeES8_S8_S8_S8_S8_S8_S8_EEEEZNS1_11reduce_implILb1ES3_NS6_12zip_iteratorINS7_INS6_11hip_rocprim26transform_input_iterator_tIbNSD_35transform_pair_of_input_iterators_tIbNS6_6detail15normal_iteratorINS6_10device_ptrIKjEEEESL_NS6_8equal_toIjEEEENSG_9not_fun_tINSD_8identityEEEEENSD_19counting_iterator_tIlEES8_S8_S8_S8_S8_S8_S8_S8_EEEEPS9_S9_NSD_9__find_if7functorIS9_EEEE10hipError_tPvRmT1_T2_T3_mT4_P12ihipStream_tbEUlT_E0_NS1_11comp_targetILNS1_3genE10ELNS1_11target_archE1200ELNS1_3gpuE4ELNS1_3repE0EEENS1_30default_config_static_selectorELNS0_4arch9wavefront6targetE1EEEvS14_.kd
    .uniform_work_group_size: 1
    .uses_dynamic_stack: false
    .vgpr_count:     0
    .vgpr_spill_count: 0
    .wavefront_size: 64
  - .agpr_count:     0
    .args:
      - .offset:         0
        .size:           104
        .value_kind:     by_value
    .group_segment_fixed_size: 0
    .kernarg_segment_align: 8
    .kernarg_segment_size: 104
    .language:       OpenCL C
    .language_version:
      - 2
      - 0
    .max_flat_workgroup_size: 256
    .name:           _ZN7rocprim17ROCPRIM_400000_NS6detail17trampoline_kernelINS0_14default_configENS1_22reduce_config_selectorIN6thrust23THRUST_200600_302600_NS5tupleIblNS6_9null_typeES8_S8_S8_S8_S8_S8_S8_EEEEZNS1_11reduce_implILb1ES3_NS6_12zip_iteratorINS7_INS6_11hip_rocprim26transform_input_iterator_tIbNSD_35transform_pair_of_input_iterators_tIbNS6_6detail15normal_iteratorINS6_10device_ptrIKjEEEESL_NS6_8equal_toIjEEEENSG_9not_fun_tINSD_8identityEEEEENSD_19counting_iterator_tIlEES8_S8_S8_S8_S8_S8_S8_S8_EEEEPS9_S9_NSD_9__find_if7functorIS9_EEEE10hipError_tPvRmT1_T2_T3_mT4_P12ihipStream_tbEUlT_E0_NS1_11comp_targetILNS1_3genE9ELNS1_11target_archE1100ELNS1_3gpuE3ELNS1_3repE0EEENS1_30default_config_static_selectorELNS0_4arch9wavefront6targetE1EEEvS14_
    .private_segment_fixed_size: 0
    .sgpr_count:     4
    .sgpr_spill_count: 0
    .symbol:         _ZN7rocprim17ROCPRIM_400000_NS6detail17trampoline_kernelINS0_14default_configENS1_22reduce_config_selectorIN6thrust23THRUST_200600_302600_NS5tupleIblNS6_9null_typeES8_S8_S8_S8_S8_S8_S8_EEEEZNS1_11reduce_implILb1ES3_NS6_12zip_iteratorINS7_INS6_11hip_rocprim26transform_input_iterator_tIbNSD_35transform_pair_of_input_iterators_tIbNS6_6detail15normal_iteratorINS6_10device_ptrIKjEEEESL_NS6_8equal_toIjEEEENSG_9not_fun_tINSD_8identityEEEEENSD_19counting_iterator_tIlEES8_S8_S8_S8_S8_S8_S8_S8_EEEEPS9_S9_NSD_9__find_if7functorIS9_EEEE10hipError_tPvRmT1_T2_T3_mT4_P12ihipStream_tbEUlT_E0_NS1_11comp_targetILNS1_3genE9ELNS1_11target_archE1100ELNS1_3gpuE3ELNS1_3repE0EEENS1_30default_config_static_selectorELNS0_4arch9wavefront6targetE1EEEvS14_.kd
    .uniform_work_group_size: 1
    .uses_dynamic_stack: false
    .vgpr_count:     0
    .vgpr_spill_count: 0
    .wavefront_size: 64
  - .agpr_count:     0
    .args:
      - .offset:         0
        .size:           104
        .value_kind:     by_value
    .group_segment_fixed_size: 0
    .kernarg_segment_align: 8
    .kernarg_segment_size: 104
    .language:       OpenCL C
    .language_version:
      - 2
      - 0
    .max_flat_workgroup_size: 256
    .name:           _ZN7rocprim17ROCPRIM_400000_NS6detail17trampoline_kernelINS0_14default_configENS1_22reduce_config_selectorIN6thrust23THRUST_200600_302600_NS5tupleIblNS6_9null_typeES8_S8_S8_S8_S8_S8_S8_EEEEZNS1_11reduce_implILb1ES3_NS6_12zip_iteratorINS7_INS6_11hip_rocprim26transform_input_iterator_tIbNSD_35transform_pair_of_input_iterators_tIbNS6_6detail15normal_iteratorINS6_10device_ptrIKjEEEESL_NS6_8equal_toIjEEEENSG_9not_fun_tINSD_8identityEEEEENSD_19counting_iterator_tIlEES8_S8_S8_S8_S8_S8_S8_S8_EEEEPS9_S9_NSD_9__find_if7functorIS9_EEEE10hipError_tPvRmT1_T2_T3_mT4_P12ihipStream_tbEUlT_E0_NS1_11comp_targetILNS1_3genE8ELNS1_11target_archE1030ELNS1_3gpuE2ELNS1_3repE0EEENS1_30default_config_static_selectorELNS0_4arch9wavefront6targetE1EEEvS14_
    .private_segment_fixed_size: 0
    .sgpr_count:     4
    .sgpr_spill_count: 0
    .symbol:         _ZN7rocprim17ROCPRIM_400000_NS6detail17trampoline_kernelINS0_14default_configENS1_22reduce_config_selectorIN6thrust23THRUST_200600_302600_NS5tupleIblNS6_9null_typeES8_S8_S8_S8_S8_S8_S8_EEEEZNS1_11reduce_implILb1ES3_NS6_12zip_iteratorINS7_INS6_11hip_rocprim26transform_input_iterator_tIbNSD_35transform_pair_of_input_iterators_tIbNS6_6detail15normal_iteratorINS6_10device_ptrIKjEEEESL_NS6_8equal_toIjEEEENSG_9not_fun_tINSD_8identityEEEEENSD_19counting_iterator_tIlEES8_S8_S8_S8_S8_S8_S8_S8_EEEEPS9_S9_NSD_9__find_if7functorIS9_EEEE10hipError_tPvRmT1_T2_T3_mT4_P12ihipStream_tbEUlT_E0_NS1_11comp_targetILNS1_3genE8ELNS1_11target_archE1030ELNS1_3gpuE2ELNS1_3repE0EEENS1_30default_config_static_selectorELNS0_4arch9wavefront6targetE1EEEvS14_.kd
    .uniform_work_group_size: 1
    .uses_dynamic_stack: false
    .vgpr_count:     0
    .vgpr_spill_count: 0
    .wavefront_size: 64
  - .agpr_count:     0
    .args:
      - .offset:         0
        .size:           88
        .value_kind:     by_value
    .group_segment_fixed_size: 0
    .kernarg_segment_align: 8
    .kernarg_segment_size: 88
    .language:       OpenCL C
    .language_version:
      - 2
      - 0
    .max_flat_workgroup_size: 128
    .name:           _ZN7rocprim17ROCPRIM_400000_NS6detail17trampoline_kernelINS0_14default_configENS1_22reduce_config_selectorIN6thrust23THRUST_200600_302600_NS5tupleIblNS6_9null_typeES8_S8_S8_S8_S8_S8_S8_EEEEZNS1_11reduce_implILb1ES3_NS6_12zip_iteratorINS7_INS6_11hip_rocprim26transform_input_iterator_tIbNSD_35transform_pair_of_input_iterators_tIbNS6_6detail15normal_iteratorINS6_10device_ptrIKjEEEESL_NS6_8equal_toIjEEEENSG_9not_fun_tINSD_8identityEEEEENSD_19counting_iterator_tIlEES8_S8_S8_S8_S8_S8_S8_S8_EEEEPS9_S9_NSD_9__find_if7functorIS9_EEEE10hipError_tPvRmT1_T2_T3_mT4_P12ihipStream_tbEUlT_E1_NS1_11comp_targetILNS1_3genE0ELNS1_11target_archE4294967295ELNS1_3gpuE0ELNS1_3repE0EEENS1_30default_config_static_selectorELNS0_4arch9wavefront6targetE1EEEvS14_
    .private_segment_fixed_size: 0
    .sgpr_count:     4
    .sgpr_spill_count: 0
    .symbol:         _ZN7rocprim17ROCPRIM_400000_NS6detail17trampoline_kernelINS0_14default_configENS1_22reduce_config_selectorIN6thrust23THRUST_200600_302600_NS5tupleIblNS6_9null_typeES8_S8_S8_S8_S8_S8_S8_EEEEZNS1_11reduce_implILb1ES3_NS6_12zip_iteratorINS7_INS6_11hip_rocprim26transform_input_iterator_tIbNSD_35transform_pair_of_input_iterators_tIbNS6_6detail15normal_iteratorINS6_10device_ptrIKjEEEESL_NS6_8equal_toIjEEEENSG_9not_fun_tINSD_8identityEEEEENSD_19counting_iterator_tIlEES8_S8_S8_S8_S8_S8_S8_S8_EEEEPS9_S9_NSD_9__find_if7functorIS9_EEEE10hipError_tPvRmT1_T2_T3_mT4_P12ihipStream_tbEUlT_E1_NS1_11comp_targetILNS1_3genE0ELNS1_11target_archE4294967295ELNS1_3gpuE0ELNS1_3repE0EEENS1_30default_config_static_selectorELNS0_4arch9wavefront6targetE1EEEvS14_.kd
    .uniform_work_group_size: 1
    .uses_dynamic_stack: false
    .vgpr_count:     0
    .vgpr_spill_count: 0
    .wavefront_size: 64
  - .agpr_count:     0
    .args:
      - .offset:         0
        .size:           88
        .value_kind:     by_value
    .group_segment_fixed_size: 0
    .kernarg_segment_align: 8
    .kernarg_segment_size: 88
    .language:       OpenCL C
    .language_version:
      - 2
      - 0
    .max_flat_workgroup_size: 256
    .name:           _ZN7rocprim17ROCPRIM_400000_NS6detail17trampoline_kernelINS0_14default_configENS1_22reduce_config_selectorIN6thrust23THRUST_200600_302600_NS5tupleIblNS6_9null_typeES8_S8_S8_S8_S8_S8_S8_EEEEZNS1_11reduce_implILb1ES3_NS6_12zip_iteratorINS7_INS6_11hip_rocprim26transform_input_iterator_tIbNSD_35transform_pair_of_input_iterators_tIbNS6_6detail15normal_iteratorINS6_10device_ptrIKjEEEESL_NS6_8equal_toIjEEEENSG_9not_fun_tINSD_8identityEEEEENSD_19counting_iterator_tIlEES8_S8_S8_S8_S8_S8_S8_S8_EEEEPS9_S9_NSD_9__find_if7functorIS9_EEEE10hipError_tPvRmT1_T2_T3_mT4_P12ihipStream_tbEUlT_E1_NS1_11comp_targetILNS1_3genE5ELNS1_11target_archE942ELNS1_3gpuE9ELNS1_3repE0EEENS1_30default_config_static_selectorELNS0_4arch9wavefront6targetE1EEEvS14_
    .private_segment_fixed_size: 0
    .sgpr_count:     4
    .sgpr_spill_count: 0
    .symbol:         _ZN7rocprim17ROCPRIM_400000_NS6detail17trampoline_kernelINS0_14default_configENS1_22reduce_config_selectorIN6thrust23THRUST_200600_302600_NS5tupleIblNS6_9null_typeES8_S8_S8_S8_S8_S8_S8_EEEEZNS1_11reduce_implILb1ES3_NS6_12zip_iteratorINS7_INS6_11hip_rocprim26transform_input_iterator_tIbNSD_35transform_pair_of_input_iterators_tIbNS6_6detail15normal_iteratorINS6_10device_ptrIKjEEEESL_NS6_8equal_toIjEEEENSG_9not_fun_tINSD_8identityEEEEENSD_19counting_iterator_tIlEES8_S8_S8_S8_S8_S8_S8_S8_EEEEPS9_S9_NSD_9__find_if7functorIS9_EEEE10hipError_tPvRmT1_T2_T3_mT4_P12ihipStream_tbEUlT_E1_NS1_11comp_targetILNS1_3genE5ELNS1_11target_archE942ELNS1_3gpuE9ELNS1_3repE0EEENS1_30default_config_static_selectorELNS0_4arch9wavefront6targetE1EEEvS14_.kd
    .uniform_work_group_size: 1
    .uses_dynamic_stack: false
    .vgpr_count:     0
    .vgpr_spill_count: 0
    .wavefront_size: 64
  - .agpr_count:     0
    .args:
      - .offset:         0
        .size:           88
        .value_kind:     by_value
    .group_segment_fixed_size: 320
    .kernarg_segment_align: 8
    .kernarg_segment_size: 88
    .language:       OpenCL C
    .language_version:
      - 2
      - 0
    .max_flat_workgroup_size: 256
    .name:           _ZN7rocprim17ROCPRIM_400000_NS6detail17trampoline_kernelINS0_14default_configENS1_22reduce_config_selectorIN6thrust23THRUST_200600_302600_NS5tupleIblNS6_9null_typeES8_S8_S8_S8_S8_S8_S8_EEEEZNS1_11reduce_implILb1ES3_NS6_12zip_iteratorINS7_INS6_11hip_rocprim26transform_input_iterator_tIbNSD_35transform_pair_of_input_iterators_tIbNS6_6detail15normal_iteratorINS6_10device_ptrIKjEEEESL_NS6_8equal_toIjEEEENSG_9not_fun_tINSD_8identityEEEEENSD_19counting_iterator_tIlEES8_S8_S8_S8_S8_S8_S8_S8_EEEEPS9_S9_NSD_9__find_if7functorIS9_EEEE10hipError_tPvRmT1_T2_T3_mT4_P12ihipStream_tbEUlT_E1_NS1_11comp_targetILNS1_3genE4ELNS1_11target_archE910ELNS1_3gpuE8ELNS1_3repE0EEENS1_30default_config_static_selectorELNS0_4arch9wavefront6targetE1EEEvS14_
    .private_segment_fixed_size: 0
    .sgpr_count:     44
    .sgpr_spill_count: 0
    .symbol:         _ZN7rocprim17ROCPRIM_400000_NS6detail17trampoline_kernelINS0_14default_configENS1_22reduce_config_selectorIN6thrust23THRUST_200600_302600_NS5tupleIblNS6_9null_typeES8_S8_S8_S8_S8_S8_S8_EEEEZNS1_11reduce_implILb1ES3_NS6_12zip_iteratorINS7_INS6_11hip_rocprim26transform_input_iterator_tIbNSD_35transform_pair_of_input_iterators_tIbNS6_6detail15normal_iteratorINS6_10device_ptrIKjEEEESL_NS6_8equal_toIjEEEENSG_9not_fun_tINSD_8identityEEEEENSD_19counting_iterator_tIlEES8_S8_S8_S8_S8_S8_S8_S8_EEEEPS9_S9_NSD_9__find_if7functorIS9_EEEE10hipError_tPvRmT1_T2_T3_mT4_P12ihipStream_tbEUlT_E1_NS1_11comp_targetILNS1_3genE4ELNS1_11target_archE910ELNS1_3gpuE8ELNS1_3repE0EEENS1_30default_config_static_selectorELNS0_4arch9wavefront6targetE1EEEvS14_.kd
    .uniform_work_group_size: 1
    .uses_dynamic_stack: false
    .vgpr_count:     27
    .vgpr_spill_count: 0
    .wavefront_size: 64
  - .agpr_count:     0
    .args:
      - .offset:         0
        .size:           88
        .value_kind:     by_value
    .group_segment_fixed_size: 0
    .kernarg_segment_align: 8
    .kernarg_segment_size: 88
    .language:       OpenCL C
    .language_version:
      - 2
      - 0
    .max_flat_workgroup_size: 128
    .name:           _ZN7rocprim17ROCPRIM_400000_NS6detail17trampoline_kernelINS0_14default_configENS1_22reduce_config_selectorIN6thrust23THRUST_200600_302600_NS5tupleIblNS6_9null_typeES8_S8_S8_S8_S8_S8_S8_EEEEZNS1_11reduce_implILb1ES3_NS6_12zip_iteratorINS7_INS6_11hip_rocprim26transform_input_iterator_tIbNSD_35transform_pair_of_input_iterators_tIbNS6_6detail15normal_iteratorINS6_10device_ptrIKjEEEESL_NS6_8equal_toIjEEEENSG_9not_fun_tINSD_8identityEEEEENSD_19counting_iterator_tIlEES8_S8_S8_S8_S8_S8_S8_S8_EEEEPS9_S9_NSD_9__find_if7functorIS9_EEEE10hipError_tPvRmT1_T2_T3_mT4_P12ihipStream_tbEUlT_E1_NS1_11comp_targetILNS1_3genE3ELNS1_11target_archE908ELNS1_3gpuE7ELNS1_3repE0EEENS1_30default_config_static_selectorELNS0_4arch9wavefront6targetE1EEEvS14_
    .private_segment_fixed_size: 0
    .sgpr_count:     4
    .sgpr_spill_count: 0
    .symbol:         _ZN7rocprim17ROCPRIM_400000_NS6detail17trampoline_kernelINS0_14default_configENS1_22reduce_config_selectorIN6thrust23THRUST_200600_302600_NS5tupleIblNS6_9null_typeES8_S8_S8_S8_S8_S8_S8_EEEEZNS1_11reduce_implILb1ES3_NS6_12zip_iteratorINS7_INS6_11hip_rocprim26transform_input_iterator_tIbNSD_35transform_pair_of_input_iterators_tIbNS6_6detail15normal_iteratorINS6_10device_ptrIKjEEEESL_NS6_8equal_toIjEEEENSG_9not_fun_tINSD_8identityEEEEENSD_19counting_iterator_tIlEES8_S8_S8_S8_S8_S8_S8_S8_EEEEPS9_S9_NSD_9__find_if7functorIS9_EEEE10hipError_tPvRmT1_T2_T3_mT4_P12ihipStream_tbEUlT_E1_NS1_11comp_targetILNS1_3genE3ELNS1_11target_archE908ELNS1_3gpuE7ELNS1_3repE0EEENS1_30default_config_static_selectorELNS0_4arch9wavefront6targetE1EEEvS14_.kd
    .uniform_work_group_size: 1
    .uses_dynamic_stack: false
    .vgpr_count:     0
    .vgpr_spill_count: 0
    .wavefront_size: 64
  - .agpr_count:     0
    .args:
      - .offset:         0
        .size:           88
        .value_kind:     by_value
    .group_segment_fixed_size: 0
    .kernarg_segment_align: 8
    .kernarg_segment_size: 88
    .language:       OpenCL C
    .language_version:
      - 2
      - 0
    .max_flat_workgroup_size: 128
    .name:           _ZN7rocprim17ROCPRIM_400000_NS6detail17trampoline_kernelINS0_14default_configENS1_22reduce_config_selectorIN6thrust23THRUST_200600_302600_NS5tupleIblNS6_9null_typeES8_S8_S8_S8_S8_S8_S8_EEEEZNS1_11reduce_implILb1ES3_NS6_12zip_iteratorINS7_INS6_11hip_rocprim26transform_input_iterator_tIbNSD_35transform_pair_of_input_iterators_tIbNS6_6detail15normal_iteratorINS6_10device_ptrIKjEEEESL_NS6_8equal_toIjEEEENSG_9not_fun_tINSD_8identityEEEEENSD_19counting_iterator_tIlEES8_S8_S8_S8_S8_S8_S8_S8_EEEEPS9_S9_NSD_9__find_if7functorIS9_EEEE10hipError_tPvRmT1_T2_T3_mT4_P12ihipStream_tbEUlT_E1_NS1_11comp_targetILNS1_3genE2ELNS1_11target_archE906ELNS1_3gpuE6ELNS1_3repE0EEENS1_30default_config_static_selectorELNS0_4arch9wavefront6targetE1EEEvS14_
    .private_segment_fixed_size: 0
    .sgpr_count:     4
    .sgpr_spill_count: 0
    .symbol:         _ZN7rocprim17ROCPRIM_400000_NS6detail17trampoline_kernelINS0_14default_configENS1_22reduce_config_selectorIN6thrust23THRUST_200600_302600_NS5tupleIblNS6_9null_typeES8_S8_S8_S8_S8_S8_S8_EEEEZNS1_11reduce_implILb1ES3_NS6_12zip_iteratorINS7_INS6_11hip_rocprim26transform_input_iterator_tIbNSD_35transform_pair_of_input_iterators_tIbNS6_6detail15normal_iteratorINS6_10device_ptrIKjEEEESL_NS6_8equal_toIjEEEENSG_9not_fun_tINSD_8identityEEEEENSD_19counting_iterator_tIlEES8_S8_S8_S8_S8_S8_S8_S8_EEEEPS9_S9_NSD_9__find_if7functorIS9_EEEE10hipError_tPvRmT1_T2_T3_mT4_P12ihipStream_tbEUlT_E1_NS1_11comp_targetILNS1_3genE2ELNS1_11target_archE906ELNS1_3gpuE6ELNS1_3repE0EEENS1_30default_config_static_selectorELNS0_4arch9wavefront6targetE1EEEvS14_.kd
    .uniform_work_group_size: 1
    .uses_dynamic_stack: false
    .vgpr_count:     0
    .vgpr_spill_count: 0
    .wavefront_size: 64
  - .agpr_count:     0
    .args:
      - .offset:         0
        .size:           88
        .value_kind:     by_value
    .group_segment_fixed_size: 0
    .kernarg_segment_align: 8
    .kernarg_segment_size: 88
    .language:       OpenCL C
    .language_version:
      - 2
      - 0
    .max_flat_workgroup_size: 256
    .name:           _ZN7rocprim17ROCPRIM_400000_NS6detail17trampoline_kernelINS0_14default_configENS1_22reduce_config_selectorIN6thrust23THRUST_200600_302600_NS5tupleIblNS6_9null_typeES8_S8_S8_S8_S8_S8_S8_EEEEZNS1_11reduce_implILb1ES3_NS6_12zip_iteratorINS7_INS6_11hip_rocprim26transform_input_iterator_tIbNSD_35transform_pair_of_input_iterators_tIbNS6_6detail15normal_iteratorINS6_10device_ptrIKjEEEESL_NS6_8equal_toIjEEEENSG_9not_fun_tINSD_8identityEEEEENSD_19counting_iterator_tIlEES8_S8_S8_S8_S8_S8_S8_S8_EEEEPS9_S9_NSD_9__find_if7functorIS9_EEEE10hipError_tPvRmT1_T2_T3_mT4_P12ihipStream_tbEUlT_E1_NS1_11comp_targetILNS1_3genE10ELNS1_11target_archE1201ELNS1_3gpuE5ELNS1_3repE0EEENS1_30default_config_static_selectorELNS0_4arch9wavefront6targetE1EEEvS14_
    .private_segment_fixed_size: 0
    .sgpr_count:     4
    .sgpr_spill_count: 0
    .symbol:         _ZN7rocprim17ROCPRIM_400000_NS6detail17trampoline_kernelINS0_14default_configENS1_22reduce_config_selectorIN6thrust23THRUST_200600_302600_NS5tupleIblNS6_9null_typeES8_S8_S8_S8_S8_S8_S8_EEEEZNS1_11reduce_implILb1ES3_NS6_12zip_iteratorINS7_INS6_11hip_rocprim26transform_input_iterator_tIbNSD_35transform_pair_of_input_iterators_tIbNS6_6detail15normal_iteratorINS6_10device_ptrIKjEEEESL_NS6_8equal_toIjEEEENSG_9not_fun_tINSD_8identityEEEEENSD_19counting_iterator_tIlEES8_S8_S8_S8_S8_S8_S8_S8_EEEEPS9_S9_NSD_9__find_if7functorIS9_EEEE10hipError_tPvRmT1_T2_T3_mT4_P12ihipStream_tbEUlT_E1_NS1_11comp_targetILNS1_3genE10ELNS1_11target_archE1201ELNS1_3gpuE5ELNS1_3repE0EEENS1_30default_config_static_selectorELNS0_4arch9wavefront6targetE1EEEvS14_.kd
    .uniform_work_group_size: 1
    .uses_dynamic_stack: false
    .vgpr_count:     0
    .vgpr_spill_count: 0
    .wavefront_size: 64
  - .agpr_count:     0
    .args:
      - .offset:         0
        .size:           88
        .value_kind:     by_value
    .group_segment_fixed_size: 0
    .kernarg_segment_align: 8
    .kernarg_segment_size: 88
    .language:       OpenCL C
    .language_version:
      - 2
      - 0
    .max_flat_workgroup_size: 256
    .name:           _ZN7rocprim17ROCPRIM_400000_NS6detail17trampoline_kernelINS0_14default_configENS1_22reduce_config_selectorIN6thrust23THRUST_200600_302600_NS5tupleIblNS6_9null_typeES8_S8_S8_S8_S8_S8_S8_EEEEZNS1_11reduce_implILb1ES3_NS6_12zip_iteratorINS7_INS6_11hip_rocprim26transform_input_iterator_tIbNSD_35transform_pair_of_input_iterators_tIbNS6_6detail15normal_iteratorINS6_10device_ptrIKjEEEESL_NS6_8equal_toIjEEEENSG_9not_fun_tINSD_8identityEEEEENSD_19counting_iterator_tIlEES8_S8_S8_S8_S8_S8_S8_S8_EEEEPS9_S9_NSD_9__find_if7functorIS9_EEEE10hipError_tPvRmT1_T2_T3_mT4_P12ihipStream_tbEUlT_E1_NS1_11comp_targetILNS1_3genE10ELNS1_11target_archE1200ELNS1_3gpuE4ELNS1_3repE0EEENS1_30default_config_static_selectorELNS0_4arch9wavefront6targetE1EEEvS14_
    .private_segment_fixed_size: 0
    .sgpr_count:     4
    .sgpr_spill_count: 0
    .symbol:         _ZN7rocprim17ROCPRIM_400000_NS6detail17trampoline_kernelINS0_14default_configENS1_22reduce_config_selectorIN6thrust23THRUST_200600_302600_NS5tupleIblNS6_9null_typeES8_S8_S8_S8_S8_S8_S8_EEEEZNS1_11reduce_implILb1ES3_NS6_12zip_iteratorINS7_INS6_11hip_rocprim26transform_input_iterator_tIbNSD_35transform_pair_of_input_iterators_tIbNS6_6detail15normal_iteratorINS6_10device_ptrIKjEEEESL_NS6_8equal_toIjEEEENSG_9not_fun_tINSD_8identityEEEEENSD_19counting_iterator_tIlEES8_S8_S8_S8_S8_S8_S8_S8_EEEEPS9_S9_NSD_9__find_if7functorIS9_EEEE10hipError_tPvRmT1_T2_T3_mT4_P12ihipStream_tbEUlT_E1_NS1_11comp_targetILNS1_3genE10ELNS1_11target_archE1200ELNS1_3gpuE4ELNS1_3repE0EEENS1_30default_config_static_selectorELNS0_4arch9wavefront6targetE1EEEvS14_.kd
    .uniform_work_group_size: 1
    .uses_dynamic_stack: false
    .vgpr_count:     0
    .vgpr_spill_count: 0
    .wavefront_size: 64
  - .agpr_count:     0
    .args:
      - .offset:         0
        .size:           88
        .value_kind:     by_value
    .group_segment_fixed_size: 0
    .kernarg_segment_align: 8
    .kernarg_segment_size: 88
    .language:       OpenCL C
    .language_version:
      - 2
      - 0
    .max_flat_workgroup_size: 256
    .name:           _ZN7rocprim17ROCPRIM_400000_NS6detail17trampoline_kernelINS0_14default_configENS1_22reduce_config_selectorIN6thrust23THRUST_200600_302600_NS5tupleIblNS6_9null_typeES8_S8_S8_S8_S8_S8_S8_EEEEZNS1_11reduce_implILb1ES3_NS6_12zip_iteratorINS7_INS6_11hip_rocprim26transform_input_iterator_tIbNSD_35transform_pair_of_input_iterators_tIbNS6_6detail15normal_iteratorINS6_10device_ptrIKjEEEESL_NS6_8equal_toIjEEEENSG_9not_fun_tINSD_8identityEEEEENSD_19counting_iterator_tIlEES8_S8_S8_S8_S8_S8_S8_S8_EEEEPS9_S9_NSD_9__find_if7functorIS9_EEEE10hipError_tPvRmT1_T2_T3_mT4_P12ihipStream_tbEUlT_E1_NS1_11comp_targetILNS1_3genE9ELNS1_11target_archE1100ELNS1_3gpuE3ELNS1_3repE0EEENS1_30default_config_static_selectorELNS0_4arch9wavefront6targetE1EEEvS14_
    .private_segment_fixed_size: 0
    .sgpr_count:     4
    .sgpr_spill_count: 0
    .symbol:         _ZN7rocprim17ROCPRIM_400000_NS6detail17trampoline_kernelINS0_14default_configENS1_22reduce_config_selectorIN6thrust23THRUST_200600_302600_NS5tupleIblNS6_9null_typeES8_S8_S8_S8_S8_S8_S8_EEEEZNS1_11reduce_implILb1ES3_NS6_12zip_iteratorINS7_INS6_11hip_rocprim26transform_input_iterator_tIbNSD_35transform_pair_of_input_iterators_tIbNS6_6detail15normal_iteratorINS6_10device_ptrIKjEEEESL_NS6_8equal_toIjEEEENSG_9not_fun_tINSD_8identityEEEEENSD_19counting_iterator_tIlEES8_S8_S8_S8_S8_S8_S8_S8_EEEEPS9_S9_NSD_9__find_if7functorIS9_EEEE10hipError_tPvRmT1_T2_T3_mT4_P12ihipStream_tbEUlT_E1_NS1_11comp_targetILNS1_3genE9ELNS1_11target_archE1100ELNS1_3gpuE3ELNS1_3repE0EEENS1_30default_config_static_selectorELNS0_4arch9wavefront6targetE1EEEvS14_.kd
    .uniform_work_group_size: 1
    .uses_dynamic_stack: false
    .vgpr_count:     0
    .vgpr_spill_count: 0
    .wavefront_size: 64
  - .agpr_count:     0
    .args:
      - .offset:         0
        .size:           88
        .value_kind:     by_value
    .group_segment_fixed_size: 0
    .kernarg_segment_align: 8
    .kernarg_segment_size: 88
    .language:       OpenCL C
    .language_version:
      - 2
      - 0
    .max_flat_workgroup_size: 256
    .name:           _ZN7rocprim17ROCPRIM_400000_NS6detail17trampoline_kernelINS0_14default_configENS1_22reduce_config_selectorIN6thrust23THRUST_200600_302600_NS5tupleIblNS6_9null_typeES8_S8_S8_S8_S8_S8_S8_EEEEZNS1_11reduce_implILb1ES3_NS6_12zip_iteratorINS7_INS6_11hip_rocprim26transform_input_iterator_tIbNSD_35transform_pair_of_input_iterators_tIbNS6_6detail15normal_iteratorINS6_10device_ptrIKjEEEESL_NS6_8equal_toIjEEEENSG_9not_fun_tINSD_8identityEEEEENSD_19counting_iterator_tIlEES8_S8_S8_S8_S8_S8_S8_S8_EEEEPS9_S9_NSD_9__find_if7functorIS9_EEEE10hipError_tPvRmT1_T2_T3_mT4_P12ihipStream_tbEUlT_E1_NS1_11comp_targetILNS1_3genE8ELNS1_11target_archE1030ELNS1_3gpuE2ELNS1_3repE0EEENS1_30default_config_static_selectorELNS0_4arch9wavefront6targetE1EEEvS14_
    .private_segment_fixed_size: 0
    .sgpr_count:     4
    .sgpr_spill_count: 0
    .symbol:         _ZN7rocprim17ROCPRIM_400000_NS6detail17trampoline_kernelINS0_14default_configENS1_22reduce_config_selectorIN6thrust23THRUST_200600_302600_NS5tupleIblNS6_9null_typeES8_S8_S8_S8_S8_S8_S8_EEEEZNS1_11reduce_implILb1ES3_NS6_12zip_iteratorINS7_INS6_11hip_rocprim26transform_input_iterator_tIbNSD_35transform_pair_of_input_iterators_tIbNS6_6detail15normal_iteratorINS6_10device_ptrIKjEEEESL_NS6_8equal_toIjEEEENSG_9not_fun_tINSD_8identityEEEEENSD_19counting_iterator_tIlEES8_S8_S8_S8_S8_S8_S8_S8_EEEEPS9_S9_NSD_9__find_if7functorIS9_EEEE10hipError_tPvRmT1_T2_T3_mT4_P12ihipStream_tbEUlT_E1_NS1_11comp_targetILNS1_3genE8ELNS1_11target_archE1030ELNS1_3gpuE2ELNS1_3repE0EEENS1_30default_config_static_selectorELNS0_4arch9wavefront6targetE1EEEvS14_.kd
    .uniform_work_group_size: 1
    .uses_dynamic_stack: false
    .vgpr_count:     0
    .vgpr_spill_count: 0
    .wavefront_size: 64
  - .agpr_count:     0
    .args:
      - .offset:         0
        .size:           16
        .value_kind:     by_value
      - .offset:         16
        .size:           8
        .value_kind:     by_value
      - .offset:         24
        .size:           8
        .value_kind:     by_value
    .group_segment_fixed_size: 0
    .kernarg_segment_align: 8
    .kernarg_segment_size: 32
    .language:       OpenCL C
    .language_version:
      - 2
      - 0
    .max_flat_workgroup_size: 256
    .name:           _ZN6thrust23THRUST_200600_302600_NS11hip_rocprim14__parallel_for6kernelILj256ENS1_20__uninitialized_fill7functorINS0_10device_ptrItEEtEEmLj1EEEvT0_T1_SA_
    .private_segment_fixed_size: 0
    .sgpr_count:     16
    .sgpr_spill_count: 0
    .symbol:         _ZN6thrust23THRUST_200600_302600_NS11hip_rocprim14__parallel_for6kernelILj256ENS1_20__uninitialized_fill7functorINS0_10device_ptrItEEtEEmLj1EEEvT0_T1_SA_.kd
    .uniform_work_group_size: 1
    .uses_dynamic_stack: false
    .vgpr_count:     4
    .vgpr_spill_count: 0
    .wavefront_size: 64
  - .agpr_count:     0
    .args:
      - .offset:         0
        .size:           48
        .value_kind:     by_value
    .group_segment_fixed_size: 0
    .kernarg_segment_align: 8
    .kernarg_segment_size: 48
    .language:       OpenCL C
    .language_version:
      - 2
      - 0
    .max_flat_workgroup_size: 512
    .name:           _ZN7rocprim17ROCPRIM_400000_NS6detail17trampoline_kernelINS0_14default_configENS1_21merge_config_selectorItNS0_10empty_typeEEEZNS1_10merge_implIS3_N6thrust23THRUST_200600_302600_NS6detail15normal_iteratorINS9_10device_ptrIKtEEEESF_NSB_INSC_ItEEEEPS5_SI_SI_NS9_4lessItEEEE10hipError_tPvRmT0_T1_T2_T3_T4_T5_mmT6_P12ihipStream_tbEUlT_E_NS1_11comp_targetILNS1_3genE0ELNS1_11target_archE4294967295ELNS1_3gpuE0ELNS1_3repE0EEENS1_30default_config_static_selectorELNS0_4arch9wavefront6targetE1EEEvSP_
    .private_segment_fixed_size: 0
    .sgpr_count:     4
    .sgpr_spill_count: 0
    .symbol:         _ZN7rocprim17ROCPRIM_400000_NS6detail17trampoline_kernelINS0_14default_configENS1_21merge_config_selectorItNS0_10empty_typeEEEZNS1_10merge_implIS3_N6thrust23THRUST_200600_302600_NS6detail15normal_iteratorINS9_10device_ptrIKtEEEESF_NSB_INSC_ItEEEEPS5_SI_SI_NS9_4lessItEEEE10hipError_tPvRmT0_T1_T2_T3_T4_T5_mmT6_P12ihipStream_tbEUlT_E_NS1_11comp_targetILNS1_3genE0ELNS1_11target_archE4294967295ELNS1_3gpuE0ELNS1_3repE0EEENS1_30default_config_static_selectorELNS0_4arch9wavefront6targetE1EEEvSP_.kd
    .uniform_work_group_size: 1
    .uses_dynamic_stack: false
    .vgpr_count:     0
    .vgpr_spill_count: 0
    .wavefront_size: 64
  - .agpr_count:     0
    .args:
      - .offset:         0
        .size:           48
        .value_kind:     by_value
    .group_segment_fixed_size: 0
    .kernarg_segment_align: 8
    .kernarg_segment_size: 48
    .language:       OpenCL C
    .language_version:
      - 2
      - 0
    .max_flat_workgroup_size: 256
    .name:           _ZN7rocprim17ROCPRIM_400000_NS6detail17trampoline_kernelINS0_14default_configENS1_21merge_config_selectorItNS0_10empty_typeEEEZNS1_10merge_implIS3_N6thrust23THRUST_200600_302600_NS6detail15normal_iteratorINS9_10device_ptrIKtEEEESF_NSB_INSC_ItEEEEPS5_SI_SI_NS9_4lessItEEEE10hipError_tPvRmT0_T1_T2_T3_T4_T5_mmT6_P12ihipStream_tbEUlT_E_NS1_11comp_targetILNS1_3genE5ELNS1_11target_archE942ELNS1_3gpuE9ELNS1_3repE0EEENS1_30default_config_static_selectorELNS0_4arch9wavefront6targetE1EEEvSP_
    .private_segment_fixed_size: 0
    .sgpr_count:     4
    .sgpr_spill_count: 0
    .symbol:         _ZN7rocprim17ROCPRIM_400000_NS6detail17trampoline_kernelINS0_14default_configENS1_21merge_config_selectorItNS0_10empty_typeEEEZNS1_10merge_implIS3_N6thrust23THRUST_200600_302600_NS6detail15normal_iteratorINS9_10device_ptrIKtEEEESF_NSB_INSC_ItEEEEPS5_SI_SI_NS9_4lessItEEEE10hipError_tPvRmT0_T1_T2_T3_T4_T5_mmT6_P12ihipStream_tbEUlT_E_NS1_11comp_targetILNS1_3genE5ELNS1_11target_archE942ELNS1_3gpuE9ELNS1_3repE0EEENS1_30default_config_static_selectorELNS0_4arch9wavefront6targetE1EEEvSP_.kd
    .uniform_work_group_size: 1
    .uses_dynamic_stack: false
    .vgpr_count:     0
    .vgpr_spill_count: 0
    .wavefront_size: 64
  - .agpr_count:     0
    .args:
      - .offset:         0
        .size:           48
        .value_kind:     by_value
      - .offset:         48
        .size:           4
        .value_kind:     hidden_block_count_x
      - .offset:         52
        .size:           4
        .value_kind:     hidden_block_count_y
      - .offset:         56
        .size:           4
        .value_kind:     hidden_block_count_z
      - .offset:         60
        .size:           2
        .value_kind:     hidden_group_size_x
      - .offset:         62
        .size:           2
        .value_kind:     hidden_group_size_y
      - .offset:         64
        .size:           2
        .value_kind:     hidden_group_size_z
      - .offset:         66
        .size:           2
        .value_kind:     hidden_remainder_x
      - .offset:         68
        .size:           2
        .value_kind:     hidden_remainder_y
      - .offset:         70
        .size:           2
        .value_kind:     hidden_remainder_z
      - .offset:         88
        .size:           8
        .value_kind:     hidden_global_offset_x
      - .offset:         96
        .size:           8
        .value_kind:     hidden_global_offset_y
      - .offset:         104
        .size:           8
        .value_kind:     hidden_global_offset_z
      - .offset:         112
        .size:           2
        .value_kind:     hidden_grid_dims
    .group_segment_fixed_size: 0
    .kernarg_segment_align: 8
    .kernarg_segment_size: 304
    .language:       OpenCL C
    .language_version:
      - 2
      - 0
    .max_flat_workgroup_size: 256
    .name:           _ZN7rocprim17ROCPRIM_400000_NS6detail17trampoline_kernelINS0_14default_configENS1_21merge_config_selectorItNS0_10empty_typeEEEZNS1_10merge_implIS3_N6thrust23THRUST_200600_302600_NS6detail15normal_iteratorINS9_10device_ptrIKtEEEESF_NSB_INSC_ItEEEEPS5_SI_SI_NS9_4lessItEEEE10hipError_tPvRmT0_T1_T2_T3_T4_T5_mmT6_P12ihipStream_tbEUlT_E_NS1_11comp_targetILNS1_3genE4ELNS1_11target_archE910ELNS1_3gpuE8ELNS1_3repE0EEENS1_30default_config_static_selectorELNS0_4arch9wavefront6targetE1EEEvSP_
    .private_segment_fixed_size: 0
    .sgpr_count:     18
    .sgpr_spill_count: 0
    .symbol:         _ZN7rocprim17ROCPRIM_400000_NS6detail17trampoline_kernelINS0_14default_configENS1_21merge_config_selectorItNS0_10empty_typeEEEZNS1_10merge_implIS3_N6thrust23THRUST_200600_302600_NS6detail15normal_iteratorINS9_10device_ptrIKtEEEESF_NSB_INSC_ItEEEEPS5_SI_SI_NS9_4lessItEEEE10hipError_tPvRmT0_T1_T2_T3_T4_T5_mmT6_P12ihipStream_tbEUlT_E_NS1_11comp_targetILNS1_3genE4ELNS1_11target_archE910ELNS1_3gpuE8ELNS1_3repE0EEENS1_30default_config_static_selectorELNS0_4arch9wavefront6targetE1EEEvSP_.kd
    .uniform_work_group_size: 1
    .uses_dynamic_stack: false
    .vgpr_count:     15
    .vgpr_spill_count: 0
    .wavefront_size: 64
  - .agpr_count:     0
    .args:
      - .offset:         0
        .size:           48
        .value_kind:     by_value
    .group_segment_fixed_size: 0
    .kernarg_segment_align: 8
    .kernarg_segment_size: 48
    .language:       OpenCL C
    .language_version:
      - 2
      - 0
    .max_flat_workgroup_size: 512
    .name:           _ZN7rocprim17ROCPRIM_400000_NS6detail17trampoline_kernelINS0_14default_configENS1_21merge_config_selectorItNS0_10empty_typeEEEZNS1_10merge_implIS3_N6thrust23THRUST_200600_302600_NS6detail15normal_iteratorINS9_10device_ptrIKtEEEESF_NSB_INSC_ItEEEEPS5_SI_SI_NS9_4lessItEEEE10hipError_tPvRmT0_T1_T2_T3_T4_T5_mmT6_P12ihipStream_tbEUlT_E_NS1_11comp_targetILNS1_3genE3ELNS1_11target_archE908ELNS1_3gpuE7ELNS1_3repE0EEENS1_30default_config_static_selectorELNS0_4arch9wavefront6targetE1EEEvSP_
    .private_segment_fixed_size: 0
    .sgpr_count:     4
    .sgpr_spill_count: 0
    .symbol:         _ZN7rocprim17ROCPRIM_400000_NS6detail17trampoline_kernelINS0_14default_configENS1_21merge_config_selectorItNS0_10empty_typeEEEZNS1_10merge_implIS3_N6thrust23THRUST_200600_302600_NS6detail15normal_iteratorINS9_10device_ptrIKtEEEESF_NSB_INSC_ItEEEEPS5_SI_SI_NS9_4lessItEEEE10hipError_tPvRmT0_T1_T2_T3_T4_T5_mmT6_P12ihipStream_tbEUlT_E_NS1_11comp_targetILNS1_3genE3ELNS1_11target_archE908ELNS1_3gpuE7ELNS1_3repE0EEENS1_30default_config_static_selectorELNS0_4arch9wavefront6targetE1EEEvSP_.kd
    .uniform_work_group_size: 1
    .uses_dynamic_stack: false
    .vgpr_count:     0
    .vgpr_spill_count: 0
    .wavefront_size: 64
  - .agpr_count:     0
    .args:
      - .offset:         0
        .size:           48
        .value_kind:     by_value
    .group_segment_fixed_size: 0
    .kernarg_segment_align: 8
    .kernarg_segment_size: 48
    .language:       OpenCL C
    .language_version:
      - 2
      - 0
    .max_flat_workgroup_size: 256
    .name:           _ZN7rocprim17ROCPRIM_400000_NS6detail17trampoline_kernelINS0_14default_configENS1_21merge_config_selectorItNS0_10empty_typeEEEZNS1_10merge_implIS3_N6thrust23THRUST_200600_302600_NS6detail15normal_iteratorINS9_10device_ptrIKtEEEESF_NSB_INSC_ItEEEEPS5_SI_SI_NS9_4lessItEEEE10hipError_tPvRmT0_T1_T2_T3_T4_T5_mmT6_P12ihipStream_tbEUlT_E_NS1_11comp_targetILNS1_3genE2ELNS1_11target_archE906ELNS1_3gpuE6ELNS1_3repE0EEENS1_30default_config_static_selectorELNS0_4arch9wavefront6targetE1EEEvSP_
    .private_segment_fixed_size: 0
    .sgpr_count:     4
    .sgpr_spill_count: 0
    .symbol:         _ZN7rocprim17ROCPRIM_400000_NS6detail17trampoline_kernelINS0_14default_configENS1_21merge_config_selectorItNS0_10empty_typeEEEZNS1_10merge_implIS3_N6thrust23THRUST_200600_302600_NS6detail15normal_iteratorINS9_10device_ptrIKtEEEESF_NSB_INSC_ItEEEEPS5_SI_SI_NS9_4lessItEEEE10hipError_tPvRmT0_T1_T2_T3_T4_T5_mmT6_P12ihipStream_tbEUlT_E_NS1_11comp_targetILNS1_3genE2ELNS1_11target_archE906ELNS1_3gpuE6ELNS1_3repE0EEENS1_30default_config_static_selectorELNS0_4arch9wavefront6targetE1EEEvSP_.kd
    .uniform_work_group_size: 1
    .uses_dynamic_stack: false
    .vgpr_count:     0
    .vgpr_spill_count: 0
    .wavefront_size: 64
  - .agpr_count:     0
    .args:
      - .offset:         0
        .size:           48
        .value_kind:     by_value
    .group_segment_fixed_size: 0
    .kernarg_segment_align: 8
    .kernarg_segment_size: 48
    .language:       OpenCL C
    .language_version:
      - 2
      - 0
    .max_flat_workgroup_size: 512
    .name:           _ZN7rocprim17ROCPRIM_400000_NS6detail17trampoline_kernelINS0_14default_configENS1_21merge_config_selectorItNS0_10empty_typeEEEZNS1_10merge_implIS3_N6thrust23THRUST_200600_302600_NS6detail15normal_iteratorINS9_10device_ptrIKtEEEESF_NSB_INSC_ItEEEEPS5_SI_SI_NS9_4lessItEEEE10hipError_tPvRmT0_T1_T2_T3_T4_T5_mmT6_P12ihipStream_tbEUlT_E_NS1_11comp_targetILNS1_3genE10ELNS1_11target_archE1201ELNS1_3gpuE5ELNS1_3repE0EEENS1_30default_config_static_selectorELNS0_4arch9wavefront6targetE1EEEvSP_
    .private_segment_fixed_size: 0
    .sgpr_count:     4
    .sgpr_spill_count: 0
    .symbol:         _ZN7rocprim17ROCPRIM_400000_NS6detail17trampoline_kernelINS0_14default_configENS1_21merge_config_selectorItNS0_10empty_typeEEEZNS1_10merge_implIS3_N6thrust23THRUST_200600_302600_NS6detail15normal_iteratorINS9_10device_ptrIKtEEEESF_NSB_INSC_ItEEEEPS5_SI_SI_NS9_4lessItEEEE10hipError_tPvRmT0_T1_T2_T3_T4_T5_mmT6_P12ihipStream_tbEUlT_E_NS1_11comp_targetILNS1_3genE10ELNS1_11target_archE1201ELNS1_3gpuE5ELNS1_3repE0EEENS1_30default_config_static_selectorELNS0_4arch9wavefront6targetE1EEEvSP_.kd
    .uniform_work_group_size: 1
    .uses_dynamic_stack: false
    .vgpr_count:     0
    .vgpr_spill_count: 0
    .wavefront_size: 64
  - .agpr_count:     0
    .args:
      - .offset:         0
        .size:           48
        .value_kind:     by_value
    .group_segment_fixed_size: 0
    .kernarg_segment_align: 8
    .kernarg_segment_size: 48
    .language:       OpenCL C
    .language_version:
      - 2
      - 0
    .max_flat_workgroup_size: 512
    .name:           _ZN7rocprim17ROCPRIM_400000_NS6detail17trampoline_kernelINS0_14default_configENS1_21merge_config_selectorItNS0_10empty_typeEEEZNS1_10merge_implIS3_N6thrust23THRUST_200600_302600_NS6detail15normal_iteratorINS9_10device_ptrIKtEEEESF_NSB_INSC_ItEEEEPS5_SI_SI_NS9_4lessItEEEE10hipError_tPvRmT0_T1_T2_T3_T4_T5_mmT6_P12ihipStream_tbEUlT_E_NS1_11comp_targetILNS1_3genE10ELNS1_11target_archE1200ELNS1_3gpuE4ELNS1_3repE0EEENS1_30default_config_static_selectorELNS0_4arch9wavefront6targetE1EEEvSP_
    .private_segment_fixed_size: 0
    .sgpr_count:     4
    .sgpr_spill_count: 0
    .symbol:         _ZN7rocprim17ROCPRIM_400000_NS6detail17trampoline_kernelINS0_14default_configENS1_21merge_config_selectorItNS0_10empty_typeEEEZNS1_10merge_implIS3_N6thrust23THRUST_200600_302600_NS6detail15normal_iteratorINS9_10device_ptrIKtEEEESF_NSB_INSC_ItEEEEPS5_SI_SI_NS9_4lessItEEEE10hipError_tPvRmT0_T1_T2_T3_T4_T5_mmT6_P12ihipStream_tbEUlT_E_NS1_11comp_targetILNS1_3genE10ELNS1_11target_archE1200ELNS1_3gpuE4ELNS1_3repE0EEENS1_30default_config_static_selectorELNS0_4arch9wavefront6targetE1EEEvSP_.kd
    .uniform_work_group_size: 1
    .uses_dynamic_stack: false
    .vgpr_count:     0
    .vgpr_spill_count: 0
    .wavefront_size: 64
  - .agpr_count:     0
    .args:
      - .offset:         0
        .size:           48
        .value_kind:     by_value
    .group_segment_fixed_size: 0
    .kernarg_segment_align: 8
    .kernarg_segment_size: 48
    .language:       OpenCL C
    .language_version:
      - 2
      - 0
    .max_flat_workgroup_size: 512
    .name:           _ZN7rocprim17ROCPRIM_400000_NS6detail17trampoline_kernelINS0_14default_configENS1_21merge_config_selectorItNS0_10empty_typeEEEZNS1_10merge_implIS3_N6thrust23THRUST_200600_302600_NS6detail15normal_iteratorINS9_10device_ptrIKtEEEESF_NSB_INSC_ItEEEEPS5_SI_SI_NS9_4lessItEEEE10hipError_tPvRmT0_T1_T2_T3_T4_T5_mmT6_P12ihipStream_tbEUlT_E_NS1_11comp_targetILNS1_3genE9ELNS1_11target_archE1100ELNS1_3gpuE3ELNS1_3repE0EEENS1_30default_config_static_selectorELNS0_4arch9wavefront6targetE1EEEvSP_
    .private_segment_fixed_size: 0
    .sgpr_count:     4
    .sgpr_spill_count: 0
    .symbol:         _ZN7rocprim17ROCPRIM_400000_NS6detail17trampoline_kernelINS0_14default_configENS1_21merge_config_selectorItNS0_10empty_typeEEEZNS1_10merge_implIS3_N6thrust23THRUST_200600_302600_NS6detail15normal_iteratorINS9_10device_ptrIKtEEEESF_NSB_INSC_ItEEEEPS5_SI_SI_NS9_4lessItEEEE10hipError_tPvRmT0_T1_T2_T3_T4_T5_mmT6_P12ihipStream_tbEUlT_E_NS1_11comp_targetILNS1_3genE9ELNS1_11target_archE1100ELNS1_3gpuE3ELNS1_3repE0EEENS1_30default_config_static_selectorELNS0_4arch9wavefront6targetE1EEEvSP_.kd
    .uniform_work_group_size: 1
    .uses_dynamic_stack: false
    .vgpr_count:     0
    .vgpr_spill_count: 0
    .wavefront_size: 64
  - .agpr_count:     0
    .args:
      - .offset:         0
        .size:           48
        .value_kind:     by_value
    .group_segment_fixed_size: 0
    .kernarg_segment_align: 8
    .kernarg_segment_size: 48
    .language:       OpenCL C
    .language_version:
      - 2
      - 0
    .max_flat_workgroup_size: 256
    .name:           _ZN7rocprim17ROCPRIM_400000_NS6detail17trampoline_kernelINS0_14default_configENS1_21merge_config_selectorItNS0_10empty_typeEEEZNS1_10merge_implIS3_N6thrust23THRUST_200600_302600_NS6detail15normal_iteratorINS9_10device_ptrIKtEEEESF_NSB_INSC_ItEEEEPS5_SI_SI_NS9_4lessItEEEE10hipError_tPvRmT0_T1_T2_T3_T4_T5_mmT6_P12ihipStream_tbEUlT_E_NS1_11comp_targetILNS1_3genE8ELNS1_11target_archE1030ELNS1_3gpuE2ELNS1_3repE0EEENS1_30default_config_static_selectorELNS0_4arch9wavefront6targetE1EEEvSP_
    .private_segment_fixed_size: 0
    .sgpr_count:     4
    .sgpr_spill_count: 0
    .symbol:         _ZN7rocprim17ROCPRIM_400000_NS6detail17trampoline_kernelINS0_14default_configENS1_21merge_config_selectorItNS0_10empty_typeEEEZNS1_10merge_implIS3_N6thrust23THRUST_200600_302600_NS6detail15normal_iteratorINS9_10device_ptrIKtEEEESF_NSB_INSC_ItEEEEPS5_SI_SI_NS9_4lessItEEEE10hipError_tPvRmT0_T1_T2_T3_T4_T5_mmT6_P12ihipStream_tbEUlT_E_NS1_11comp_targetILNS1_3genE8ELNS1_11target_archE1030ELNS1_3gpuE2ELNS1_3repE0EEENS1_30default_config_static_selectorELNS0_4arch9wavefront6targetE1EEEvSP_.kd
    .uniform_work_group_size: 1
    .uses_dynamic_stack: false
    .vgpr_count:     0
    .vgpr_spill_count: 0
    .wavefront_size: 64
  - .agpr_count:     0
    .args:
      - .offset:         0
        .size:           88
        .value_kind:     by_value
    .group_segment_fixed_size: 0
    .kernarg_segment_align: 8
    .kernarg_segment_size: 88
    .language:       OpenCL C
    .language_version:
      - 2
      - 0
    .max_flat_workgroup_size: 512
    .name:           _ZN7rocprim17ROCPRIM_400000_NS6detail17trampoline_kernelINS0_14default_configENS1_21merge_config_selectorItNS0_10empty_typeEEEZNS1_10merge_implIS3_N6thrust23THRUST_200600_302600_NS6detail15normal_iteratorINS9_10device_ptrIKtEEEESF_NSB_INSC_ItEEEEPS5_SI_SI_NS9_4lessItEEEE10hipError_tPvRmT0_T1_T2_T3_T4_T5_mmT6_P12ihipStream_tbEUlT_E0_NS1_11comp_targetILNS1_3genE0ELNS1_11target_archE4294967295ELNS1_3gpuE0ELNS1_3repE0EEENS1_30default_config_static_selectorELNS0_4arch9wavefront6targetE1EEEvSP_
    .private_segment_fixed_size: 0
    .sgpr_count:     4
    .sgpr_spill_count: 0
    .symbol:         _ZN7rocprim17ROCPRIM_400000_NS6detail17trampoline_kernelINS0_14default_configENS1_21merge_config_selectorItNS0_10empty_typeEEEZNS1_10merge_implIS3_N6thrust23THRUST_200600_302600_NS6detail15normal_iteratorINS9_10device_ptrIKtEEEESF_NSB_INSC_ItEEEEPS5_SI_SI_NS9_4lessItEEEE10hipError_tPvRmT0_T1_T2_T3_T4_T5_mmT6_P12ihipStream_tbEUlT_E0_NS1_11comp_targetILNS1_3genE0ELNS1_11target_archE4294967295ELNS1_3gpuE0ELNS1_3repE0EEENS1_30default_config_static_selectorELNS0_4arch9wavefront6targetE1EEEvSP_.kd
    .uniform_work_group_size: 1
    .uses_dynamic_stack: false
    .vgpr_count:     0
    .vgpr_spill_count: 0
    .wavefront_size: 64
  - .agpr_count:     0
    .args:
      - .offset:         0
        .size:           88
        .value_kind:     by_value
    .group_segment_fixed_size: 0
    .kernarg_segment_align: 8
    .kernarg_segment_size: 88
    .language:       OpenCL C
    .language_version:
      - 2
      - 0
    .max_flat_workgroup_size: 256
    .name:           _ZN7rocprim17ROCPRIM_400000_NS6detail17trampoline_kernelINS0_14default_configENS1_21merge_config_selectorItNS0_10empty_typeEEEZNS1_10merge_implIS3_N6thrust23THRUST_200600_302600_NS6detail15normal_iteratorINS9_10device_ptrIKtEEEESF_NSB_INSC_ItEEEEPS5_SI_SI_NS9_4lessItEEEE10hipError_tPvRmT0_T1_T2_T3_T4_T5_mmT6_P12ihipStream_tbEUlT_E0_NS1_11comp_targetILNS1_3genE5ELNS1_11target_archE942ELNS1_3gpuE9ELNS1_3repE0EEENS1_30default_config_static_selectorELNS0_4arch9wavefront6targetE1EEEvSP_
    .private_segment_fixed_size: 0
    .sgpr_count:     4
    .sgpr_spill_count: 0
    .symbol:         _ZN7rocprim17ROCPRIM_400000_NS6detail17trampoline_kernelINS0_14default_configENS1_21merge_config_selectorItNS0_10empty_typeEEEZNS1_10merge_implIS3_N6thrust23THRUST_200600_302600_NS6detail15normal_iteratorINS9_10device_ptrIKtEEEESF_NSB_INSC_ItEEEEPS5_SI_SI_NS9_4lessItEEEE10hipError_tPvRmT0_T1_T2_T3_T4_T5_mmT6_P12ihipStream_tbEUlT_E0_NS1_11comp_targetILNS1_3genE5ELNS1_11target_archE942ELNS1_3gpuE9ELNS1_3repE0EEENS1_30default_config_static_selectorELNS0_4arch9wavefront6targetE1EEEvSP_.kd
    .uniform_work_group_size: 1
    .uses_dynamic_stack: false
    .vgpr_count:     0
    .vgpr_spill_count: 0
    .wavefront_size: 64
  - .agpr_count:     0
    .args:
      - .offset:         0
        .size:           88
        .value_kind:     by_value
    .group_segment_fixed_size: 8448
    .kernarg_segment_align: 8
    .kernarg_segment_size: 88
    .language:       OpenCL C
    .language_version:
      - 2
      - 0
    .max_flat_workgroup_size: 256
    .name:           _ZN7rocprim17ROCPRIM_400000_NS6detail17trampoline_kernelINS0_14default_configENS1_21merge_config_selectorItNS0_10empty_typeEEEZNS1_10merge_implIS3_N6thrust23THRUST_200600_302600_NS6detail15normal_iteratorINS9_10device_ptrIKtEEEESF_NSB_INSC_ItEEEEPS5_SI_SI_NS9_4lessItEEEE10hipError_tPvRmT0_T1_T2_T3_T4_T5_mmT6_P12ihipStream_tbEUlT_E0_NS1_11comp_targetILNS1_3genE4ELNS1_11target_archE910ELNS1_3gpuE8ELNS1_3repE0EEENS1_30default_config_static_selectorELNS0_4arch9wavefront6targetE1EEEvSP_
    .private_segment_fixed_size: 0
    .sgpr_count:     40
    .sgpr_spill_count: 0
    .symbol:         _ZN7rocprim17ROCPRIM_400000_NS6detail17trampoline_kernelINS0_14default_configENS1_21merge_config_selectorItNS0_10empty_typeEEEZNS1_10merge_implIS3_N6thrust23THRUST_200600_302600_NS6detail15normal_iteratorINS9_10device_ptrIKtEEEESF_NSB_INSC_ItEEEEPS5_SI_SI_NS9_4lessItEEEE10hipError_tPvRmT0_T1_T2_T3_T4_T5_mmT6_P12ihipStream_tbEUlT_E0_NS1_11comp_targetILNS1_3genE4ELNS1_11target_archE910ELNS1_3gpuE8ELNS1_3repE0EEENS1_30default_config_static_selectorELNS0_4arch9wavefront6targetE1EEEvSP_.kd
    .uniform_work_group_size: 1
    .uses_dynamic_stack: false
    .vgpr_count:     50
    .vgpr_spill_count: 0
    .wavefront_size: 64
  - .agpr_count:     0
    .args:
      - .offset:         0
        .size:           88
        .value_kind:     by_value
    .group_segment_fixed_size: 0
    .kernarg_segment_align: 8
    .kernarg_segment_size: 88
    .language:       OpenCL C
    .language_version:
      - 2
      - 0
    .max_flat_workgroup_size: 512
    .name:           _ZN7rocprim17ROCPRIM_400000_NS6detail17trampoline_kernelINS0_14default_configENS1_21merge_config_selectorItNS0_10empty_typeEEEZNS1_10merge_implIS3_N6thrust23THRUST_200600_302600_NS6detail15normal_iteratorINS9_10device_ptrIKtEEEESF_NSB_INSC_ItEEEEPS5_SI_SI_NS9_4lessItEEEE10hipError_tPvRmT0_T1_T2_T3_T4_T5_mmT6_P12ihipStream_tbEUlT_E0_NS1_11comp_targetILNS1_3genE3ELNS1_11target_archE908ELNS1_3gpuE7ELNS1_3repE0EEENS1_30default_config_static_selectorELNS0_4arch9wavefront6targetE1EEEvSP_
    .private_segment_fixed_size: 0
    .sgpr_count:     4
    .sgpr_spill_count: 0
    .symbol:         _ZN7rocprim17ROCPRIM_400000_NS6detail17trampoline_kernelINS0_14default_configENS1_21merge_config_selectorItNS0_10empty_typeEEEZNS1_10merge_implIS3_N6thrust23THRUST_200600_302600_NS6detail15normal_iteratorINS9_10device_ptrIKtEEEESF_NSB_INSC_ItEEEEPS5_SI_SI_NS9_4lessItEEEE10hipError_tPvRmT0_T1_T2_T3_T4_T5_mmT6_P12ihipStream_tbEUlT_E0_NS1_11comp_targetILNS1_3genE3ELNS1_11target_archE908ELNS1_3gpuE7ELNS1_3repE0EEENS1_30default_config_static_selectorELNS0_4arch9wavefront6targetE1EEEvSP_.kd
    .uniform_work_group_size: 1
    .uses_dynamic_stack: false
    .vgpr_count:     0
    .vgpr_spill_count: 0
    .wavefront_size: 64
  - .agpr_count:     0
    .args:
      - .offset:         0
        .size:           88
        .value_kind:     by_value
    .group_segment_fixed_size: 0
    .kernarg_segment_align: 8
    .kernarg_segment_size: 88
    .language:       OpenCL C
    .language_version:
      - 2
      - 0
    .max_flat_workgroup_size: 256
    .name:           _ZN7rocprim17ROCPRIM_400000_NS6detail17trampoline_kernelINS0_14default_configENS1_21merge_config_selectorItNS0_10empty_typeEEEZNS1_10merge_implIS3_N6thrust23THRUST_200600_302600_NS6detail15normal_iteratorINS9_10device_ptrIKtEEEESF_NSB_INSC_ItEEEEPS5_SI_SI_NS9_4lessItEEEE10hipError_tPvRmT0_T1_T2_T3_T4_T5_mmT6_P12ihipStream_tbEUlT_E0_NS1_11comp_targetILNS1_3genE2ELNS1_11target_archE906ELNS1_3gpuE6ELNS1_3repE0EEENS1_30default_config_static_selectorELNS0_4arch9wavefront6targetE1EEEvSP_
    .private_segment_fixed_size: 0
    .sgpr_count:     4
    .sgpr_spill_count: 0
    .symbol:         _ZN7rocprim17ROCPRIM_400000_NS6detail17trampoline_kernelINS0_14default_configENS1_21merge_config_selectorItNS0_10empty_typeEEEZNS1_10merge_implIS3_N6thrust23THRUST_200600_302600_NS6detail15normal_iteratorINS9_10device_ptrIKtEEEESF_NSB_INSC_ItEEEEPS5_SI_SI_NS9_4lessItEEEE10hipError_tPvRmT0_T1_T2_T3_T4_T5_mmT6_P12ihipStream_tbEUlT_E0_NS1_11comp_targetILNS1_3genE2ELNS1_11target_archE906ELNS1_3gpuE6ELNS1_3repE0EEENS1_30default_config_static_selectorELNS0_4arch9wavefront6targetE1EEEvSP_.kd
    .uniform_work_group_size: 1
    .uses_dynamic_stack: false
    .vgpr_count:     0
    .vgpr_spill_count: 0
    .wavefront_size: 64
  - .agpr_count:     0
    .args:
      - .offset:         0
        .size:           88
        .value_kind:     by_value
    .group_segment_fixed_size: 0
    .kernarg_segment_align: 8
    .kernarg_segment_size: 88
    .language:       OpenCL C
    .language_version:
      - 2
      - 0
    .max_flat_workgroup_size: 512
    .name:           _ZN7rocprim17ROCPRIM_400000_NS6detail17trampoline_kernelINS0_14default_configENS1_21merge_config_selectorItNS0_10empty_typeEEEZNS1_10merge_implIS3_N6thrust23THRUST_200600_302600_NS6detail15normal_iteratorINS9_10device_ptrIKtEEEESF_NSB_INSC_ItEEEEPS5_SI_SI_NS9_4lessItEEEE10hipError_tPvRmT0_T1_T2_T3_T4_T5_mmT6_P12ihipStream_tbEUlT_E0_NS1_11comp_targetILNS1_3genE10ELNS1_11target_archE1201ELNS1_3gpuE5ELNS1_3repE0EEENS1_30default_config_static_selectorELNS0_4arch9wavefront6targetE1EEEvSP_
    .private_segment_fixed_size: 0
    .sgpr_count:     4
    .sgpr_spill_count: 0
    .symbol:         _ZN7rocprim17ROCPRIM_400000_NS6detail17trampoline_kernelINS0_14default_configENS1_21merge_config_selectorItNS0_10empty_typeEEEZNS1_10merge_implIS3_N6thrust23THRUST_200600_302600_NS6detail15normal_iteratorINS9_10device_ptrIKtEEEESF_NSB_INSC_ItEEEEPS5_SI_SI_NS9_4lessItEEEE10hipError_tPvRmT0_T1_T2_T3_T4_T5_mmT6_P12ihipStream_tbEUlT_E0_NS1_11comp_targetILNS1_3genE10ELNS1_11target_archE1201ELNS1_3gpuE5ELNS1_3repE0EEENS1_30default_config_static_selectorELNS0_4arch9wavefront6targetE1EEEvSP_.kd
    .uniform_work_group_size: 1
    .uses_dynamic_stack: false
    .vgpr_count:     0
    .vgpr_spill_count: 0
    .wavefront_size: 64
  - .agpr_count:     0
    .args:
      - .offset:         0
        .size:           88
        .value_kind:     by_value
    .group_segment_fixed_size: 0
    .kernarg_segment_align: 8
    .kernarg_segment_size: 88
    .language:       OpenCL C
    .language_version:
      - 2
      - 0
    .max_flat_workgroup_size: 512
    .name:           _ZN7rocprim17ROCPRIM_400000_NS6detail17trampoline_kernelINS0_14default_configENS1_21merge_config_selectorItNS0_10empty_typeEEEZNS1_10merge_implIS3_N6thrust23THRUST_200600_302600_NS6detail15normal_iteratorINS9_10device_ptrIKtEEEESF_NSB_INSC_ItEEEEPS5_SI_SI_NS9_4lessItEEEE10hipError_tPvRmT0_T1_T2_T3_T4_T5_mmT6_P12ihipStream_tbEUlT_E0_NS1_11comp_targetILNS1_3genE10ELNS1_11target_archE1200ELNS1_3gpuE4ELNS1_3repE0EEENS1_30default_config_static_selectorELNS0_4arch9wavefront6targetE1EEEvSP_
    .private_segment_fixed_size: 0
    .sgpr_count:     4
    .sgpr_spill_count: 0
    .symbol:         _ZN7rocprim17ROCPRIM_400000_NS6detail17trampoline_kernelINS0_14default_configENS1_21merge_config_selectorItNS0_10empty_typeEEEZNS1_10merge_implIS3_N6thrust23THRUST_200600_302600_NS6detail15normal_iteratorINS9_10device_ptrIKtEEEESF_NSB_INSC_ItEEEEPS5_SI_SI_NS9_4lessItEEEE10hipError_tPvRmT0_T1_T2_T3_T4_T5_mmT6_P12ihipStream_tbEUlT_E0_NS1_11comp_targetILNS1_3genE10ELNS1_11target_archE1200ELNS1_3gpuE4ELNS1_3repE0EEENS1_30default_config_static_selectorELNS0_4arch9wavefront6targetE1EEEvSP_.kd
    .uniform_work_group_size: 1
    .uses_dynamic_stack: false
    .vgpr_count:     0
    .vgpr_spill_count: 0
    .wavefront_size: 64
  - .agpr_count:     0
    .args:
      - .offset:         0
        .size:           88
        .value_kind:     by_value
    .group_segment_fixed_size: 0
    .kernarg_segment_align: 8
    .kernarg_segment_size: 88
    .language:       OpenCL C
    .language_version:
      - 2
      - 0
    .max_flat_workgroup_size: 512
    .name:           _ZN7rocprim17ROCPRIM_400000_NS6detail17trampoline_kernelINS0_14default_configENS1_21merge_config_selectorItNS0_10empty_typeEEEZNS1_10merge_implIS3_N6thrust23THRUST_200600_302600_NS6detail15normal_iteratorINS9_10device_ptrIKtEEEESF_NSB_INSC_ItEEEEPS5_SI_SI_NS9_4lessItEEEE10hipError_tPvRmT0_T1_T2_T3_T4_T5_mmT6_P12ihipStream_tbEUlT_E0_NS1_11comp_targetILNS1_3genE9ELNS1_11target_archE1100ELNS1_3gpuE3ELNS1_3repE0EEENS1_30default_config_static_selectorELNS0_4arch9wavefront6targetE1EEEvSP_
    .private_segment_fixed_size: 0
    .sgpr_count:     4
    .sgpr_spill_count: 0
    .symbol:         _ZN7rocprim17ROCPRIM_400000_NS6detail17trampoline_kernelINS0_14default_configENS1_21merge_config_selectorItNS0_10empty_typeEEEZNS1_10merge_implIS3_N6thrust23THRUST_200600_302600_NS6detail15normal_iteratorINS9_10device_ptrIKtEEEESF_NSB_INSC_ItEEEEPS5_SI_SI_NS9_4lessItEEEE10hipError_tPvRmT0_T1_T2_T3_T4_T5_mmT6_P12ihipStream_tbEUlT_E0_NS1_11comp_targetILNS1_3genE9ELNS1_11target_archE1100ELNS1_3gpuE3ELNS1_3repE0EEENS1_30default_config_static_selectorELNS0_4arch9wavefront6targetE1EEEvSP_.kd
    .uniform_work_group_size: 1
    .uses_dynamic_stack: false
    .vgpr_count:     0
    .vgpr_spill_count: 0
    .wavefront_size: 64
  - .agpr_count:     0
    .args:
      - .offset:         0
        .size:           88
        .value_kind:     by_value
    .group_segment_fixed_size: 0
    .kernarg_segment_align: 8
    .kernarg_segment_size: 88
    .language:       OpenCL C
    .language_version:
      - 2
      - 0
    .max_flat_workgroup_size: 256
    .name:           _ZN7rocprim17ROCPRIM_400000_NS6detail17trampoline_kernelINS0_14default_configENS1_21merge_config_selectorItNS0_10empty_typeEEEZNS1_10merge_implIS3_N6thrust23THRUST_200600_302600_NS6detail15normal_iteratorINS9_10device_ptrIKtEEEESF_NSB_INSC_ItEEEEPS5_SI_SI_NS9_4lessItEEEE10hipError_tPvRmT0_T1_T2_T3_T4_T5_mmT6_P12ihipStream_tbEUlT_E0_NS1_11comp_targetILNS1_3genE8ELNS1_11target_archE1030ELNS1_3gpuE2ELNS1_3repE0EEENS1_30default_config_static_selectorELNS0_4arch9wavefront6targetE1EEEvSP_
    .private_segment_fixed_size: 0
    .sgpr_count:     4
    .sgpr_spill_count: 0
    .symbol:         _ZN7rocprim17ROCPRIM_400000_NS6detail17trampoline_kernelINS0_14default_configENS1_21merge_config_selectorItNS0_10empty_typeEEEZNS1_10merge_implIS3_N6thrust23THRUST_200600_302600_NS6detail15normal_iteratorINS9_10device_ptrIKtEEEESF_NSB_INSC_ItEEEEPS5_SI_SI_NS9_4lessItEEEE10hipError_tPvRmT0_T1_T2_T3_T4_T5_mmT6_P12ihipStream_tbEUlT_E0_NS1_11comp_targetILNS1_3genE8ELNS1_11target_archE1030ELNS1_3gpuE2ELNS1_3repE0EEENS1_30default_config_static_selectorELNS0_4arch9wavefront6targetE1EEEvSP_.kd
    .uniform_work_group_size: 1
    .uses_dynamic_stack: false
    .vgpr_count:     0
    .vgpr_spill_count: 0
    .wavefront_size: 64
  - .agpr_count:     0
    .args:
      - .offset:         0
        .size:           104
        .value_kind:     by_value
    .group_segment_fixed_size: 0
    .kernarg_segment_align: 8
    .kernarg_segment_size: 104
    .language:       OpenCL C
    .language_version:
      - 2
      - 0
    .max_flat_workgroup_size: 128
    .name:           _ZN7rocprim17ROCPRIM_400000_NS6detail17trampoline_kernelINS0_14default_configENS1_22reduce_config_selectorIN6thrust23THRUST_200600_302600_NS5tupleIblNS6_9null_typeES8_S8_S8_S8_S8_S8_S8_EEEEZNS1_11reduce_implILb1ES3_NS6_12zip_iteratorINS7_INS6_11hip_rocprim26transform_input_iterator_tIbNSD_35transform_pair_of_input_iterators_tIbNS6_6detail15normal_iteratorINS6_10device_ptrIKtEEEESL_NS6_8equal_toItEEEENSG_9not_fun_tINSD_8identityEEEEENSD_19counting_iterator_tIlEES8_S8_S8_S8_S8_S8_S8_S8_EEEEPS9_S9_NSD_9__find_if7functorIS9_EEEE10hipError_tPvRmT1_T2_T3_mT4_P12ihipStream_tbEUlT_E0_NS1_11comp_targetILNS1_3genE0ELNS1_11target_archE4294967295ELNS1_3gpuE0ELNS1_3repE0EEENS1_30default_config_static_selectorELNS0_4arch9wavefront6targetE1EEEvS14_
    .private_segment_fixed_size: 0
    .sgpr_count:     4
    .sgpr_spill_count: 0
    .symbol:         _ZN7rocprim17ROCPRIM_400000_NS6detail17trampoline_kernelINS0_14default_configENS1_22reduce_config_selectorIN6thrust23THRUST_200600_302600_NS5tupleIblNS6_9null_typeES8_S8_S8_S8_S8_S8_S8_EEEEZNS1_11reduce_implILb1ES3_NS6_12zip_iteratorINS7_INS6_11hip_rocprim26transform_input_iterator_tIbNSD_35transform_pair_of_input_iterators_tIbNS6_6detail15normal_iteratorINS6_10device_ptrIKtEEEESL_NS6_8equal_toItEEEENSG_9not_fun_tINSD_8identityEEEEENSD_19counting_iterator_tIlEES8_S8_S8_S8_S8_S8_S8_S8_EEEEPS9_S9_NSD_9__find_if7functorIS9_EEEE10hipError_tPvRmT1_T2_T3_mT4_P12ihipStream_tbEUlT_E0_NS1_11comp_targetILNS1_3genE0ELNS1_11target_archE4294967295ELNS1_3gpuE0ELNS1_3repE0EEENS1_30default_config_static_selectorELNS0_4arch9wavefront6targetE1EEEvS14_.kd
    .uniform_work_group_size: 1
    .uses_dynamic_stack: false
    .vgpr_count:     0
    .vgpr_spill_count: 0
    .wavefront_size: 64
  - .agpr_count:     0
    .args:
      - .offset:         0
        .size:           104
        .value_kind:     by_value
    .group_segment_fixed_size: 0
    .kernarg_segment_align: 8
    .kernarg_segment_size: 104
    .language:       OpenCL C
    .language_version:
      - 2
      - 0
    .max_flat_workgroup_size: 256
    .name:           _ZN7rocprim17ROCPRIM_400000_NS6detail17trampoline_kernelINS0_14default_configENS1_22reduce_config_selectorIN6thrust23THRUST_200600_302600_NS5tupleIblNS6_9null_typeES8_S8_S8_S8_S8_S8_S8_EEEEZNS1_11reduce_implILb1ES3_NS6_12zip_iteratorINS7_INS6_11hip_rocprim26transform_input_iterator_tIbNSD_35transform_pair_of_input_iterators_tIbNS6_6detail15normal_iteratorINS6_10device_ptrIKtEEEESL_NS6_8equal_toItEEEENSG_9not_fun_tINSD_8identityEEEEENSD_19counting_iterator_tIlEES8_S8_S8_S8_S8_S8_S8_S8_EEEEPS9_S9_NSD_9__find_if7functorIS9_EEEE10hipError_tPvRmT1_T2_T3_mT4_P12ihipStream_tbEUlT_E0_NS1_11comp_targetILNS1_3genE5ELNS1_11target_archE942ELNS1_3gpuE9ELNS1_3repE0EEENS1_30default_config_static_selectorELNS0_4arch9wavefront6targetE1EEEvS14_
    .private_segment_fixed_size: 0
    .sgpr_count:     4
    .sgpr_spill_count: 0
    .symbol:         _ZN7rocprim17ROCPRIM_400000_NS6detail17trampoline_kernelINS0_14default_configENS1_22reduce_config_selectorIN6thrust23THRUST_200600_302600_NS5tupleIblNS6_9null_typeES8_S8_S8_S8_S8_S8_S8_EEEEZNS1_11reduce_implILb1ES3_NS6_12zip_iteratorINS7_INS6_11hip_rocprim26transform_input_iterator_tIbNSD_35transform_pair_of_input_iterators_tIbNS6_6detail15normal_iteratorINS6_10device_ptrIKtEEEESL_NS6_8equal_toItEEEENSG_9not_fun_tINSD_8identityEEEEENSD_19counting_iterator_tIlEES8_S8_S8_S8_S8_S8_S8_S8_EEEEPS9_S9_NSD_9__find_if7functorIS9_EEEE10hipError_tPvRmT1_T2_T3_mT4_P12ihipStream_tbEUlT_E0_NS1_11comp_targetILNS1_3genE5ELNS1_11target_archE942ELNS1_3gpuE9ELNS1_3repE0EEENS1_30default_config_static_selectorELNS0_4arch9wavefront6targetE1EEEvS14_.kd
    .uniform_work_group_size: 1
    .uses_dynamic_stack: false
    .vgpr_count:     0
    .vgpr_spill_count: 0
    .wavefront_size: 64
  - .agpr_count:     0
    .args:
      - .offset:         0
        .size:           104
        .value_kind:     by_value
    .group_segment_fixed_size: 128
    .kernarg_segment_align: 8
    .kernarg_segment_size: 104
    .language:       OpenCL C
    .language_version:
      - 2
      - 0
    .max_flat_workgroup_size: 256
    .name:           _ZN7rocprim17ROCPRIM_400000_NS6detail17trampoline_kernelINS0_14default_configENS1_22reduce_config_selectorIN6thrust23THRUST_200600_302600_NS5tupleIblNS6_9null_typeES8_S8_S8_S8_S8_S8_S8_EEEEZNS1_11reduce_implILb1ES3_NS6_12zip_iteratorINS7_INS6_11hip_rocprim26transform_input_iterator_tIbNSD_35transform_pair_of_input_iterators_tIbNS6_6detail15normal_iteratorINS6_10device_ptrIKtEEEESL_NS6_8equal_toItEEEENSG_9not_fun_tINSD_8identityEEEEENSD_19counting_iterator_tIlEES8_S8_S8_S8_S8_S8_S8_S8_EEEEPS9_S9_NSD_9__find_if7functorIS9_EEEE10hipError_tPvRmT1_T2_T3_mT4_P12ihipStream_tbEUlT_E0_NS1_11comp_targetILNS1_3genE4ELNS1_11target_archE910ELNS1_3gpuE8ELNS1_3repE0EEENS1_30default_config_static_selectorELNS0_4arch9wavefront6targetE1EEEvS14_
    .private_segment_fixed_size: 0
    .sgpr_count:     32
    .sgpr_spill_count: 0
    .symbol:         _ZN7rocprim17ROCPRIM_400000_NS6detail17trampoline_kernelINS0_14default_configENS1_22reduce_config_selectorIN6thrust23THRUST_200600_302600_NS5tupleIblNS6_9null_typeES8_S8_S8_S8_S8_S8_S8_EEEEZNS1_11reduce_implILb1ES3_NS6_12zip_iteratorINS7_INS6_11hip_rocprim26transform_input_iterator_tIbNSD_35transform_pair_of_input_iterators_tIbNS6_6detail15normal_iteratorINS6_10device_ptrIKtEEEESL_NS6_8equal_toItEEEENSG_9not_fun_tINSD_8identityEEEEENSD_19counting_iterator_tIlEES8_S8_S8_S8_S8_S8_S8_S8_EEEEPS9_S9_NSD_9__find_if7functorIS9_EEEE10hipError_tPvRmT1_T2_T3_mT4_P12ihipStream_tbEUlT_E0_NS1_11comp_targetILNS1_3genE4ELNS1_11target_archE910ELNS1_3gpuE8ELNS1_3repE0EEENS1_30default_config_static_selectorELNS0_4arch9wavefront6targetE1EEEvS14_.kd
    .uniform_work_group_size: 1
    .uses_dynamic_stack: false
    .vgpr_count:     12
    .vgpr_spill_count: 0
    .wavefront_size: 64
  - .agpr_count:     0
    .args:
      - .offset:         0
        .size:           104
        .value_kind:     by_value
    .group_segment_fixed_size: 0
    .kernarg_segment_align: 8
    .kernarg_segment_size: 104
    .language:       OpenCL C
    .language_version:
      - 2
      - 0
    .max_flat_workgroup_size: 128
    .name:           _ZN7rocprim17ROCPRIM_400000_NS6detail17trampoline_kernelINS0_14default_configENS1_22reduce_config_selectorIN6thrust23THRUST_200600_302600_NS5tupleIblNS6_9null_typeES8_S8_S8_S8_S8_S8_S8_EEEEZNS1_11reduce_implILb1ES3_NS6_12zip_iteratorINS7_INS6_11hip_rocprim26transform_input_iterator_tIbNSD_35transform_pair_of_input_iterators_tIbNS6_6detail15normal_iteratorINS6_10device_ptrIKtEEEESL_NS6_8equal_toItEEEENSG_9not_fun_tINSD_8identityEEEEENSD_19counting_iterator_tIlEES8_S8_S8_S8_S8_S8_S8_S8_EEEEPS9_S9_NSD_9__find_if7functorIS9_EEEE10hipError_tPvRmT1_T2_T3_mT4_P12ihipStream_tbEUlT_E0_NS1_11comp_targetILNS1_3genE3ELNS1_11target_archE908ELNS1_3gpuE7ELNS1_3repE0EEENS1_30default_config_static_selectorELNS0_4arch9wavefront6targetE1EEEvS14_
    .private_segment_fixed_size: 0
    .sgpr_count:     4
    .sgpr_spill_count: 0
    .symbol:         _ZN7rocprim17ROCPRIM_400000_NS6detail17trampoline_kernelINS0_14default_configENS1_22reduce_config_selectorIN6thrust23THRUST_200600_302600_NS5tupleIblNS6_9null_typeES8_S8_S8_S8_S8_S8_S8_EEEEZNS1_11reduce_implILb1ES3_NS6_12zip_iteratorINS7_INS6_11hip_rocprim26transform_input_iterator_tIbNSD_35transform_pair_of_input_iterators_tIbNS6_6detail15normal_iteratorINS6_10device_ptrIKtEEEESL_NS6_8equal_toItEEEENSG_9not_fun_tINSD_8identityEEEEENSD_19counting_iterator_tIlEES8_S8_S8_S8_S8_S8_S8_S8_EEEEPS9_S9_NSD_9__find_if7functorIS9_EEEE10hipError_tPvRmT1_T2_T3_mT4_P12ihipStream_tbEUlT_E0_NS1_11comp_targetILNS1_3genE3ELNS1_11target_archE908ELNS1_3gpuE7ELNS1_3repE0EEENS1_30default_config_static_selectorELNS0_4arch9wavefront6targetE1EEEvS14_.kd
    .uniform_work_group_size: 1
    .uses_dynamic_stack: false
    .vgpr_count:     0
    .vgpr_spill_count: 0
    .wavefront_size: 64
  - .agpr_count:     0
    .args:
      - .offset:         0
        .size:           104
        .value_kind:     by_value
    .group_segment_fixed_size: 0
    .kernarg_segment_align: 8
    .kernarg_segment_size: 104
    .language:       OpenCL C
    .language_version:
      - 2
      - 0
    .max_flat_workgroup_size: 128
    .name:           _ZN7rocprim17ROCPRIM_400000_NS6detail17trampoline_kernelINS0_14default_configENS1_22reduce_config_selectorIN6thrust23THRUST_200600_302600_NS5tupleIblNS6_9null_typeES8_S8_S8_S8_S8_S8_S8_EEEEZNS1_11reduce_implILb1ES3_NS6_12zip_iteratorINS7_INS6_11hip_rocprim26transform_input_iterator_tIbNSD_35transform_pair_of_input_iterators_tIbNS6_6detail15normal_iteratorINS6_10device_ptrIKtEEEESL_NS6_8equal_toItEEEENSG_9not_fun_tINSD_8identityEEEEENSD_19counting_iterator_tIlEES8_S8_S8_S8_S8_S8_S8_S8_EEEEPS9_S9_NSD_9__find_if7functorIS9_EEEE10hipError_tPvRmT1_T2_T3_mT4_P12ihipStream_tbEUlT_E0_NS1_11comp_targetILNS1_3genE2ELNS1_11target_archE906ELNS1_3gpuE6ELNS1_3repE0EEENS1_30default_config_static_selectorELNS0_4arch9wavefront6targetE1EEEvS14_
    .private_segment_fixed_size: 0
    .sgpr_count:     4
    .sgpr_spill_count: 0
    .symbol:         _ZN7rocprim17ROCPRIM_400000_NS6detail17trampoline_kernelINS0_14default_configENS1_22reduce_config_selectorIN6thrust23THRUST_200600_302600_NS5tupleIblNS6_9null_typeES8_S8_S8_S8_S8_S8_S8_EEEEZNS1_11reduce_implILb1ES3_NS6_12zip_iteratorINS7_INS6_11hip_rocprim26transform_input_iterator_tIbNSD_35transform_pair_of_input_iterators_tIbNS6_6detail15normal_iteratorINS6_10device_ptrIKtEEEESL_NS6_8equal_toItEEEENSG_9not_fun_tINSD_8identityEEEEENSD_19counting_iterator_tIlEES8_S8_S8_S8_S8_S8_S8_S8_EEEEPS9_S9_NSD_9__find_if7functorIS9_EEEE10hipError_tPvRmT1_T2_T3_mT4_P12ihipStream_tbEUlT_E0_NS1_11comp_targetILNS1_3genE2ELNS1_11target_archE906ELNS1_3gpuE6ELNS1_3repE0EEENS1_30default_config_static_selectorELNS0_4arch9wavefront6targetE1EEEvS14_.kd
    .uniform_work_group_size: 1
    .uses_dynamic_stack: false
    .vgpr_count:     0
    .vgpr_spill_count: 0
    .wavefront_size: 64
  - .agpr_count:     0
    .args:
      - .offset:         0
        .size:           104
        .value_kind:     by_value
    .group_segment_fixed_size: 0
    .kernarg_segment_align: 8
    .kernarg_segment_size: 104
    .language:       OpenCL C
    .language_version:
      - 2
      - 0
    .max_flat_workgroup_size: 256
    .name:           _ZN7rocprim17ROCPRIM_400000_NS6detail17trampoline_kernelINS0_14default_configENS1_22reduce_config_selectorIN6thrust23THRUST_200600_302600_NS5tupleIblNS6_9null_typeES8_S8_S8_S8_S8_S8_S8_EEEEZNS1_11reduce_implILb1ES3_NS6_12zip_iteratorINS7_INS6_11hip_rocprim26transform_input_iterator_tIbNSD_35transform_pair_of_input_iterators_tIbNS6_6detail15normal_iteratorINS6_10device_ptrIKtEEEESL_NS6_8equal_toItEEEENSG_9not_fun_tINSD_8identityEEEEENSD_19counting_iterator_tIlEES8_S8_S8_S8_S8_S8_S8_S8_EEEEPS9_S9_NSD_9__find_if7functorIS9_EEEE10hipError_tPvRmT1_T2_T3_mT4_P12ihipStream_tbEUlT_E0_NS1_11comp_targetILNS1_3genE10ELNS1_11target_archE1201ELNS1_3gpuE5ELNS1_3repE0EEENS1_30default_config_static_selectorELNS0_4arch9wavefront6targetE1EEEvS14_
    .private_segment_fixed_size: 0
    .sgpr_count:     4
    .sgpr_spill_count: 0
    .symbol:         _ZN7rocprim17ROCPRIM_400000_NS6detail17trampoline_kernelINS0_14default_configENS1_22reduce_config_selectorIN6thrust23THRUST_200600_302600_NS5tupleIblNS6_9null_typeES8_S8_S8_S8_S8_S8_S8_EEEEZNS1_11reduce_implILb1ES3_NS6_12zip_iteratorINS7_INS6_11hip_rocprim26transform_input_iterator_tIbNSD_35transform_pair_of_input_iterators_tIbNS6_6detail15normal_iteratorINS6_10device_ptrIKtEEEESL_NS6_8equal_toItEEEENSG_9not_fun_tINSD_8identityEEEEENSD_19counting_iterator_tIlEES8_S8_S8_S8_S8_S8_S8_S8_EEEEPS9_S9_NSD_9__find_if7functorIS9_EEEE10hipError_tPvRmT1_T2_T3_mT4_P12ihipStream_tbEUlT_E0_NS1_11comp_targetILNS1_3genE10ELNS1_11target_archE1201ELNS1_3gpuE5ELNS1_3repE0EEENS1_30default_config_static_selectorELNS0_4arch9wavefront6targetE1EEEvS14_.kd
    .uniform_work_group_size: 1
    .uses_dynamic_stack: false
    .vgpr_count:     0
    .vgpr_spill_count: 0
    .wavefront_size: 64
  - .agpr_count:     0
    .args:
      - .offset:         0
        .size:           104
        .value_kind:     by_value
    .group_segment_fixed_size: 0
    .kernarg_segment_align: 8
    .kernarg_segment_size: 104
    .language:       OpenCL C
    .language_version:
      - 2
      - 0
    .max_flat_workgroup_size: 256
    .name:           _ZN7rocprim17ROCPRIM_400000_NS6detail17trampoline_kernelINS0_14default_configENS1_22reduce_config_selectorIN6thrust23THRUST_200600_302600_NS5tupleIblNS6_9null_typeES8_S8_S8_S8_S8_S8_S8_EEEEZNS1_11reduce_implILb1ES3_NS6_12zip_iteratorINS7_INS6_11hip_rocprim26transform_input_iterator_tIbNSD_35transform_pair_of_input_iterators_tIbNS6_6detail15normal_iteratorINS6_10device_ptrIKtEEEESL_NS6_8equal_toItEEEENSG_9not_fun_tINSD_8identityEEEEENSD_19counting_iterator_tIlEES8_S8_S8_S8_S8_S8_S8_S8_EEEEPS9_S9_NSD_9__find_if7functorIS9_EEEE10hipError_tPvRmT1_T2_T3_mT4_P12ihipStream_tbEUlT_E0_NS1_11comp_targetILNS1_3genE10ELNS1_11target_archE1200ELNS1_3gpuE4ELNS1_3repE0EEENS1_30default_config_static_selectorELNS0_4arch9wavefront6targetE1EEEvS14_
    .private_segment_fixed_size: 0
    .sgpr_count:     4
    .sgpr_spill_count: 0
    .symbol:         _ZN7rocprim17ROCPRIM_400000_NS6detail17trampoline_kernelINS0_14default_configENS1_22reduce_config_selectorIN6thrust23THRUST_200600_302600_NS5tupleIblNS6_9null_typeES8_S8_S8_S8_S8_S8_S8_EEEEZNS1_11reduce_implILb1ES3_NS6_12zip_iteratorINS7_INS6_11hip_rocprim26transform_input_iterator_tIbNSD_35transform_pair_of_input_iterators_tIbNS6_6detail15normal_iteratorINS6_10device_ptrIKtEEEESL_NS6_8equal_toItEEEENSG_9not_fun_tINSD_8identityEEEEENSD_19counting_iterator_tIlEES8_S8_S8_S8_S8_S8_S8_S8_EEEEPS9_S9_NSD_9__find_if7functorIS9_EEEE10hipError_tPvRmT1_T2_T3_mT4_P12ihipStream_tbEUlT_E0_NS1_11comp_targetILNS1_3genE10ELNS1_11target_archE1200ELNS1_3gpuE4ELNS1_3repE0EEENS1_30default_config_static_selectorELNS0_4arch9wavefront6targetE1EEEvS14_.kd
    .uniform_work_group_size: 1
    .uses_dynamic_stack: false
    .vgpr_count:     0
    .vgpr_spill_count: 0
    .wavefront_size: 64
  - .agpr_count:     0
    .args:
      - .offset:         0
        .size:           104
        .value_kind:     by_value
    .group_segment_fixed_size: 0
    .kernarg_segment_align: 8
    .kernarg_segment_size: 104
    .language:       OpenCL C
    .language_version:
      - 2
      - 0
    .max_flat_workgroup_size: 256
    .name:           _ZN7rocprim17ROCPRIM_400000_NS6detail17trampoline_kernelINS0_14default_configENS1_22reduce_config_selectorIN6thrust23THRUST_200600_302600_NS5tupleIblNS6_9null_typeES8_S8_S8_S8_S8_S8_S8_EEEEZNS1_11reduce_implILb1ES3_NS6_12zip_iteratorINS7_INS6_11hip_rocprim26transform_input_iterator_tIbNSD_35transform_pair_of_input_iterators_tIbNS6_6detail15normal_iteratorINS6_10device_ptrIKtEEEESL_NS6_8equal_toItEEEENSG_9not_fun_tINSD_8identityEEEEENSD_19counting_iterator_tIlEES8_S8_S8_S8_S8_S8_S8_S8_EEEEPS9_S9_NSD_9__find_if7functorIS9_EEEE10hipError_tPvRmT1_T2_T3_mT4_P12ihipStream_tbEUlT_E0_NS1_11comp_targetILNS1_3genE9ELNS1_11target_archE1100ELNS1_3gpuE3ELNS1_3repE0EEENS1_30default_config_static_selectorELNS0_4arch9wavefront6targetE1EEEvS14_
    .private_segment_fixed_size: 0
    .sgpr_count:     4
    .sgpr_spill_count: 0
    .symbol:         _ZN7rocprim17ROCPRIM_400000_NS6detail17trampoline_kernelINS0_14default_configENS1_22reduce_config_selectorIN6thrust23THRUST_200600_302600_NS5tupleIblNS6_9null_typeES8_S8_S8_S8_S8_S8_S8_EEEEZNS1_11reduce_implILb1ES3_NS6_12zip_iteratorINS7_INS6_11hip_rocprim26transform_input_iterator_tIbNSD_35transform_pair_of_input_iterators_tIbNS6_6detail15normal_iteratorINS6_10device_ptrIKtEEEESL_NS6_8equal_toItEEEENSG_9not_fun_tINSD_8identityEEEEENSD_19counting_iterator_tIlEES8_S8_S8_S8_S8_S8_S8_S8_EEEEPS9_S9_NSD_9__find_if7functorIS9_EEEE10hipError_tPvRmT1_T2_T3_mT4_P12ihipStream_tbEUlT_E0_NS1_11comp_targetILNS1_3genE9ELNS1_11target_archE1100ELNS1_3gpuE3ELNS1_3repE0EEENS1_30default_config_static_selectorELNS0_4arch9wavefront6targetE1EEEvS14_.kd
    .uniform_work_group_size: 1
    .uses_dynamic_stack: false
    .vgpr_count:     0
    .vgpr_spill_count: 0
    .wavefront_size: 64
  - .agpr_count:     0
    .args:
      - .offset:         0
        .size:           104
        .value_kind:     by_value
    .group_segment_fixed_size: 0
    .kernarg_segment_align: 8
    .kernarg_segment_size: 104
    .language:       OpenCL C
    .language_version:
      - 2
      - 0
    .max_flat_workgroup_size: 256
    .name:           _ZN7rocprim17ROCPRIM_400000_NS6detail17trampoline_kernelINS0_14default_configENS1_22reduce_config_selectorIN6thrust23THRUST_200600_302600_NS5tupleIblNS6_9null_typeES8_S8_S8_S8_S8_S8_S8_EEEEZNS1_11reduce_implILb1ES3_NS6_12zip_iteratorINS7_INS6_11hip_rocprim26transform_input_iterator_tIbNSD_35transform_pair_of_input_iterators_tIbNS6_6detail15normal_iteratorINS6_10device_ptrIKtEEEESL_NS6_8equal_toItEEEENSG_9not_fun_tINSD_8identityEEEEENSD_19counting_iterator_tIlEES8_S8_S8_S8_S8_S8_S8_S8_EEEEPS9_S9_NSD_9__find_if7functorIS9_EEEE10hipError_tPvRmT1_T2_T3_mT4_P12ihipStream_tbEUlT_E0_NS1_11comp_targetILNS1_3genE8ELNS1_11target_archE1030ELNS1_3gpuE2ELNS1_3repE0EEENS1_30default_config_static_selectorELNS0_4arch9wavefront6targetE1EEEvS14_
    .private_segment_fixed_size: 0
    .sgpr_count:     4
    .sgpr_spill_count: 0
    .symbol:         _ZN7rocprim17ROCPRIM_400000_NS6detail17trampoline_kernelINS0_14default_configENS1_22reduce_config_selectorIN6thrust23THRUST_200600_302600_NS5tupleIblNS6_9null_typeES8_S8_S8_S8_S8_S8_S8_EEEEZNS1_11reduce_implILb1ES3_NS6_12zip_iteratorINS7_INS6_11hip_rocprim26transform_input_iterator_tIbNSD_35transform_pair_of_input_iterators_tIbNS6_6detail15normal_iteratorINS6_10device_ptrIKtEEEESL_NS6_8equal_toItEEEENSG_9not_fun_tINSD_8identityEEEEENSD_19counting_iterator_tIlEES8_S8_S8_S8_S8_S8_S8_S8_EEEEPS9_S9_NSD_9__find_if7functorIS9_EEEE10hipError_tPvRmT1_T2_T3_mT4_P12ihipStream_tbEUlT_E0_NS1_11comp_targetILNS1_3genE8ELNS1_11target_archE1030ELNS1_3gpuE2ELNS1_3repE0EEENS1_30default_config_static_selectorELNS0_4arch9wavefront6targetE1EEEvS14_.kd
    .uniform_work_group_size: 1
    .uses_dynamic_stack: false
    .vgpr_count:     0
    .vgpr_spill_count: 0
    .wavefront_size: 64
  - .agpr_count:     0
    .args:
      - .offset:         0
        .size:           88
        .value_kind:     by_value
    .group_segment_fixed_size: 0
    .kernarg_segment_align: 8
    .kernarg_segment_size: 88
    .language:       OpenCL C
    .language_version:
      - 2
      - 0
    .max_flat_workgroup_size: 128
    .name:           _ZN7rocprim17ROCPRIM_400000_NS6detail17trampoline_kernelINS0_14default_configENS1_22reduce_config_selectorIN6thrust23THRUST_200600_302600_NS5tupleIblNS6_9null_typeES8_S8_S8_S8_S8_S8_S8_EEEEZNS1_11reduce_implILb1ES3_NS6_12zip_iteratorINS7_INS6_11hip_rocprim26transform_input_iterator_tIbNSD_35transform_pair_of_input_iterators_tIbNS6_6detail15normal_iteratorINS6_10device_ptrIKtEEEESL_NS6_8equal_toItEEEENSG_9not_fun_tINSD_8identityEEEEENSD_19counting_iterator_tIlEES8_S8_S8_S8_S8_S8_S8_S8_EEEEPS9_S9_NSD_9__find_if7functorIS9_EEEE10hipError_tPvRmT1_T2_T3_mT4_P12ihipStream_tbEUlT_E1_NS1_11comp_targetILNS1_3genE0ELNS1_11target_archE4294967295ELNS1_3gpuE0ELNS1_3repE0EEENS1_30default_config_static_selectorELNS0_4arch9wavefront6targetE1EEEvS14_
    .private_segment_fixed_size: 0
    .sgpr_count:     4
    .sgpr_spill_count: 0
    .symbol:         _ZN7rocprim17ROCPRIM_400000_NS6detail17trampoline_kernelINS0_14default_configENS1_22reduce_config_selectorIN6thrust23THRUST_200600_302600_NS5tupleIblNS6_9null_typeES8_S8_S8_S8_S8_S8_S8_EEEEZNS1_11reduce_implILb1ES3_NS6_12zip_iteratorINS7_INS6_11hip_rocprim26transform_input_iterator_tIbNSD_35transform_pair_of_input_iterators_tIbNS6_6detail15normal_iteratorINS6_10device_ptrIKtEEEESL_NS6_8equal_toItEEEENSG_9not_fun_tINSD_8identityEEEEENSD_19counting_iterator_tIlEES8_S8_S8_S8_S8_S8_S8_S8_EEEEPS9_S9_NSD_9__find_if7functorIS9_EEEE10hipError_tPvRmT1_T2_T3_mT4_P12ihipStream_tbEUlT_E1_NS1_11comp_targetILNS1_3genE0ELNS1_11target_archE4294967295ELNS1_3gpuE0ELNS1_3repE0EEENS1_30default_config_static_selectorELNS0_4arch9wavefront6targetE1EEEvS14_.kd
    .uniform_work_group_size: 1
    .uses_dynamic_stack: false
    .vgpr_count:     0
    .vgpr_spill_count: 0
    .wavefront_size: 64
  - .agpr_count:     0
    .args:
      - .offset:         0
        .size:           88
        .value_kind:     by_value
    .group_segment_fixed_size: 0
    .kernarg_segment_align: 8
    .kernarg_segment_size: 88
    .language:       OpenCL C
    .language_version:
      - 2
      - 0
    .max_flat_workgroup_size: 256
    .name:           _ZN7rocprim17ROCPRIM_400000_NS6detail17trampoline_kernelINS0_14default_configENS1_22reduce_config_selectorIN6thrust23THRUST_200600_302600_NS5tupleIblNS6_9null_typeES8_S8_S8_S8_S8_S8_S8_EEEEZNS1_11reduce_implILb1ES3_NS6_12zip_iteratorINS7_INS6_11hip_rocprim26transform_input_iterator_tIbNSD_35transform_pair_of_input_iterators_tIbNS6_6detail15normal_iteratorINS6_10device_ptrIKtEEEESL_NS6_8equal_toItEEEENSG_9not_fun_tINSD_8identityEEEEENSD_19counting_iterator_tIlEES8_S8_S8_S8_S8_S8_S8_S8_EEEEPS9_S9_NSD_9__find_if7functorIS9_EEEE10hipError_tPvRmT1_T2_T3_mT4_P12ihipStream_tbEUlT_E1_NS1_11comp_targetILNS1_3genE5ELNS1_11target_archE942ELNS1_3gpuE9ELNS1_3repE0EEENS1_30default_config_static_selectorELNS0_4arch9wavefront6targetE1EEEvS14_
    .private_segment_fixed_size: 0
    .sgpr_count:     4
    .sgpr_spill_count: 0
    .symbol:         _ZN7rocprim17ROCPRIM_400000_NS6detail17trampoline_kernelINS0_14default_configENS1_22reduce_config_selectorIN6thrust23THRUST_200600_302600_NS5tupleIblNS6_9null_typeES8_S8_S8_S8_S8_S8_S8_EEEEZNS1_11reduce_implILb1ES3_NS6_12zip_iteratorINS7_INS6_11hip_rocprim26transform_input_iterator_tIbNSD_35transform_pair_of_input_iterators_tIbNS6_6detail15normal_iteratorINS6_10device_ptrIKtEEEESL_NS6_8equal_toItEEEENSG_9not_fun_tINSD_8identityEEEEENSD_19counting_iterator_tIlEES8_S8_S8_S8_S8_S8_S8_S8_EEEEPS9_S9_NSD_9__find_if7functorIS9_EEEE10hipError_tPvRmT1_T2_T3_mT4_P12ihipStream_tbEUlT_E1_NS1_11comp_targetILNS1_3genE5ELNS1_11target_archE942ELNS1_3gpuE9ELNS1_3repE0EEENS1_30default_config_static_selectorELNS0_4arch9wavefront6targetE1EEEvS14_.kd
    .uniform_work_group_size: 1
    .uses_dynamic_stack: false
    .vgpr_count:     0
    .vgpr_spill_count: 0
    .wavefront_size: 64
  - .agpr_count:     0
    .args:
      - .offset:         0
        .size:           88
        .value_kind:     by_value
    .group_segment_fixed_size: 320
    .kernarg_segment_align: 8
    .kernarg_segment_size: 88
    .language:       OpenCL C
    .language_version:
      - 2
      - 0
    .max_flat_workgroup_size: 256
    .name:           _ZN7rocprim17ROCPRIM_400000_NS6detail17trampoline_kernelINS0_14default_configENS1_22reduce_config_selectorIN6thrust23THRUST_200600_302600_NS5tupleIblNS6_9null_typeES8_S8_S8_S8_S8_S8_S8_EEEEZNS1_11reduce_implILb1ES3_NS6_12zip_iteratorINS7_INS6_11hip_rocprim26transform_input_iterator_tIbNSD_35transform_pair_of_input_iterators_tIbNS6_6detail15normal_iteratorINS6_10device_ptrIKtEEEESL_NS6_8equal_toItEEEENSG_9not_fun_tINSD_8identityEEEEENSD_19counting_iterator_tIlEES8_S8_S8_S8_S8_S8_S8_S8_EEEEPS9_S9_NSD_9__find_if7functorIS9_EEEE10hipError_tPvRmT1_T2_T3_mT4_P12ihipStream_tbEUlT_E1_NS1_11comp_targetILNS1_3genE4ELNS1_11target_archE910ELNS1_3gpuE8ELNS1_3repE0EEENS1_30default_config_static_selectorELNS0_4arch9wavefront6targetE1EEEvS14_
    .private_segment_fixed_size: 0
    .sgpr_count:     46
    .sgpr_spill_count: 0
    .symbol:         _ZN7rocprim17ROCPRIM_400000_NS6detail17trampoline_kernelINS0_14default_configENS1_22reduce_config_selectorIN6thrust23THRUST_200600_302600_NS5tupleIblNS6_9null_typeES8_S8_S8_S8_S8_S8_S8_EEEEZNS1_11reduce_implILb1ES3_NS6_12zip_iteratorINS7_INS6_11hip_rocprim26transform_input_iterator_tIbNSD_35transform_pair_of_input_iterators_tIbNS6_6detail15normal_iteratorINS6_10device_ptrIKtEEEESL_NS6_8equal_toItEEEENSG_9not_fun_tINSD_8identityEEEEENSD_19counting_iterator_tIlEES8_S8_S8_S8_S8_S8_S8_S8_EEEEPS9_S9_NSD_9__find_if7functorIS9_EEEE10hipError_tPvRmT1_T2_T3_mT4_P12ihipStream_tbEUlT_E1_NS1_11comp_targetILNS1_3genE4ELNS1_11target_archE910ELNS1_3gpuE8ELNS1_3repE0EEENS1_30default_config_static_selectorELNS0_4arch9wavefront6targetE1EEEvS14_.kd
    .uniform_work_group_size: 1
    .uses_dynamic_stack: false
    .vgpr_count:     27
    .vgpr_spill_count: 0
    .wavefront_size: 64
  - .agpr_count:     0
    .args:
      - .offset:         0
        .size:           88
        .value_kind:     by_value
    .group_segment_fixed_size: 0
    .kernarg_segment_align: 8
    .kernarg_segment_size: 88
    .language:       OpenCL C
    .language_version:
      - 2
      - 0
    .max_flat_workgroup_size: 128
    .name:           _ZN7rocprim17ROCPRIM_400000_NS6detail17trampoline_kernelINS0_14default_configENS1_22reduce_config_selectorIN6thrust23THRUST_200600_302600_NS5tupleIblNS6_9null_typeES8_S8_S8_S8_S8_S8_S8_EEEEZNS1_11reduce_implILb1ES3_NS6_12zip_iteratorINS7_INS6_11hip_rocprim26transform_input_iterator_tIbNSD_35transform_pair_of_input_iterators_tIbNS6_6detail15normal_iteratorINS6_10device_ptrIKtEEEESL_NS6_8equal_toItEEEENSG_9not_fun_tINSD_8identityEEEEENSD_19counting_iterator_tIlEES8_S8_S8_S8_S8_S8_S8_S8_EEEEPS9_S9_NSD_9__find_if7functorIS9_EEEE10hipError_tPvRmT1_T2_T3_mT4_P12ihipStream_tbEUlT_E1_NS1_11comp_targetILNS1_3genE3ELNS1_11target_archE908ELNS1_3gpuE7ELNS1_3repE0EEENS1_30default_config_static_selectorELNS0_4arch9wavefront6targetE1EEEvS14_
    .private_segment_fixed_size: 0
    .sgpr_count:     4
    .sgpr_spill_count: 0
    .symbol:         _ZN7rocprim17ROCPRIM_400000_NS6detail17trampoline_kernelINS0_14default_configENS1_22reduce_config_selectorIN6thrust23THRUST_200600_302600_NS5tupleIblNS6_9null_typeES8_S8_S8_S8_S8_S8_S8_EEEEZNS1_11reduce_implILb1ES3_NS6_12zip_iteratorINS7_INS6_11hip_rocprim26transform_input_iterator_tIbNSD_35transform_pair_of_input_iterators_tIbNS6_6detail15normal_iteratorINS6_10device_ptrIKtEEEESL_NS6_8equal_toItEEEENSG_9not_fun_tINSD_8identityEEEEENSD_19counting_iterator_tIlEES8_S8_S8_S8_S8_S8_S8_S8_EEEEPS9_S9_NSD_9__find_if7functorIS9_EEEE10hipError_tPvRmT1_T2_T3_mT4_P12ihipStream_tbEUlT_E1_NS1_11comp_targetILNS1_3genE3ELNS1_11target_archE908ELNS1_3gpuE7ELNS1_3repE0EEENS1_30default_config_static_selectorELNS0_4arch9wavefront6targetE1EEEvS14_.kd
    .uniform_work_group_size: 1
    .uses_dynamic_stack: false
    .vgpr_count:     0
    .vgpr_spill_count: 0
    .wavefront_size: 64
  - .agpr_count:     0
    .args:
      - .offset:         0
        .size:           88
        .value_kind:     by_value
    .group_segment_fixed_size: 0
    .kernarg_segment_align: 8
    .kernarg_segment_size: 88
    .language:       OpenCL C
    .language_version:
      - 2
      - 0
    .max_flat_workgroup_size: 128
    .name:           _ZN7rocprim17ROCPRIM_400000_NS6detail17trampoline_kernelINS0_14default_configENS1_22reduce_config_selectorIN6thrust23THRUST_200600_302600_NS5tupleIblNS6_9null_typeES8_S8_S8_S8_S8_S8_S8_EEEEZNS1_11reduce_implILb1ES3_NS6_12zip_iteratorINS7_INS6_11hip_rocprim26transform_input_iterator_tIbNSD_35transform_pair_of_input_iterators_tIbNS6_6detail15normal_iteratorINS6_10device_ptrIKtEEEESL_NS6_8equal_toItEEEENSG_9not_fun_tINSD_8identityEEEEENSD_19counting_iterator_tIlEES8_S8_S8_S8_S8_S8_S8_S8_EEEEPS9_S9_NSD_9__find_if7functorIS9_EEEE10hipError_tPvRmT1_T2_T3_mT4_P12ihipStream_tbEUlT_E1_NS1_11comp_targetILNS1_3genE2ELNS1_11target_archE906ELNS1_3gpuE6ELNS1_3repE0EEENS1_30default_config_static_selectorELNS0_4arch9wavefront6targetE1EEEvS14_
    .private_segment_fixed_size: 0
    .sgpr_count:     4
    .sgpr_spill_count: 0
    .symbol:         _ZN7rocprim17ROCPRIM_400000_NS6detail17trampoline_kernelINS0_14default_configENS1_22reduce_config_selectorIN6thrust23THRUST_200600_302600_NS5tupleIblNS6_9null_typeES8_S8_S8_S8_S8_S8_S8_EEEEZNS1_11reduce_implILb1ES3_NS6_12zip_iteratorINS7_INS6_11hip_rocprim26transform_input_iterator_tIbNSD_35transform_pair_of_input_iterators_tIbNS6_6detail15normal_iteratorINS6_10device_ptrIKtEEEESL_NS6_8equal_toItEEEENSG_9not_fun_tINSD_8identityEEEEENSD_19counting_iterator_tIlEES8_S8_S8_S8_S8_S8_S8_S8_EEEEPS9_S9_NSD_9__find_if7functorIS9_EEEE10hipError_tPvRmT1_T2_T3_mT4_P12ihipStream_tbEUlT_E1_NS1_11comp_targetILNS1_3genE2ELNS1_11target_archE906ELNS1_3gpuE6ELNS1_3repE0EEENS1_30default_config_static_selectorELNS0_4arch9wavefront6targetE1EEEvS14_.kd
    .uniform_work_group_size: 1
    .uses_dynamic_stack: false
    .vgpr_count:     0
    .vgpr_spill_count: 0
    .wavefront_size: 64
  - .agpr_count:     0
    .args:
      - .offset:         0
        .size:           88
        .value_kind:     by_value
    .group_segment_fixed_size: 0
    .kernarg_segment_align: 8
    .kernarg_segment_size: 88
    .language:       OpenCL C
    .language_version:
      - 2
      - 0
    .max_flat_workgroup_size: 256
    .name:           _ZN7rocprim17ROCPRIM_400000_NS6detail17trampoline_kernelINS0_14default_configENS1_22reduce_config_selectorIN6thrust23THRUST_200600_302600_NS5tupleIblNS6_9null_typeES8_S8_S8_S8_S8_S8_S8_EEEEZNS1_11reduce_implILb1ES3_NS6_12zip_iteratorINS7_INS6_11hip_rocprim26transform_input_iterator_tIbNSD_35transform_pair_of_input_iterators_tIbNS6_6detail15normal_iteratorINS6_10device_ptrIKtEEEESL_NS6_8equal_toItEEEENSG_9not_fun_tINSD_8identityEEEEENSD_19counting_iterator_tIlEES8_S8_S8_S8_S8_S8_S8_S8_EEEEPS9_S9_NSD_9__find_if7functorIS9_EEEE10hipError_tPvRmT1_T2_T3_mT4_P12ihipStream_tbEUlT_E1_NS1_11comp_targetILNS1_3genE10ELNS1_11target_archE1201ELNS1_3gpuE5ELNS1_3repE0EEENS1_30default_config_static_selectorELNS0_4arch9wavefront6targetE1EEEvS14_
    .private_segment_fixed_size: 0
    .sgpr_count:     4
    .sgpr_spill_count: 0
    .symbol:         _ZN7rocprim17ROCPRIM_400000_NS6detail17trampoline_kernelINS0_14default_configENS1_22reduce_config_selectorIN6thrust23THRUST_200600_302600_NS5tupleIblNS6_9null_typeES8_S8_S8_S8_S8_S8_S8_EEEEZNS1_11reduce_implILb1ES3_NS6_12zip_iteratorINS7_INS6_11hip_rocprim26transform_input_iterator_tIbNSD_35transform_pair_of_input_iterators_tIbNS6_6detail15normal_iteratorINS6_10device_ptrIKtEEEESL_NS6_8equal_toItEEEENSG_9not_fun_tINSD_8identityEEEEENSD_19counting_iterator_tIlEES8_S8_S8_S8_S8_S8_S8_S8_EEEEPS9_S9_NSD_9__find_if7functorIS9_EEEE10hipError_tPvRmT1_T2_T3_mT4_P12ihipStream_tbEUlT_E1_NS1_11comp_targetILNS1_3genE10ELNS1_11target_archE1201ELNS1_3gpuE5ELNS1_3repE0EEENS1_30default_config_static_selectorELNS0_4arch9wavefront6targetE1EEEvS14_.kd
    .uniform_work_group_size: 1
    .uses_dynamic_stack: false
    .vgpr_count:     0
    .vgpr_spill_count: 0
    .wavefront_size: 64
  - .agpr_count:     0
    .args:
      - .offset:         0
        .size:           88
        .value_kind:     by_value
    .group_segment_fixed_size: 0
    .kernarg_segment_align: 8
    .kernarg_segment_size: 88
    .language:       OpenCL C
    .language_version:
      - 2
      - 0
    .max_flat_workgroup_size: 256
    .name:           _ZN7rocprim17ROCPRIM_400000_NS6detail17trampoline_kernelINS0_14default_configENS1_22reduce_config_selectorIN6thrust23THRUST_200600_302600_NS5tupleIblNS6_9null_typeES8_S8_S8_S8_S8_S8_S8_EEEEZNS1_11reduce_implILb1ES3_NS6_12zip_iteratorINS7_INS6_11hip_rocprim26transform_input_iterator_tIbNSD_35transform_pair_of_input_iterators_tIbNS6_6detail15normal_iteratorINS6_10device_ptrIKtEEEESL_NS6_8equal_toItEEEENSG_9not_fun_tINSD_8identityEEEEENSD_19counting_iterator_tIlEES8_S8_S8_S8_S8_S8_S8_S8_EEEEPS9_S9_NSD_9__find_if7functorIS9_EEEE10hipError_tPvRmT1_T2_T3_mT4_P12ihipStream_tbEUlT_E1_NS1_11comp_targetILNS1_3genE10ELNS1_11target_archE1200ELNS1_3gpuE4ELNS1_3repE0EEENS1_30default_config_static_selectorELNS0_4arch9wavefront6targetE1EEEvS14_
    .private_segment_fixed_size: 0
    .sgpr_count:     4
    .sgpr_spill_count: 0
    .symbol:         _ZN7rocprim17ROCPRIM_400000_NS6detail17trampoline_kernelINS0_14default_configENS1_22reduce_config_selectorIN6thrust23THRUST_200600_302600_NS5tupleIblNS6_9null_typeES8_S8_S8_S8_S8_S8_S8_EEEEZNS1_11reduce_implILb1ES3_NS6_12zip_iteratorINS7_INS6_11hip_rocprim26transform_input_iterator_tIbNSD_35transform_pair_of_input_iterators_tIbNS6_6detail15normal_iteratorINS6_10device_ptrIKtEEEESL_NS6_8equal_toItEEEENSG_9not_fun_tINSD_8identityEEEEENSD_19counting_iterator_tIlEES8_S8_S8_S8_S8_S8_S8_S8_EEEEPS9_S9_NSD_9__find_if7functorIS9_EEEE10hipError_tPvRmT1_T2_T3_mT4_P12ihipStream_tbEUlT_E1_NS1_11comp_targetILNS1_3genE10ELNS1_11target_archE1200ELNS1_3gpuE4ELNS1_3repE0EEENS1_30default_config_static_selectorELNS0_4arch9wavefront6targetE1EEEvS14_.kd
    .uniform_work_group_size: 1
    .uses_dynamic_stack: false
    .vgpr_count:     0
    .vgpr_spill_count: 0
    .wavefront_size: 64
  - .agpr_count:     0
    .args:
      - .offset:         0
        .size:           88
        .value_kind:     by_value
    .group_segment_fixed_size: 0
    .kernarg_segment_align: 8
    .kernarg_segment_size: 88
    .language:       OpenCL C
    .language_version:
      - 2
      - 0
    .max_flat_workgroup_size: 256
    .name:           _ZN7rocprim17ROCPRIM_400000_NS6detail17trampoline_kernelINS0_14default_configENS1_22reduce_config_selectorIN6thrust23THRUST_200600_302600_NS5tupleIblNS6_9null_typeES8_S8_S8_S8_S8_S8_S8_EEEEZNS1_11reduce_implILb1ES3_NS6_12zip_iteratorINS7_INS6_11hip_rocprim26transform_input_iterator_tIbNSD_35transform_pair_of_input_iterators_tIbNS6_6detail15normal_iteratorINS6_10device_ptrIKtEEEESL_NS6_8equal_toItEEEENSG_9not_fun_tINSD_8identityEEEEENSD_19counting_iterator_tIlEES8_S8_S8_S8_S8_S8_S8_S8_EEEEPS9_S9_NSD_9__find_if7functorIS9_EEEE10hipError_tPvRmT1_T2_T3_mT4_P12ihipStream_tbEUlT_E1_NS1_11comp_targetILNS1_3genE9ELNS1_11target_archE1100ELNS1_3gpuE3ELNS1_3repE0EEENS1_30default_config_static_selectorELNS0_4arch9wavefront6targetE1EEEvS14_
    .private_segment_fixed_size: 0
    .sgpr_count:     4
    .sgpr_spill_count: 0
    .symbol:         _ZN7rocprim17ROCPRIM_400000_NS6detail17trampoline_kernelINS0_14default_configENS1_22reduce_config_selectorIN6thrust23THRUST_200600_302600_NS5tupleIblNS6_9null_typeES8_S8_S8_S8_S8_S8_S8_EEEEZNS1_11reduce_implILb1ES3_NS6_12zip_iteratorINS7_INS6_11hip_rocprim26transform_input_iterator_tIbNSD_35transform_pair_of_input_iterators_tIbNS6_6detail15normal_iteratorINS6_10device_ptrIKtEEEESL_NS6_8equal_toItEEEENSG_9not_fun_tINSD_8identityEEEEENSD_19counting_iterator_tIlEES8_S8_S8_S8_S8_S8_S8_S8_EEEEPS9_S9_NSD_9__find_if7functorIS9_EEEE10hipError_tPvRmT1_T2_T3_mT4_P12ihipStream_tbEUlT_E1_NS1_11comp_targetILNS1_3genE9ELNS1_11target_archE1100ELNS1_3gpuE3ELNS1_3repE0EEENS1_30default_config_static_selectorELNS0_4arch9wavefront6targetE1EEEvS14_.kd
    .uniform_work_group_size: 1
    .uses_dynamic_stack: false
    .vgpr_count:     0
    .vgpr_spill_count: 0
    .wavefront_size: 64
  - .agpr_count:     0
    .args:
      - .offset:         0
        .size:           88
        .value_kind:     by_value
    .group_segment_fixed_size: 0
    .kernarg_segment_align: 8
    .kernarg_segment_size: 88
    .language:       OpenCL C
    .language_version:
      - 2
      - 0
    .max_flat_workgroup_size: 256
    .name:           _ZN7rocprim17ROCPRIM_400000_NS6detail17trampoline_kernelINS0_14default_configENS1_22reduce_config_selectorIN6thrust23THRUST_200600_302600_NS5tupleIblNS6_9null_typeES8_S8_S8_S8_S8_S8_S8_EEEEZNS1_11reduce_implILb1ES3_NS6_12zip_iteratorINS7_INS6_11hip_rocprim26transform_input_iterator_tIbNSD_35transform_pair_of_input_iterators_tIbNS6_6detail15normal_iteratorINS6_10device_ptrIKtEEEESL_NS6_8equal_toItEEEENSG_9not_fun_tINSD_8identityEEEEENSD_19counting_iterator_tIlEES8_S8_S8_S8_S8_S8_S8_S8_EEEEPS9_S9_NSD_9__find_if7functorIS9_EEEE10hipError_tPvRmT1_T2_T3_mT4_P12ihipStream_tbEUlT_E1_NS1_11comp_targetILNS1_3genE8ELNS1_11target_archE1030ELNS1_3gpuE2ELNS1_3repE0EEENS1_30default_config_static_selectorELNS0_4arch9wavefront6targetE1EEEvS14_
    .private_segment_fixed_size: 0
    .sgpr_count:     4
    .sgpr_spill_count: 0
    .symbol:         _ZN7rocprim17ROCPRIM_400000_NS6detail17trampoline_kernelINS0_14default_configENS1_22reduce_config_selectorIN6thrust23THRUST_200600_302600_NS5tupleIblNS6_9null_typeES8_S8_S8_S8_S8_S8_S8_EEEEZNS1_11reduce_implILb1ES3_NS6_12zip_iteratorINS7_INS6_11hip_rocprim26transform_input_iterator_tIbNSD_35transform_pair_of_input_iterators_tIbNS6_6detail15normal_iteratorINS6_10device_ptrIKtEEEESL_NS6_8equal_toItEEEENSG_9not_fun_tINSD_8identityEEEEENSD_19counting_iterator_tIlEES8_S8_S8_S8_S8_S8_S8_S8_EEEEPS9_S9_NSD_9__find_if7functorIS9_EEEE10hipError_tPvRmT1_T2_T3_mT4_P12ihipStream_tbEUlT_E1_NS1_11comp_targetILNS1_3genE8ELNS1_11target_archE1030ELNS1_3gpuE2ELNS1_3repE0EEENS1_30default_config_static_selectorELNS0_4arch9wavefront6targetE1EEEvS14_.kd
    .uniform_work_group_size: 1
    .uses_dynamic_stack: false
    .vgpr_count:     0
    .vgpr_spill_count: 0
    .wavefront_size: 64
  - .agpr_count:     0
    .args:
      - .offset:         0
        .size:           16
        .value_kind:     by_value
      - .offset:         16
        .size:           8
        .value_kind:     by_value
      - .offset:         24
        .size:           8
        .value_kind:     by_value
    .group_segment_fixed_size: 0
    .kernarg_segment_align: 8
    .kernarg_segment_size: 32
    .language:       OpenCL C
    .language_version:
      - 2
      - 0
    .max_flat_workgroup_size: 256
    .name:           _ZN6thrust23THRUST_200600_302600_NS11hip_rocprim14__parallel_for6kernelILj256ENS1_20__uninitialized_fill7functorINS0_10device_ptrIxEExEEmLj1EEEvT0_T1_SA_
    .private_segment_fixed_size: 0
    .sgpr_count:     20
    .sgpr_spill_count: 0
    .symbol:         _ZN6thrust23THRUST_200600_302600_NS11hip_rocprim14__parallel_for6kernelILj256ENS1_20__uninitialized_fill7functorINS0_10device_ptrIxEExEEmLj1EEEvT0_T1_SA_.kd
    .uniform_work_group_size: 1
    .uses_dynamic_stack: false
    .vgpr_count:     5
    .vgpr_spill_count: 0
    .wavefront_size: 64
  - .agpr_count:     0
    .args:
      - .offset:         0
        .size:           48
        .value_kind:     by_value
    .group_segment_fixed_size: 0
    .kernarg_segment_align: 8
    .kernarg_segment_size: 48
    .language:       OpenCL C
    .language_version:
      - 2
      - 0
    .max_flat_workgroup_size: 256
    .name:           _ZN7rocprim17ROCPRIM_400000_NS6detail17trampoline_kernelINS0_14default_configENS1_21merge_config_selectorIxNS0_10empty_typeEEEZNS1_10merge_implIS3_N6thrust23THRUST_200600_302600_NS6detail15normal_iteratorINS9_10device_ptrIKxEEEESF_NSB_INSC_IxEEEEPS5_SI_SI_NS9_4lessIxEEEE10hipError_tPvRmT0_T1_T2_T3_T4_T5_mmT6_P12ihipStream_tbEUlT_E_NS1_11comp_targetILNS1_3genE0ELNS1_11target_archE4294967295ELNS1_3gpuE0ELNS1_3repE0EEENS1_30default_config_static_selectorELNS0_4arch9wavefront6targetE1EEEvSP_
    .private_segment_fixed_size: 0
    .sgpr_count:     4
    .sgpr_spill_count: 0
    .symbol:         _ZN7rocprim17ROCPRIM_400000_NS6detail17trampoline_kernelINS0_14default_configENS1_21merge_config_selectorIxNS0_10empty_typeEEEZNS1_10merge_implIS3_N6thrust23THRUST_200600_302600_NS6detail15normal_iteratorINS9_10device_ptrIKxEEEESF_NSB_INSC_IxEEEEPS5_SI_SI_NS9_4lessIxEEEE10hipError_tPvRmT0_T1_T2_T3_T4_T5_mmT6_P12ihipStream_tbEUlT_E_NS1_11comp_targetILNS1_3genE0ELNS1_11target_archE4294967295ELNS1_3gpuE0ELNS1_3repE0EEENS1_30default_config_static_selectorELNS0_4arch9wavefront6targetE1EEEvSP_.kd
    .uniform_work_group_size: 1
    .uses_dynamic_stack: false
    .vgpr_count:     0
    .vgpr_spill_count: 0
    .wavefront_size: 64
  - .agpr_count:     0
    .args:
      - .offset:         0
        .size:           48
        .value_kind:     by_value
    .group_segment_fixed_size: 0
    .kernarg_segment_align: 8
    .kernarg_segment_size: 48
    .language:       OpenCL C
    .language_version:
      - 2
      - 0
    .max_flat_workgroup_size: 256
    .name:           _ZN7rocprim17ROCPRIM_400000_NS6detail17trampoline_kernelINS0_14default_configENS1_21merge_config_selectorIxNS0_10empty_typeEEEZNS1_10merge_implIS3_N6thrust23THRUST_200600_302600_NS6detail15normal_iteratorINS9_10device_ptrIKxEEEESF_NSB_INSC_IxEEEEPS5_SI_SI_NS9_4lessIxEEEE10hipError_tPvRmT0_T1_T2_T3_T4_T5_mmT6_P12ihipStream_tbEUlT_E_NS1_11comp_targetILNS1_3genE5ELNS1_11target_archE942ELNS1_3gpuE9ELNS1_3repE0EEENS1_30default_config_static_selectorELNS0_4arch9wavefront6targetE1EEEvSP_
    .private_segment_fixed_size: 0
    .sgpr_count:     4
    .sgpr_spill_count: 0
    .symbol:         _ZN7rocprim17ROCPRIM_400000_NS6detail17trampoline_kernelINS0_14default_configENS1_21merge_config_selectorIxNS0_10empty_typeEEEZNS1_10merge_implIS3_N6thrust23THRUST_200600_302600_NS6detail15normal_iteratorINS9_10device_ptrIKxEEEESF_NSB_INSC_IxEEEEPS5_SI_SI_NS9_4lessIxEEEE10hipError_tPvRmT0_T1_T2_T3_T4_T5_mmT6_P12ihipStream_tbEUlT_E_NS1_11comp_targetILNS1_3genE5ELNS1_11target_archE942ELNS1_3gpuE9ELNS1_3repE0EEENS1_30default_config_static_selectorELNS0_4arch9wavefront6targetE1EEEvSP_.kd
    .uniform_work_group_size: 1
    .uses_dynamic_stack: false
    .vgpr_count:     0
    .vgpr_spill_count: 0
    .wavefront_size: 64
  - .agpr_count:     0
    .args:
      - .offset:         0
        .size:           48
        .value_kind:     by_value
      - .offset:         48
        .size:           4
        .value_kind:     hidden_block_count_x
      - .offset:         52
        .size:           4
        .value_kind:     hidden_block_count_y
      - .offset:         56
        .size:           4
        .value_kind:     hidden_block_count_z
      - .offset:         60
        .size:           2
        .value_kind:     hidden_group_size_x
      - .offset:         62
        .size:           2
        .value_kind:     hidden_group_size_y
      - .offset:         64
        .size:           2
        .value_kind:     hidden_group_size_z
      - .offset:         66
        .size:           2
        .value_kind:     hidden_remainder_x
      - .offset:         68
        .size:           2
        .value_kind:     hidden_remainder_y
      - .offset:         70
        .size:           2
        .value_kind:     hidden_remainder_z
      - .offset:         88
        .size:           8
        .value_kind:     hidden_global_offset_x
      - .offset:         96
        .size:           8
        .value_kind:     hidden_global_offset_y
      - .offset:         104
        .size:           8
        .value_kind:     hidden_global_offset_z
      - .offset:         112
        .size:           2
        .value_kind:     hidden_grid_dims
    .group_segment_fixed_size: 0
    .kernarg_segment_align: 8
    .kernarg_segment_size: 304
    .language:       OpenCL C
    .language_version:
      - 2
      - 0
    .max_flat_workgroup_size: 256
    .name:           _ZN7rocprim17ROCPRIM_400000_NS6detail17trampoline_kernelINS0_14default_configENS1_21merge_config_selectorIxNS0_10empty_typeEEEZNS1_10merge_implIS3_N6thrust23THRUST_200600_302600_NS6detail15normal_iteratorINS9_10device_ptrIKxEEEESF_NSB_INSC_IxEEEEPS5_SI_SI_NS9_4lessIxEEEE10hipError_tPvRmT0_T1_T2_T3_T4_T5_mmT6_P12ihipStream_tbEUlT_E_NS1_11comp_targetILNS1_3genE4ELNS1_11target_archE910ELNS1_3gpuE8ELNS1_3repE0EEENS1_30default_config_static_selectorELNS0_4arch9wavefront6targetE1EEEvSP_
    .private_segment_fixed_size: 0
    .sgpr_count:     18
    .sgpr_spill_count: 0
    .symbol:         _ZN7rocprim17ROCPRIM_400000_NS6detail17trampoline_kernelINS0_14default_configENS1_21merge_config_selectorIxNS0_10empty_typeEEEZNS1_10merge_implIS3_N6thrust23THRUST_200600_302600_NS6detail15normal_iteratorINS9_10device_ptrIKxEEEESF_NSB_INSC_IxEEEEPS5_SI_SI_NS9_4lessIxEEEE10hipError_tPvRmT0_T1_T2_T3_T4_T5_mmT6_P12ihipStream_tbEUlT_E_NS1_11comp_targetILNS1_3genE4ELNS1_11target_archE910ELNS1_3gpuE8ELNS1_3repE0EEENS1_30default_config_static_selectorELNS0_4arch9wavefront6targetE1EEEvSP_.kd
    .uniform_work_group_size: 1
    .uses_dynamic_stack: false
    .vgpr_count:     16
    .vgpr_spill_count: 0
    .wavefront_size: 64
  - .agpr_count:     0
    .args:
      - .offset:         0
        .size:           48
        .value_kind:     by_value
    .group_segment_fixed_size: 0
    .kernarg_segment_align: 8
    .kernarg_segment_size: 48
    .language:       OpenCL C
    .language_version:
      - 2
      - 0
    .max_flat_workgroup_size: 256
    .name:           _ZN7rocprim17ROCPRIM_400000_NS6detail17trampoline_kernelINS0_14default_configENS1_21merge_config_selectorIxNS0_10empty_typeEEEZNS1_10merge_implIS3_N6thrust23THRUST_200600_302600_NS6detail15normal_iteratorINS9_10device_ptrIKxEEEESF_NSB_INSC_IxEEEEPS5_SI_SI_NS9_4lessIxEEEE10hipError_tPvRmT0_T1_T2_T3_T4_T5_mmT6_P12ihipStream_tbEUlT_E_NS1_11comp_targetILNS1_3genE3ELNS1_11target_archE908ELNS1_3gpuE7ELNS1_3repE0EEENS1_30default_config_static_selectorELNS0_4arch9wavefront6targetE1EEEvSP_
    .private_segment_fixed_size: 0
    .sgpr_count:     4
    .sgpr_spill_count: 0
    .symbol:         _ZN7rocprim17ROCPRIM_400000_NS6detail17trampoline_kernelINS0_14default_configENS1_21merge_config_selectorIxNS0_10empty_typeEEEZNS1_10merge_implIS3_N6thrust23THRUST_200600_302600_NS6detail15normal_iteratorINS9_10device_ptrIKxEEEESF_NSB_INSC_IxEEEEPS5_SI_SI_NS9_4lessIxEEEE10hipError_tPvRmT0_T1_T2_T3_T4_T5_mmT6_P12ihipStream_tbEUlT_E_NS1_11comp_targetILNS1_3genE3ELNS1_11target_archE908ELNS1_3gpuE7ELNS1_3repE0EEENS1_30default_config_static_selectorELNS0_4arch9wavefront6targetE1EEEvSP_.kd
    .uniform_work_group_size: 1
    .uses_dynamic_stack: false
    .vgpr_count:     0
    .vgpr_spill_count: 0
    .wavefront_size: 64
  - .agpr_count:     0
    .args:
      - .offset:         0
        .size:           48
        .value_kind:     by_value
    .group_segment_fixed_size: 0
    .kernarg_segment_align: 8
    .kernarg_segment_size: 48
    .language:       OpenCL C
    .language_version:
      - 2
      - 0
    .max_flat_workgroup_size: 256
    .name:           _ZN7rocprim17ROCPRIM_400000_NS6detail17trampoline_kernelINS0_14default_configENS1_21merge_config_selectorIxNS0_10empty_typeEEEZNS1_10merge_implIS3_N6thrust23THRUST_200600_302600_NS6detail15normal_iteratorINS9_10device_ptrIKxEEEESF_NSB_INSC_IxEEEEPS5_SI_SI_NS9_4lessIxEEEE10hipError_tPvRmT0_T1_T2_T3_T4_T5_mmT6_P12ihipStream_tbEUlT_E_NS1_11comp_targetILNS1_3genE2ELNS1_11target_archE906ELNS1_3gpuE6ELNS1_3repE0EEENS1_30default_config_static_selectorELNS0_4arch9wavefront6targetE1EEEvSP_
    .private_segment_fixed_size: 0
    .sgpr_count:     4
    .sgpr_spill_count: 0
    .symbol:         _ZN7rocprim17ROCPRIM_400000_NS6detail17trampoline_kernelINS0_14default_configENS1_21merge_config_selectorIxNS0_10empty_typeEEEZNS1_10merge_implIS3_N6thrust23THRUST_200600_302600_NS6detail15normal_iteratorINS9_10device_ptrIKxEEEESF_NSB_INSC_IxEEEEPS5_SI_SI_NS9_4lessIxEEEE10hipError_tPvRmT0_T1_T2_T3_T4_T5_mmT6_P12ihipStream_tbEUlT_E_NS1_11comp_targetILNS1_3genE2ELNS1_11target_archE906ELNS1_3gpuE6ELNS1_3repE0EEENS1_30default_config_static_selectorELNS0_4arch9wavefront6targetE1EEEvSP_.kd
    .uniform_work_group_size: 1
    .uses_dynamic_stack: false
    .vgpr_count:     0
    .vgpr_spill_count: 0
    .wavefront_size: 64
  - .agpr_count:     0
    .args:
      - .offset:         0
        .size:           48
        .value_kind:     by_value
    .group_segment_fixed_size: 0
    .kernarg_segment_align: 8
    .kernarg_segment_size: 48
    .language:       OpenCL C
    .language_version:
      - 2
      - 0
    .max_flat_workgroup_size: 512
    .name:           _ZN7rocprim17ROCPRIM_400000_NS6detail17trampoline_kernelINS0_14default_configENS1_21merge_config_selectorIxNS0_10empty_typeEEEZNS1_10merge_implIS3_N6thrust23THRUST_200600_302600_NS6detail15normal_iteratorINS9_10device_ptrIKxEEEESF_NSB_INSC_IxEEEEPS5_SI_SI_NS9_4lessIxEEEE10hipError_tPvRmT0_T1_T2_T3_T4_T5_mmT6_P12ihipStream_tbEUlT_E_NS1_11comp_targetILNS1_3genE10ELNS1_11target_archE1201ELNS1_3gpuE5ELNS1_3repE0EEENS1_30default_config_static_selectorELNS0_4arch9wavefront6targetE1EEEvSP_
    .private_segment_fixed_size: 0
    .sgpr_count:     4
    .sgpr_spill_count: 0
    .symbol:         _ZN7rocprim17ROCPRIM_400000_NS6detail17trampoline_kernelINS0_14default_configENS1_21merge_config_selectorIxNS0_10empty_typeEEEZNS1_10merge_implIS3_N6thrust23THRUST_200600_302600_NS6detail15normal_iteratorINS9_10device_ptrIKxEEEESF_NSB_INSC_IxEEEEPS5_SI_SI_NS9_4lessIxEEEE10hipError_tPvRmT0_T1_T2_T3_T4_T5_mmT6_P12ihipStream_tbEUlT_E_NS1_11comp_targetILNS1_3genE10ELNS1_11target_archE1201ELNS1_3gpuE5ELNS1_3repE0EEENS1_30default_config_static_selectorELNS0_4arch9wavefront6targetE1EEEvSP_.kd
    .uniform_work_group_size: 1
    .uses_dynamic_stack: false
    .vgpr_count:     0
    .vgpr_spill_count: 0
    .wavefront_size: 64
  - .agpr_count:     0
    .args:
      - .offset:         0
        .size:           48
        .value_kind:     by_value
    .group_segment_fixed_size: 0
    .kernarg_segment_align: 8
    .kernarg_segment_size: 48
    .language:       OpenCL C
    .language_version:
      - 2
      - 0
    .max_flat_workgroup_size: 1024
    .name:           _ZN7rocprim17ROCPRIM_400000_NS6detail17trampoline_kernelINS0_14default_configENS1_21merge_config_selectorIxNS0_10empty_typeEEEZNS1_10merge_implIS3_N6thrust23THRUST_200600_302600_NS6detail15normal_iteratorINS9_10device_ptrIKxEEEESF_NSB_INSC_IxEEEEPS5_SI_SI_NS9_4lessIxEEEE10hipError_tPvRmT0_T1_T2_T3_T4_T5_mmT6_P12ihipStream_tbEUlT_E_NS1_11comp_targetILNS1_3genE10ELNS1_11target_archE1200ELNS1_3gpuE4ELNS1_3repE0EEENS1_30default_config_static_selectorELNS0_4arch9wavefront6targetE1EEEvSP_
    .private_segment_fixed_size: 0
    .sgpr_count:     4
    .sgpr_spill_count: 0
    .symbol:         _ZN7rocprim17ROCPRIM_400000_NS6detail17trampoline_kernelINS0_14default_configENS1_21merge_config_selectorIxNS0_10empty_typeEEEZNS1_10merge_implIS3_N6thrust23THRUST_200600_302600_NS6detail15normal_iteratorINS9_10device_ptrIKxEEEESF_NSB_INSC_IxEEEEPS5_SI_SI_NS9_4lessIxEEEE10hipError_tPvRmT0_T1_T2_T3_T4_T5_mmT6_P12ihipStream_tbEUlT_E_NS1_11comp_targetILNS1_3genE10ELNS1_11target_archE1200ELNS1_3gpuE4ELNS1_3repE0EEENS1_30default_config_static_selectorELNS0_4arch9wavefront6targetE1EEEvSP_.kd
    .uniform_work_group_size: 1
    .uses_dynamic_stack: false
    .vgpr_count:     0
    .vgpr_spill_count: 0
    .wavefront_size: 64
  - .agpr_count:     0
    .args:
      - .offset:         0
        .size:           48
        .value_kind:     by_value
    .group_segment_fixed_size: 0
    .kernarg_segment_align: 8
    .kernarg_segment_size: 48
    .language:       OpenCL C
    .language_version:
      - 2
      - 0
    .max_flat_workgroup_size: 1024
    .name:           _ZN7rocprim17ROCPRIM_400000_NS6detail17trampoline_kernelINS0_14default_configENS1_21merge_config_selectorIxNS0_10empty_typeEEEZNS1_10merge_implIS3_N6thrust23THRUST_200600_302600_NS6detail15normal_iteratorINS9_10device_ptrIKxEEEESF_NSB_INSC_IxEEEEPS5_SI_SI_NS9_4lessIxEEEE10hipError_tPvRmT0_T1_T2_T3_T4_T5_mmT6_P12ihipStream_tbEUlT_E_NS1_11comp_targetILNS1_3genE9ELNS1_11target_archE1100ELNS1_3gpuE3ELNS1_3repE0EEENS1_30default_config_static_selectorELNS0_4arch9wavefront6targetE1EEEvSP_
    .private_segment_fixed_size: 0
    .sgpr_count:     4
    .sgpr_spill_count: 0
    .symbol:         _ZN7rocprim17ROCPRIM_400000_NS6detail17trampoline_kernelINS0_14default_configENS1_21merge_config_selectorIxNS0_10empty_typeEEEZNS1_10merge_implIS3_N6thrust23THRUST_200600_302600_NS6detail15normal_iteratorINS9_10device_ptrIKxEEEESF_NSB_INSC_IxEEEEPS5_SI_SI_NS9_4lessIxEEEE10hipError_tPvRmT0_T1_T2_T3_T4_T5_mmT6_P12ihipStream_tbEUlT_E_NS1_11comp_targetILNS1_3genE9ELNS1_11target_archE1100ELNS1_3gpuE3ELNS1_3repE0EEENS1_30default_config_static_selectorELNS0_4arch9wavefront6targetE1EEEvSP_.kd
    .uniform_work_group_size: 1
    .uses_dynamic_stack: false
    .vgpr_count:     0
    .vgpr_spill_count: 0
    .wavefront_size: 64
  - .agpr_count:     0
    .args:
      - .offset:         0
        .size:           48
        .value_kind:     by_value
    .group_segment_fixed_size: 0
    .kernarg_segment_align: 8
    .kernarg_segment_size: 48
    .language:       OpenCL C
    .language_version:
      - 2
      - 0
    .max_flat_workgroup_size: 256
    .name:           _ZN7rocprim17ROCPRIM_400000_NS6detail17trampoline_kernelINS0_14default_configENS1_21merge_config_selectorIxNS0_10empty_typeEEEZNS1_10merge_implIS3_N6thrust23THRUST_200600_302600_NS6detail15normal_iteratorINS9_10device_ptrIKxEEEESF_NSB_INSC_IxEEEEPS5_SI_SI_NS9_4lessIxEEEE10hipError_tPvRmT0_T1_T2_T3_T4_T5_mmT6_P12ihipStream_tbEUlT_E_NS1_11comp_targetILNS1_3genE8ELNS1_11target_archE1030ELNS1_3gpuE2ELNS1_3repE0EEENS1_30default_config_static_selectorELNS0_4arch9wavefront6targetE1EEEvSP_
    .private_segment_fixed_size: 0
    .sgpr_count:     4
    .sgpr_spill_count: 0
    .symbol:         _ZN7rocprim17ROCPRIM_400000_NS6detail17trampoline_kernelINS0_14default_configENS1_21merge_config_selectorIxNS0_10empty_typeEEEZNS1_10merge_implIS3_N6thrust23THRUST_200600_302600_NS6detail15normal_iteratorINS9_10device_ptrIKxEEEESF_NSB_INSC_IxEEEEPS5_SI_SI_NS9_4lessIxEEEE10hipError_tPvRmT0_T1_T2_T3_T4_T5_mmT6_P12ihipStream_tbEUlT_E_NS1_11comp_targetILNS1_3genE8ELNS1_11target_archE1030ELNS1_3gpuE2ELNS1_3repE0EEENS1_30default_config_static_selectorELNS0_4arch9wavefront6targetE1EEEvSP_.kd
    .uniform_work_group_size: 1
    .uses_dynamic_stack: false
    .vgpr_count:     0
    .vgpr_spill_count: 0
    .wavefront_size: 64
  - .agpr_count:     0
    .args:
      - .offset:         0
        .size:           88
        .value_kind:     by_value
    .group_segment_fixed_size: 0
    .kernarg_segment_align: 8
    .kernarg_segment_size: 88
    .language:       OpenCL C
    .language_version:
      - 2
      - 0
    .max_flat_workgroup_size: 256
    .name:           _ZN7rocprim17ROCPRIM_400000_NS6detail17trampoline_kernelINS0_14default_configENS1_21merge_config_selectorIxNS0_10empty_typeEEEZNS1_10merge_implIS3_N6thrust23THRUST_200600_302600_NS6detail15normal_iteratorINS9_10device_ptrIKxEEEESF_NSB_INSC_IxEEEEPS5_SI_SI_NS9_4lessIxEEEE10hipError_tPvRmT0_T1_T2_T3_T4_T5_mmT6_P12ihipStream_tbEUlT_E0_NS1_11comp_targetILNS1_3genE0ELNS1_11target_archE4294967295ELNS1_3gpuE0ELNS1_3repE0EEENS1_30default_config_static_selectorELNS0_4arch9wavefront6targetE1EEEvSP_
    .private_segment_fixed_size: 0
    .sgpr_count:     4
    .sgpr_spill_count: 0
    .symbol:         _ZN7rocprim17ROCPRIM_400000_NS6detail17trampoline_kernelINS0_14default_configENS1_21merge_config_selectorIxNS0_10empty_typeEEEZNS1_10merge_implIS3_N6thrust23THRUST_200600_302600_NS6detail15normal_iteratorINS9_10device_ptrIKxEEEESF_NSB_INSC_IxEEEEPS5_SI_SI_NS9_4lessIxEEEE10hipError_tPvRmT0_T1_T2_T3_T4_T5_mmT6_P12ihipStream_tbEUlT_E0_NS1_11comp_targetILNS1_3genE0ELNS1_11target_archE4294967295ELNS1_3gpuE0ELNS1_3repE0EEENS1_30default_config_static_selectorELNS0_4arch9wavefront6targetE1EEEvSP_.kd
    .uniform_work_group_size: 1
    .uses_dynamic_stack: false
    .vgpr_count:     0
    .vgpr_spill_count: 0
    .wavefront_size: 64
  - .agpr_count:     0
    .args:
      - .offset:         0
        .size:           88
        .value_kind:     by_value
    .group_segment_fixed_size: 0
    .kernarg_segment_align: 8
    .kernarg_segment_size: 88
    .language:       OpenCL C
    .language_version:
      - 2
      - 0
    .max_flat_workgroup_size: 256
    .name:           _ZN7rocprim17ROCPRIM_400000_NS6detail17trampoline_kernelINS0_14default_configENS1_21merge_config_selectorIxNS0_10empty_typeEEEZNS1_10merge_implIS3_N6thrust23THRUST_200600_302600_NS6detail15normal_iteratorINS9_10device_ptrIKxEEEESF_NSB_INSC_IxEEEEPS5_SI_SI_NS9_4lessIxEEEE10hipError_tPvRmT0_T1_T2_T3_T4_T5_mmT6_P12ihipStream_tbEUlT_E0_NS1_11comp_targetILNS1_3genE5ELNS1_11target_archE942ELNS1_3gpuE9ELNS1_3repE0EEENS1_30default_config_static_selectorELNS0_4arch9wavefront6targetE1EEEvSP_
    .private_segment_fixed_size: 0
    .sgpr_count:     4
    .sgpr_spill_count: 0
    .symbol:         _ZN7rocprim17ROCPRIM_400000_NS6detail17trampoline_kernelINS0_14default_configENS1_21merge_config_selectorIxNS0_10empty_typeEEEZNS1_10merge_implIS3_N6thrust23THRUST_200600_302600_NS6detail15normal_iteratorINS9_10device_ptrIKxEEEESF_NSB_INSC_IxEEEEPS5_SI_SI_NS9_4lessIxEEEE10hipError_tPvRmT0_T1_T2_T3_T4_T5_mmT6_P12ihipStream_tbEUlT_E0_NS1_11comp_targetILNS1_3genE5ELNS1_11target_archE942ELNS1_3gpuE9ELNS1_3repE0EEENS1_30default_config_static_selectorELNS0_4arch9wavefront6targetE1EEEvSP_.kd
    .uniform_work_group_size: 1
    .uses_dynamic_stack: false
    .vgpr_count:     0
    .vgpr_spill_count: 0
    .wavefront_size: 64
  - .agpr_count:     0
    .args:
      - .offset:         0
        .size:           88
        .value_kind:     by_value
    .group_segment_fixed_size: 8448
    .kernarg_segment_align: 8
    .kernarg_segment_size: 88
    .language:       OpenCL C
    .language_version:
      - 2
      - 0
    .max_flat_workgroup_size: 256
    .name:           _ZN7rocprim17ROCPRIM_400000_NS6detail17trampoline_kernelINS0_14default_configENS1_21merge_config_selectorIxNS0_10empty_typeEEEZNS1_10merge_implIS3_N6thrust23THRUST_200600_302600_NS6detail15normal_iteratorINS9_10device_ptrIKxEEEESF_NSB_INSC_IxEEEEPS5_SI_SI_NS9_4lessIxEEEE10hipError_tPvRmT0_T1_T2_T3_T4_T5_mmT6_P12ihipStream_tbEUlT_E0_NS1_11comp_targetILNS1_3genE4ELNS1_11target_archE910ELNS1_3gpuE8ELNS1_3repE0EEENS1_30default_config_static_selectorELNS0_4arch9wavefront6targetE1EEEvSP_
    .private_segment_fixed_size: 0
    .sgpr_count:     22
    .sgpr_spill_count: 0
    .symbol:         _ZN7rocprim17ROCPRIM_400000_NS6detail17trampoline_kernelINS0_14default_configENS1_21merge_config_selectorIxNS0_10empty_typeEEEZNS1_10merge_implIS3_N6thrust23THRUST_200600_302600_NS6detail15normal_iteratorINS9_10device_ptrIKxEEEESF_NSB_INSC_IxEEEEPS5_SI_SI_NS9_4lessIxEEEE10hipError_tPvRmT0_T1_T2_T3_T4_T5_mmT6_P12ihipStream_tbEUlT_E0_NS1_11comp_targetILNS1_3genE4ELNS1_11target_archE910ELNS1_3gpuE8ELNS1_3repE0EEENS1_30default_config_static_selectorELNS0_4arch9wavefront6targetE1EEEvSP_.kd
    .uniform_work_group_size: 1
    .uses_dynamic_stack: false
    .vgpr_count:     23
    .vgpr_spill_count: 0
    .wavefront_size: 64
  - .agpr_count:     0
    .args:
      - .offset:         0
        .size:           88
        .value_kind:     by_value
    .group_segment_fixed_size: 0
    .kernarg_segment_align: 8
    .kernarg_segment_size: 88
    .language:       OpenCL C
    .language_version:
      - 2
      - 0
    .max_flat_workgroup_size: 256
    .name:           _ZN7rocprim17ROCPRIM_400000_NS6detail17trampoline_kernelINS0_14default_configENS1_21merge_config_selectorIxNS0_10empty_typeEEEZNS1_10merge_implIS3_N6thrust23THRUST_200600_302600_NS6detail15normal_iteratorINS9_10device_ptrIKxEEEESF_NSB_INSC_IxEEEEPS5_SI_SI_NS9_4lessIxEEEE10hipError_tPvRmT0_T1_T2_T3_T4_T5_mmT6_P12ihipStream_tbEUlT_E0_NS1_11comp_targetILNS1_3genE3ELNS1_11target_archE908ELNS1_3gpuE7ELNS1_3repE0EEENS1_30default_config_static_selectorELNS0_4arch9wavefront6targetE1EEEvSP_
    .private_segment_fixed_size: 0
    .sgpr_count:     4
    .sgpr_spill_count: 0
    .symbol:         _ZN7rocprim17ROCPRIM_400000_NS6detail17trampoline_kernelINS0_14default_configENS1_21merge_config_selectorIxNS0_10empty_typeEEEZNS1_10merge_implIS3_N6thrust23THRUST_200600_302600_NS6detail15normal_iteratorINS9_10device_ptrIKxEEEESF_NSB_INSC_IxEEEEPS5_SI_SI_NS9_4lessIxEEEE10hipError_tPvRmT0_T1_T2_T3_T4_T5_mmT6_P12ihipStream_tbEUlT_E0_NS1_11comp_targetILNS1_3genE3ELNS1_11target_archE908ELNS1_3gpuE7ELNS1_3repE0EEENS1_30default_config_static_selectorELNS0_4arch9wavefront6targetE1EEEvSP_.kd
    .uniform_work_group_size: 1
    .uses_dynamic_stack: false
    .vgpr_count:     0
    .vgpr_spill_count: 0
    .wavefront_size: 64
  - .agpr_count:     0
    .args:
      - .offset:         0
        .size:           88
        .value_kind:     by_value
    .group_segment_fixed_size: 0
    .kernarg_segment_align: 8
    .kernarg_segment_size: 88
    .language:       OpenCL C
    .language_version:
      - 2
      - 0
    .max_flat_workgroup_size: 256
    .name:           _ZN7rocprim17ROCPRIM_400000_NS6detail17trampoline_kernelINS0_14default_configENS1_21merge_config_selectorIxNS0_10empty_typeEEEZNS1_10merge_implIS3_N6thrust23THRUST_200600_302600_NS6detail15normal_iteratorINS9_10device_ptrIKxEEEESF_NSB_INSC_IxEEEEPS5_SI_SI_NS9_4lessIxEEEE10hipError_tPvRmT0_T1_T2_T3_T4_T5_mmT6_P12ihipStream_tbEUlT_E0_NS1_11comp_targetILNS1_3genE2ELNS1_11target_archE906ELNS1_3gpuE6ELNS1_3repE0EEENS1_30default_config_static_selectorELNS0_4arch9wavefront6targetE1EEEvSP_
    .private_segment_fixed_size: 0
    .sgpr_count:     4
    .sgpr_spill_count: 0
    .symbol:         _ZN7rocprim17ROCPRIM_400000_NS6detail17trampoline_kernelINS0_14default_configENS1_21merge_config_selectorIxNS0_10empty_typeEEEZNS1_10merge_implIS3_N6thrust23THRUST_200600_302600_NS6detail15normal_iteratorINS9_10device_ptrIKxEEEESF_NSB_INSC_IxEEEEPS5_SI_SI_NS9_4lessIxEEEE10hipError_tPvRmT0_T1_T2_T3_T4_T5_mmT6_P12ihipStream_tbEUlT_E0_NS1_11comp_targetILNS1_3genE2ELNS1_11target_archE906ELNS1_3gpuE6ELNS1_3repE0EEENS1_30default_config_static_selectorELNS0_4arch9wavefront6targetE1EEEvSP_.kd
    .uniform_work_group_size: 1
    .uses_dynamic_stack: false
    .vgpr_count:     0
    .vgpr_spill_count: 0
    .wavefront_size: 64
  - .agpr_count:     0
    .args:
      - .offset:         0
        .size:           88
        .value_kind:     by_value
    .group_segment_fixed_size: 0
    .kernarg_segment_align: 8
    .kernarg_segment_size: 88
    .language:       OpenCL C
    .language_version:
      - 2
      - 0
    .max_flat_workgroup_size: 512
    .name:           _ZN7rocprim17ROCPRIM_400000_NS6detail17trampoline_kernelINS0_14default_configENS1_21merge_config_selectorIxNS0_10empty_typeEEEZNS1_10merge_implIS3_N6thrust23THRUST_200600_302600_NS6detail15normal_iteratorINS9_10device_ptrIKxEEEESF_NSB_INSC_IxEEEEPS5_SI_SI_NS9_4lessIxEEEE10hipError_tPvRmT0_T1_T2_T3_T4_T5_mmT6_P12ihipStream_tbEUlT_E0_NS1_11comp_targetILNS1_3genE10ELNS1_11target_archE1201ELNS1_3gpuE5ELNS1_3repE0EEENS1_30default_config_static_selectorELNS0_4arch9wavefront6targetE1EEEvSP_
    .private_segment_fixed_size: 0
    .sgpr_count:     4
    .sgpr_spill_count: 0
    .symbol:         _ZN7rocprim17ROCPRIM_400000_NS6detail17trampoline_kernelINS0_14default_configENS1_21merge_config_selectorIxNS0_10empty_typeEEEZNS1_10merge_implIS3_N6thrust23THRUST_200600_302600_NS6detail15normal_iteratorINS9_10device_ptrIKxEEEESF_NSB_INSC_IxEEEEPS5_SI_SI_NS9_4lessIxEEEE10hipError_tPvRmT0_T1_T2_T3_T4_T5_mmT6_P12ihipStream_tbEUlT_E0_NS1_11comp_targetILNS1_3genE10ELNS1_11target_archE1201ELNS1_3gpuE5ELNS1_3repE0EEENS1_30default_config_static_selectorELNS0_4arch9wavefront6targetE1EEEvSP_.kd
    .uniform_work_group_size: 1
    .uses_dynamic_stack: false
    .vgpr_count:     0
    .vgpr_spill_count: 0
    .wavefront_size: 64
  - .agpr_count:     0
    .args:
      - .offset:         0
        .size:           88
        .value_kind:     by_value
    .group_segment_fixed_size: 0
    .kernarg_segment_align: 8
    .kernarg_segment_size: 88
    .language:       OpenCL C
    .language_version:
      - 2
      - 0
    .max_flat_workgroup_size: 1024
    .name:           _ZN7rocprim17ROCPRIM_400000_NS6detail17trampoline_kernelINS0_14default_configENS1_21merge_config_selectorIxNS0_10empty_typeEEEZNS1_10merge_implIS3_N6thrust23THRUST_200600_302600_NS6detail15normal_iteratorINS9_10device_ptrIKxEEEESF_NSB_INSC_IxEEEEPS5_SI_SI_NS9_4lessIxEEEE10hipError_tPvRmT0_T1_T2_T3_T4_T5_mmT6_P12ihipStream_tbEUlT_E0_NS1_11comp_targetILNS1_3genE10ELNS1_11target_archE1200ELNS1_3gpuE4ELNS1_3repE0EEENS1_30default_config_static_selectorELNS0_4arch9wavefront6targetE1EEEvSP_
    .private_segment_fixed_size: 0
    .sgpr_count:     4
    .sgpr_spill_count: 0
    .symbol:         _ZN7rocprim17ROCPRIM_400000_NS6detail17trampoline_kernelINS0_14default_configENS1_21merge_config_selectorIxNS0_10empty_typeEEEZNS1_10merge_implIS3_N6thrust23THRUST_200600_302600_NS6detail15normal_iteratorINS9_10device_ptrIKxEEEESF_NSB_INSC_IxEEEEPS5_SI_SI_NS9_4lessIxEEEE10hipError_tPvRmT0_T1_T2_T3_T4_T5_mmT6_P12ihipStream_tbEUlT_E0_NS1_11comp_targetILNS1_3genE10ELNS1_11target_archE1200ELNS1_3gpuE4ELNS1_3repE0EEENS1_30default_config_static_selectorELNS0_4arch9wavefront6targetE1EEEvSP_.kd
    .uniform_work_group_size: 1
    .uses_dynamic_stack: false
    .vgpr_count:     0
    .vgpr_spill_count: 0
    .wavefront_size: 64
  - .agpr_count:     0
    .args:
      - .offset:         0
        .size:           88
        .value_kind:     by_value
    .group_segment_fixed_size: 0
    .kernarg_segment_align: 8
    .kernarg_segment_size: 88
    .language:       OpenCL C
    .language_version:
      - 2
      - 0
    .max_flat_workgroup_size: 1024
    .name:           _ZN7rocprim17ROCPRIM_400000_NS6detail17trampoline_kernelINS0_14default_configENS1_21merge_config_selectorIxNS0_10empty_typeEEEZNS1_10merge_implIS3_N6thrust23THRUST_200600_302600_NS6detail15normal_iteratorINS9_10device_ptrIKxEEEESF_NSB_INSC_IxEEEEPS5_SI_SI_NS9_4lessIxEEEE10hipError_tPvRmT0_T1_T2_T3_T4_T5_mmT6_P12ihipStream_tbEUlT_E0_NS1_11comp_targetILNS1_3genE9ELNS1_11target_archE1100ELNS1_3gpuE3ELNS1_3repE0EEENS1_30default_config_static_selectorELNS0_4arch9wavefront6targetE1EEEvSP_
    .private_segment_fixed_size: 0
    .sgpr_count:     4
    .sgpr_spill_count: 0
    .symbol:         _ZN7rocprim17ROCPRIM_400000_NS6detail17trampoline_kernelINS0_14default_configENS1_21merge_config_selectorIxNS0_10empty_typeEEEZNS1_10merge_implIS3_N6thrust23THRUST_200600_302600_NS6detail15normal_iteratorINS9_10device_ptrIKxEEEESF_NSB_INSC_IxEEEEPS5_SI_SI_NS9_4lessIxEEEE10hipError_tPvRmT0_T1_T2_T3_T4_T5_mmT6_P12ihipStream_tbEUlT_E0_NS1_11comp_targetILNS1_3genE9ELNS1_11target_archE1100ELNS1_3gpuE3ELNS1_3repE0EEENS1_30default_config_static_selectorELNS0_4arch9wavefront6targetE1EEEvSP_.kd
    .uniform_work_group_size: 1
    .uses_dynamic_stack: false
    .vgpr_count:     0
    .vgpr_spill_count: 0
    .wavefront_size: 64
  - .agpr_count:     0
    .args:
      - .offset:         0
        .size:           88
        .value_kind:     by_value
    .group_segment_fixed_size: 0
    .kernarg_segment_align: 8
    .kernarg_segment_size: 88
    .language:       OpenCL C
    .language_version:
      - 2
      - 0
    .max_flat_workgroup_size: 256
    .name:           _ZN7rocprim17ROCPRIM_400000_NS6detail17trampoline_kernelINS0_14default_configENS1_21merge_config_selectorIxNS0_10empty_typeEEEZNS1_10merge_implIS3_N6thrust23THRUST_200600_302600_NS6detail15normal_iteratorINS9_10device_ptrIKxEEEESF_NSB_INSC_IxEEEEPS5_SI_SI_NS9_4lessIxEEEE10hipError_tPvRmT0_T1_T2_T3_T4_T5_mmT6_P12ihipStream_tbEUlT_E0_NS1_11comp_targetILNS1_3genE8ELNS1_11target_archE1030ELNS1_3gpuE2ELNS1_3repE0EEENS1_30default_config_static_selectorELNS0_4arch9wavefront6targetE1EEEvSP_
    .private_segment_fixed_size: 0
    .sgpr_count:     4
    .sgpr_spill_count: 0
    .symbol:         _ZN7rocprim17ROCPRIM_400000_NS6detail17trampoline_kernelINS0_14default_configENS1_21merge_config_selectorIxNS0_10empty_typeEEEZNS1_10merge_implIS3_N6thrust23THRUST_200600_302600_NS6detail15normal_iteratorINS9_10device_ptrIKxEEEESF_NSB_INSC_IxEEEEPS5_SI_SI_NS9_4lessIxEEEE10hipError_tPvRmT0_T1_T2_T3_T4_T5_mmT6_P12ihipStream_tbEUlT_E0_NS1_11comp_targetILNS1_3genE8ELNS1_11target_archE1030ELNS1_3gpuE2ELNS1_3repE0EEENS1_30default_config_static_selectorELNS0_4arch9wavefront6targetE1EEEvSP_.kd
    .uniform_work_group_size: 1
    .uses_dynamic_stack: false
    .vgpr_count:     0
    .vgpr_spill_count: 0
    .wavefront_size: 64
  - .agpr_count:     0
    .args:
      - .offset:         0
        .size:           104
        .value_kind:     by_value
    .group_segment_fixed_size: 0
    .kernarg_segment_align: 8
    .kernarg_segment_size: 104
    .language:       OpenCL C
    .language_version:
      - 2
      - 0
    .max_flat_workgroup_size: 128
    .name:           _ZN7rocprim17ROCPRIM_400000_NS6detail17trampoline_kernelINS0_14default_configENS1_22reduce_config_selectorIN6thrust23THRUST_200600_302600_NS5tupleIblNS6_9null_typeES8_S8_S8_S8_S8_S8_S8_EEEEZNS1_11reduce_implILb1ES3_NS6_12zip_iteratorINS7_INS6_11hip_rocprim26transform_input_iterator_tIbNSD_35transform_pair_of_input_iterators_tIbNS6_6detail15normal_iteratorINS6_10device_ptrIKxEEEESL_NS6_8equal_toIxEEEENSG_9not_fun_tINSD_8identityEEEEENSD_19counting_iterator_tIlEES8_S8_S8_S8_S8_S8_S8_S8_EEEEPS9_S9_NSD_9__find_if7functorIS9_EEEE10hipError_tPvRmT1_T2_T3_mT4_P12ihipStream_tbEUlT_E0_NS1_11comp_targetILNS1_3genE0ELNS1_11target_archE4294967295ELNS1_3gpuE0ELNS1_3repE0EEENS1_30default_config_static_selectorELNS0_4arch9wavefront6targetE1EEEvS14_
    .private_segment_fixed_size: 0
    .sgpr_count:     4
    .sgpr_spill_count: 0
    .symbol:         _ZN7rocprim17ROCPRIM_400000_NS6detail17trampoline_kernelINS0_14default_configENS1_22reduce_config_selectorIN6thrust23THRUST_200600_302600_NS5tupleIblNS6_9null_typeES8_S8_S8_S8_S8_S8_S8_EEEEZNS1_11reduce_implILb1ES3_NS6_12zip_iteratorINS7_INS6_11hip_rocprim26transform_input_iterator_tIbNSD_35transform_pair_of_input_iterators_tIbNS6_6detail15normal_iteratorINS6_10device_ptrIKxEEEESL_NS6_8equal_toIxEEEENSG_9not_fun_tINSD_8identityEEEEENSD_19counting_iterator_tIlEES8_S8_S8_S8_S8_S8_S8_S8_EEEEPS9_S9_NSD_9__find_if7functorIS9_EEEE10hipError_tPvRmT1_T2_T3_mT4_P12ihipStream_tbEUlT_E0_NS1_11comp_targetILNS1_3genE0ELNS1_11target_archE4294967295ELNS1_3gpuE0ELNS1_3repE0EEENS1_30default_config_static_selectorELNS0_4arch9wavefront6targetE1EEEvS14_.kd
    .uniform_work_group_size: 1
    .uses_dynamic_stack: false
    .vgpr_count:     0
    .vgpr_spill_count: 0
    .wavefront_size: 64
  - .agpr_count:     0
    .args:
      - .offset:         0
        .size:           104
        .value_kind:     by_value
    .group_segment_fixed_size: 0
    .kernarg_segment_align: 8
    .kernarg_segment_size: 104
    .language:       OpenCL C
    .language_version:
      - 2
      - 0
    .max_flat_workgroup_size: 256
    .name:           _ZN7rocprim17ROCPRIM_400000_NS6detail17trampoline_kernelINS0_14default_configENS1_22reduce_config_selectorIN6thrust23THRUST_200600_302600_NS5tupleIblNS6_9null_typeES8_S8_S8_S8_S8_S8_S8_EEEEZNS1_11reduce_implILb1ES3_NS6_12zip_iteratorINS7_INS6_11hip_rocprim26transform_input_iterator_tIbNSD_35transform_pair_of_input_iterators_tIbNS6_6detail15normal_iteratorINS6_10device_ptrIKxEEEESL_NS6_8equal_toIxEEEENSG_9not_fun_tINSD_8identityEEEEENSD_19counting_iterator_tIlEES8_S8_S8_S8_S8_S8_S8_S8_EEEEPS9_S9_NSD_9__find_if7functorIS9_EEEE10hipError_tPvRmT1_T2_T3_mT4_P12ihipStream_tbEUlT_E0_NS1_11comp_targetILNS1_3genE5ELNS1_11target_archE942ELNS1_3gpuE9ELNS1_3repE0EEENS1_30default_config_static_selectorELNS0_4arch9wavefront6targetE1EEEvS14_
    .private_segment_fixed_size: 0
    .sgpr_count:     4
    .sgpr_spill_count: 0
    .symbol:         _ZN7rocprim17ROCPRIM_400000_NS6detail17trampoline_kernelINS0_14default_configENS1_22reduce_config_selectorIN6thrust23THRUST_200600_302600_NS5tupleIblNS6_9null_typeES8_S8_S8_S8_S8_S8_S8_EEEEZNS1_11reduce_implILb1ES3_NS6_12zip_iteratorINS7_INS6_11hip_rocprim26transform_input_iterator_tIbNSD_35transform_pair_of_input_iterators_tIbNS6_6detail15normal_iteratorINS6_10device_ptrIKxEEEESL_NS6_8equal_toIxEEEENSG_9not_fun_tINSD_8identityEEEEENSD_19counting_iterator_tIlEES8_S8_S8_S8_S8_S8_S8_S8_EEEEPS9_S9_NSD_9__find_if7functorIS9_EEEE10hipError_tPvRmT1_T2_T3_mT4_P12ihipStream_tbEUlT_E0_NS1_11comp_targetILNS1_3genE5ELNS1_11target_archE942ELNS1_3gpuE9ELNS1_3repE0EEENS1_30default_config_static_selectorELNS0_4arch9wavefront6targetE1EEEvS14_.kd
    .uniform_work_group_size: 1
    .uses_dynamic_stack: false
    .vgpr_count:     0
    .vgpr_spill_count: 0
    .wavefront_size: 64
  - .agpr_count:     0
    .args:
      - .offset:         0
        .size:           104
        .value_kind:     by_value
    .group_segment_fixed_size: 128
    .kernarg_segment_align: 8
    .kernarg_segment_size: 104
    .language:       OpenCL C
    .language_version:
      - 2
      - 0
    .max_flat_workgroup_size: 256
    .name:           _ZN7rocprim17ROCPRIM_400000_NS6detail17trampoline_kernelINS0_14default_configENS1_22reduce_config_selectorIN6thrust23THRUST_200600_302600_NS5tupleIblNS6_9null_typeES8_S8_S8_S8_S8_S8_S8_EEEEZNS1_11reduce_implILb1ES3_NS6_12zip_iteratorINS7_INS6_11hip_rocprim26transform_input_iterator_tIbNSD_35transform_pair_of_input_iterators_tIbNS6_6detail15normal_iteratorINS6_10device_ptrIKxEEEESL_NS6_8equal_toIxEEEENSG_9not_fun_tINSD_8identityEEEEENSD_19counting_iterator_tIlEES8_S8_S8_S8_S8_S8_S8_S8_EEEEPS9_S9_NSD_9__find_if7functorIS9_EEEE10hipError_tPvRmT1_T2_T3_mT4_P12ihipStream_tbEUlT_E0_NS1_11comp_targetILNS1_3genE4ELNS1_11target_archE910ELNS1_3gpuE8ELNS1_3repE0EEENS1_30default_config_static_selectorELNS0_4arch9wavefront6targetE1EEEvS14_
    .private_segment_fixed_size: 0
    .sgpr_count:     32
    .sgpr_spill_count: 0
    .symbol:         _ZN7rocprim17ROCPRIM_400000_NS6detail17trampoline_kernelINS0_14default_configENS1_22reduce_config_selectorIN6thrust23THRUST_200600_302600_NS5tupleIblNS6_9null_typeES8_S8_S8_S8_S8_S8_S8_EEEEZNS1_11reduce_implILb1ES3_NS6_12zip_iteratorINS7_INS6_11hip_rocprim26transform_input_iterator_tIbNSD_35transform_pair_of_input_iterators_tIbNS6_6detail15normal_iteratorINS6_10device_ptrIKxEEEESL_NS6_8equal_toIxEEEENSG_9not_fun_tINSD_8identityEEEEENSD_19counting_iterator_tIlEES8_S8_S8_S8_S8_S8_S8_S8_EEEEPS9_S9_NSD_9__find_if7functorIS9_EEEE10hipError_tPvRmT1_T2_T3_mT4_P12ihipStream_tbEUlT_E0_NS1_11comp_targetILNS1_3genE4ELNS1_11target_archE910ELNS1_3gpuE8ELNS1_3repE0EEENS1_30default_config_static_selectorELNS0_4arch9wavefront6targetE1EEEvS14_.kd
    .uniform_work_group_size: 1
    .uses_dynamic_stack: false
    .vgpr_count:     14
    .vgpr_spill_count: 0
    .wavefront_size: 64
  - .agpr_count:     0
    .args:
      - .offset:         0
        .size:           104
        .value_kind:     by_value
    .group_segment_fixed_size: 0
    .kernarg_segment_align: 8
    .kernarg_segment_size: 104
    .language:       OpenCL C
    .language_version:
      - 2
      - 0
    .max_flat_workgroup_size: 128
    .name:           _ZN7rocprim17ROCPRIM_400000_NS6detail17trampoline_kernelINS0_14default_configENS1_22reduce_config_selectorIN6thrust23THRUST_200600_302600_NS5tupleIblNS6_9null_typeES8_S8_S8_S8_S8_S8_S8_EEEEZNS1_11reduce_implILb1ES3_NS6_12zip_iteratorINS7_INS6_11hip_rocprim26transform_input_iterator_tIbNSD_35transform_pair_of_input_iterators_tIbNS6_6detail15normal_iteratorINS6_10device_ptrIKxEEEESL_NS6_8equal_toIxEEEENSG_9not_fun_tINSD_8identityEEEEENSD_19counting_iterator_tIlEES8_S8_S8_S8_S8_S8_S8_S8_EEEEPS9_S9_NSD_9__find_if7functorIS9_EEEE10hipError_tPvRmT1_T2_T3_mT4_P12ihipStream_tbEUlT_E0_NS1_11comp_targetILNS1_3genE3ELNS1_11target_archE908ELNS1_3gpuE7ELNS1_3repE0EEENS1_30default_config_static_selectorELNS0_4arch9wavefront6targetE1EEEvS14_
    .private_segment_fixed_size: 0
    .sgpr_count:     4
    .sgpr_spill_count: 0
    .symbol:         _ZN7rocprim17ROCPRIM_400000_NS6detail17trampoline_kernelINS0_14default_configENS1_22reduce_config_selectorIN6thrust23THRUST_200600_302600_NS5tupleIblNS6_9null_typeES8_S8_S8_S8_S8_S8_S8_EEEEZNS1_11reduce_implILb1ES3_NS6_12zip_iteratorINS7_INS6_11hip_rocprim26transform_input_iterator_tIbNSD_35transform_pair_of_input_iterators_tIbNS6_6detail15normal_iteratorINS6_10device_ptrIKxEEEESL_NS6_8equal_toIxEEEENSG_9not_fun_tINSD_8identityEEEEENSD_19counting_iterator_tIlEES8_S8_S8_S8_S8_S8_S8_S8_EEEEPS9_S9_NSD_9__find_if7functorIS9_EEEE10hipError_tPvRmT1_T2_T3_mT4_P12ihipStream_tbEUlT_E0_NS1_11comp_targetILNS1_3genE3ELNS1_11target_archE908ELNS1_3gpuE7ELNS1_3repE0EEENS1_30default_config_static_selectorELNS0_4arch9wavefront6targetE1EEEvS14_.kd
    .uniform_work_group_size: 1
    .uses_dynamic_stack: false
    .vgpr_count:     0
    .vgpr_spill_count: 0
    .wavefront_size: 64
  - .agpr_count:     0
    .args:
      - .offset:         0
        .size:           104
        .value_kind:     by_value
    .group_segment_fixed_size: 0
    .kernarg_segment_align: 8
    .kernarg_segment_size: 104
    .language:       OpenCL C
    .language_version:
      - 2
      - 0
    .max_flat_workgroup_size: 128
    .name:           _ZN7rocprim17ROCPRIM_400000_NS6detail17trampoline_kernelINS0_14default_configENS1_22reduce_config_selectorIN6thrust23THRUST_200600_302600_NS5tupleIblNS6_9null_typeES8_S8_S8_S8_S8_S8_S8_EEEEZNS1_11reduce_implILb1ES3_NS6_12zip_iteratorINS7_INS6_11hip_rocprim26transform_input_iterator_tIbNSD_35transform_pair_of_input_iterators_tIbNS6_6detail15normal_iteratorINS6_10device_ptrIKxEEEESL_NS6_8equal_toIxEEEENSG_9not_fun_tINSD_8identityEEEEENSD_19counting_iterator_tIlEES8_S8_S8_S8_S8_S8_S8_S8_EEEEPS9_S9_NSD_9__find_if7functorIS9_EEEE10hipError_tPvRmT1_T2_T3_mT4_P12ihipStream_tbEUlT_E0_NS1_11comp_targetILNS1_3genE2ELNS1_11target_archE906ELNS1_3gpuE6ELNS1_3repE0EEENS1_30default_config_static_selectorELNS0_4arch9wavefront6targetE1EEEvS14_
    .private_segment_fixed_size: 0
    .sgpr_count:     4
    .sgpr_spill_count: 0
    .symbol:         _ZN7rocprim17ROCPRIM_400000_NS6detail17trampoline_kernelINS0_14default_configENS1_22reduce_config_selectorIN6thrust23THRUST_200600_302600_NS5tupleIblNS6_9null_typeES8_S8_S8_S8_S8_S8_S8_EEEEZNS1_11reduce_implILb1ES3_NS6_12zip_iteratorINS7_INS6_11hip_rocprim26transform_input_iterator_tIbNSD_35transform_pair_of_input_iterators_tIbNS6_6detail15normal_iteratorINS6_10device_ptrIKxEEEESL_NS6_8equal_toIxEEEENSG_9not_fun_tINSD_8identityEEEEENSD_19counting_iterator_tIlEES8_S8_S8_S8_S8_S8_S8_S8_EEEEPS9_S9_NSD_9__find_if7functorIS9_EEEE10hipError_tPvRmT1_T2_T3_mT4_P12ihipStream_tbEUlT_E0_NS1_11comp_targetILNS1_3genE2ELNS1_11target_archE906ELNS1_3gpuE6ELNS1_3repE0EEENS1_30default_config_static_selectorELNS0_4arch9wavefront6targetE1EEEvS14_.kd
    .uniform_work_group_size: 1
    .uses_dynamic_stack: false
    .vgpr_count:     0
    .vgpr_spill_count: 0
    .wavefront_size: 64
  - .agpr_count:     0
    .args:
      - .offset:         0
        .size:           104
        .value_kind:     by_value
    .group_segment_fixed_size: 0
    .kernarg_segment_align: 8
    .kernarg_segment_size: 104
    .language:       OpenCL C
    .language_version:
      - 2
      - 0
    .max_flat_workgroup_size: 256
    .name:           _ZN7rocprim17ROCPRIM_400000_NS6detail17trampoline_kernelINS0_14default_configENS1_22reduce_config_selectorIN6thrust23THRUST_200600_302600_NS5tupleIblNS6_9null_typeES8_S8_S8_S8_S8_S8_S8_EEEEZNS1_11reduce_implILb1ES3_NS6_12zip_iteratorINS7_INS6_11hip_rocprim26transform_input_iterator_tIbNSD_35transform_pair_of_input_iterators_tIbNS6_6detail15normal_iteratorINS6_10device_ptrIKxEEEESL_NS6_8equal_toIxEEEENSG_9not_fun_tINSD_8identityEEEEENSD_19counting_iterator_tIlEES8_S8_S8_S8_S8_S8_S8_S8_EEEEPS9_S9_NSD_9__find_if7functorIS9_EEEE10hipError_tPvRmT1_T2_T3_mT4_P12ihipStream_tbEUlT_E0_NS1_11comp_targetILNS1_3genE10ELNS1_11target_archE1201ELNS1_3gpuE5ELNS1_3repE0EEENS1_30default_config_static_selectorELNS0_4arch9wavefront6targetE1EEEvS14_
    .private_segment_fixed_size: 0
    .sgpr_count:     4
    .sgpr_spill_count: 0
    .symbol:         _ZN7rocprim17ROCPRIM_400000_NS6detail17trampoline_kernelINS0_14default_configENS1_22reduce_config_selectorIN6thrust23THRUST_200600_302600_NS5tupleIblNS6_9null_typeES8_S8_S8_S8_S8_S8_S8_EEEEZNS1_11reduce_implILb1ES3_NS6_12zip_iteratorINS7_INS6_11hip_rocprim26transform_input_iterator_tIbNSD_35transform_pair_of_input_iterators_tIbNS6_6detail15normal_iteratorINS6_10device_ptrIKxEEEESL_NS6_8equal_toIxEEEENSG_9not_fun_tINSD_8identityEEEEENSD_19counting_iterator_tIlEES8_S8_S8_S8_S8_S8_S8_S8_EEEEPS9_S9_NSD_9__find_if7functorIS9_EEEE10hipError_tPvRmT1_T2_T3_mT4_P12ihipStream_tbEUlT_E0_NS1_11comp_targetILNS1_3genE10ELNS1_11target_archE1201ELNS1_3gpuE5ELNS1_3repE0EEENS1_30default_config_static_selectorELNS0_4arch9wavefront6targetE1EEEvS14_.kd
    .uniform_work_group_size: 1
    .uses_dynamic_stack: false
    .vgpr_count:     0
    .vgpr_spill_count: 0
    .wavefront_size: 64
  - .agpr_count:     0
    .args:
      - .offset:         0
        .size:           104
        .value_kind:     by_value
    .group_segment_fixed_size: 0
    .kernarg_segment_align: 8
    .kernarg_segment_size: 104
    .language:       OpenCL C
    .language_version:
      - 2
      - 0
    .max_flat_workgroup_size: 256
    .name:           _ZN7rocprim17ROCPRIM_400000_NS6detail17trampoline_kernelINS0_14default_configENS1_22reduce_config_selectorIN6thrust23THRUST_200600_302600_NS5tupleIblNS6_9null_typeES8_S8_S8_S8_S8_S8_S8_EEEEZNS1_11reduce_implILb1ES3_NS6_12zip_iteratorINS7_INS6_11hip_rocprim26transform_input_iterator_tIbNSD_35transform_pair_of_input_iterators_tIbNS6_6detail15normal_iteratorINS6_10device_ptrIKxEEEESL_NS6_8equal_toIxEEEENSG_9not_fun_tINSD_8identityEEEEENSD_19counting_iterator_tIlEES8_S8_S8_S8_S8_S8_S8_S8_EEEEPS9_S9_NSD_9__find_if7functorIS9_EEEE10hipError_tPvRmT1_T2_T3_mT4_P12ihipStream_tbEUlT_E0_NS1_11comp_targetILNS1_3genE10ELNS1_11target_archE1200ELNS1_3gpuE4ELNS1_3repE0EEENS1_30default_config_static_selectorELNS0_4arch9wavefront6targetE1EEEvS14_
    .private_segment_fixed_size: 0
    .sgpr_count:     4
    .sgpr_spill_count: 0
    .symbol:         _ZN7rocprim17ROCPRIM_400000_NS6detail17trampoline_kernelINS0_14default_configENS1_22reduce_config_selectorIN6thrust23THRUST_200600_302600_NS5tupleIblNS6_9null_typeES8_S8_S8_S8_S8_S8_S8_EEEEZNS1_11reduce_implILb1ES3_NS6_12zip_iteratorINS7_INS6_11hip_rocprim26transform_input_iterator_tIbNSD_35transform_pair_of_input_iterators_tIbNS6_6detail15normal_iteratorINS6_10device_ptrIKxEEEESL_NS6_8equal_toIxEEEENSG_9not_fun_tINSD_8identityEEEEENSD_19counting_iterator_tIlEES8_S8_S8_S8_S8_S8_S8_S8_EEEEPS9_S9_NSD_9__find_if7functorIS9_EEEE10hipError_tPvRmT1_T2_T3_mT4_P12ihipStream_tbEUlT_E0_NS1_11comp_targetILNS1_3genE10ELNS1_11target_archE1200ELNS1_3gpuE4ELNS1_3repE0EEENS1_30default_config_static_selectorELNS0_4arch9wavefront6targetE1EEEvS14_.kd
    .uniform_work_group_size: 1
    .uses_dynamic_stack: false
    .vgpr_count:     0
    .vgpr_spill_count: 0
    .wavefront_size: 64
  - .agpr_count:     0
    .args:
      - .offset:         0
        .size:           104
        .value_kind:     by_value
    .group_segment_fixed_size: 0
    .kernarg_segment_align: 8
    .kernarg_segment_size: 104
    .language:       OpenCL C
    .language_version:
      - 2
      - 0
    .max_flat_workgroup_size: 256
    .name:           _ZN7rocprim17ROCPRIM_400000_NS6detail17trampoline_kernelINS0_14default_configENS1_22reduce_config_selectorIN6thrust23THRUST_200600_302600_NS5tupleIblNS6_9null_typeES8_S8_S8_S8_S8_S8_S8_EEEEZNS1_11reduce_implILb1ES3_NS6_12zip_iteratorINS7_INS6_11hip_rocprim26transform_input_iterator_tIbNSD_35transform_pair_of_input_iterators_tIbNS6_6detail15normal_iteratorINS6_10device_ptrIKxEEEESL_NS6_8equal_toIxEEEENSG_9not_fun_tINSD_8identityEEEEENSD_19counting_iterator_tIlEES8_S8_S8_S8_S8_S8_S8_S8_EEEEPS9_S9_NSD_9__find_if7functorIS9_EEEE10hipError_tPvRmT1_T2_T3_mT4_P12ihipStream_tbEUlT_E0_NS1_11comp_targetILNS1_3genE9ELNS1_11target_archE1100ELNS1_3gpuE3ELNS1_3repE0EEENS1_30default_config_static_selectorELNS0_4arch9wavefront6targetE1EEEvS14_
    .private_segment_fixed_size: 0
    .sgpr_count:     4
    .sgpr_spill_count: 0
    .symbol:         _ZN7rocprim17ROCPRIM_400000_NS6detail17trampoline_kernelINS0_14default_configENS1_22reduce_config_selectorIN6thrust23THRUST_200600_302600_NS5tupleIblNS6_9null_typeES8_S8_S8_S8_S8_S8_S8_EEEEZNS1_11reduce_implILb1ES3_NS6_12zip_iteratorINS7_INS6_11hip_rocprim26transform_input_iterator_tIbNSD_35transform_pair_of_input_iterators_tIbNS6_6detail15normal_iteratorINS6_10device_ptrIKxEEEESL_NS6_8equal_toIxEEEENSG_9not_fun_tINSD_8identityEEEEENSD_19counting_iterator_tIlEES8_S8_S8_S8_S8_S8_S8_S8_EEEEPS9_S9_NSD_9__find_if7functorIS9_EEEE10hipError_tPvRmT1_T2_T3_mT4_P12ihipStream_tbEUlT_E0_NS1_11comp_targetILNS1_3genE9ELNS1_11target_archE1100ELNS1_3gpuE3ELNS1_3repE0EEENS1_30default_config_static_selectorELNS0_4arch9wavefront6targetE1EEEvS14_.kd
    .uniform_work_group_size: 1
    .uses_dynamic_stack: false
    .vgpr_count:     0
    .vgpr_spill_count: 0
    .wavefront_size: 64
  - .agpr_count:     0
    .args:
      - .offset:         0
        .size:           104
        .value_kind:     by_value
    .group_segment_fixed_size: 0
    .kernarg_segment_align: 8
    .kernarg_segment_size: 104
    .language:       OpenCL C
    .language_version:
      - 2
      - 0
    .max_flat_workgroup_size: 256
    .name:           _ZN7rocprim17ROCPRIM_400000_NS6detail17trampoline_kernelINS0_14default_configENS1_22reduce_config_selectorIN6thrust23THRUST_200600_302600_NS5tupleIblNS6_9null_typeES8_S8_S8_S8_S8_S8_S8_EEEEZNS1_11reduce_implILb1ES3_NS6_12zip_iteratorINS7_INS6_11hip_rocprim26transform_input_iterator_tIbNSD_35transform_pair_of_input_iterators_tIbNS6_6detail15normal_iteratorINS6_10device_ptrIKxEEEESL_NS6_8equal_toIxEEEENSG_9not_fun_tINSD_8identityEEEEENSD_19counting_iterator_tIlEES8_S8_S8_S8_S8_S8_S8_S8_EEEEPS9_S9_NSD_9__find_if7functorIS9_EEEE10hipError_tPvRmT1_T2_T3_mT4_P12ihipStream_tbEUlT_E0_NS1_11comp_targetILNS1_3genE8ELNS1_11target_archE1030ELNS1_3gpuE2ELNS1_3repE0EEENS1_30default_config_static_selectorELNS0_4arch9wavefront6targetE1EEEvS14_
    .private_segment_fixed_size: 0
    .sgpr_count:     4
    .sgpr_spill_count: 0
    .symbol:         _ZN7rocprim17ROCPRIM_400000_NS6detail17trampoline_kernelINS0_14default_configENS1_22reduce_config_selectorIN6thrust23THRUST_200600_302600_NS5tupleIblNS6_9null_typeES8_S8_S8_S8_S8_S8_S8_EEEEZNS1_11reduce_implILb1ES3_NS6_12zip_iteratorINS7_INS6_11hip_rocprim26transform_input_iterator_tIbNSD_35transform_pair_of_input_iterators_tIbNS6_6detail15normal_iteratorINS6_10device_ptrIKxEEEESL_NS6_8equal_toIxEEEENSG_9not_fun_tINSD_8identityEEEEENSD_19counting_iterator_tIlEES8_S8_S8_S8_S8_S8_S8_S8_EEEEPS9_S9_NSD_9__find_if7functorIS9_EEEE10hipError_tPvRmT1_T2_T3_mT4_P12ihipStream_tbEUlT_E0_NS1_11comp_targetILNS1_3genE8ELNS1_11target_archE1030ELNS1_3gpuE2ELNS1_3repE0EEENS1_30default_config_static_selectorELNS0_4arch9wavefront6targetE1EEEvS14_.kd
    .uniform_work_group_size: 1
    .uses_dynamic_stack: false
    .vgpr_count:     0
    .vgpr_spill_count: 0
    .wavefront_size: 64
  - .agpr_count:     0
    .args:
      - .offset:         0
        .size:           88
        .value_kind:     by_value
    .group_segment_fixed_size: 0
    .kernarg_segment_align: 8
    .kernarg_segment_size: 88
    .language:       OpenCL C
    .language_version:
      - 2
      - 0
    .max_flat_workgroup_size: 128
    .name:           _ZN7rocprim17ROCPRIM_400000_NS6detail17trampoline_kernelINS0_14default_configENS1_22reduce_config_selectorIN6thrust23THRUST_200600_302600_NS5tupleIblNS6_9null_typeES8_S8_S8_S8_S8_S8_S8_EEEEZNS1_11reduce_implILb1ES3_NS6_12zip_iteratorINS7_INS6_11hip_rocprim26transform_input_iterator_tIbNSD_35transform_pair_of_input_iterators_tIbNS6_6detail15normal_iteratorINS6_10device_ptrIKxEEEESL_NS6_8equal_toIxEEEENSG_9not_fun_tINSD_8identityEEEEENSD_19counting_iterator_tIlEES8_S8_S8_S8_S8_S8_S8_S8_EEEEPS9_S9_NSD_9__find_if7functorIS9_EEEE10hipError_tPvRmT1_T2_T3_mT4_P12ihipStream_tbEUlT_E1_NS1_11comp_targetILNS1_3genE0ELNS1_11target_archE4294967295ELNS1_3gpuE0ELNS1_3repE0EEENS1_30default_config_static_selectorELNS0_4arch9wavefront6targetE1EEEvS14_
    .private_segment_fixed_size: 0
    .sgpr_count:     4
    .sgpr_spill_count: 0
    .symbol:         _ZN7rocprim17ROCPRIM_400000_NS6detail17trampoline_kernelINS0_14default_configENS1_22reduce_config_selectorIN6thrust23THRUST_200600_302600_NS5tupleIblNS6_9null_typeES8_S8_S8_S8_S8_S8_S8_EEEEZNS1_11reduce_implILb1ES3_NS6_12zip_iteratorINS7_INS6_11hip_rocprim26transform_input_iterator_tIbNSD_35transform_pair_of_input_iterators_tIbNS6_6detail15normal_iteratorINS6_10device_ptrIKxEEEESL_NS6_8equal_toIxEEEENSG_9not_fun_tINSD_8identityEEEEENSD_19counting_iterator_tIlEES8_S8_S8_S8_S8_S8_S8_S8_EEEEPS9_S9_NSD_9__find_if7functorIS9_EEEE10hipError_tPvRmT1_T2_T3_mT4_P12ihipStream_tbEUlT_E1_NS1_11comp_targetILNS1_3genE0ELNS1_11target_archE4294967295ELNS1_3gpuE0ELNS1_3repE0EEENS1_30default_config_static_selectorELNS0_4arch9wavefront6targetE1EEEvS14_.kd
    .uniform_work_group_size: 1
    .uses_dynamic_stack: false
    .vgpr_count:     0
    .vgpr_spill_count: 0
    .wavefront_size: 64
  - .agpr_count:     0
    .args:
      - .offset:         0
        .size:           88
        .value_kind:     by_value
    .group_segment_fixed_size: 0
    .kernarg_segment_align: 8
    .kernarg_segment_size: 88
    .language:       OpenCL C
    .language_version:
      - 2
      - 0
    .max_flat_workgroup_size: 256
    .name:           _ZN7rocprim17ROCPRIM_400000_NS6detail17trampoline_kernelINS0_14default_configENS1_22reduce_config_selectorIN6thrust23THRUST_200600_302600_NS5tupleIblNS6_9null_typeES8_S8_S8_S8_S8_S8_S8_EEEEZNS1_11reduce_implILb1ES3_NS6_12zip_iteratorINS7_INS6_11hip_rocprim26transform_input_iterator_tIbNSD_35transform_pair_of_input_iterators_tIbNS6_6detail15normal_iteratorINS6_10device_ptrIKxEEEESL_NS6_8equal_toIxEEEENSG_9not_fun_tINSD_8identityEEEEENSD_19counting_iterator_tIlEES8_S8_S8_S8_S8_S8_S8_S8_EEEEPS9_S9_NSD_9__find_if7functorIS9_EEEE10hipError_tPvRmT1_T2_T3_mT4_P12ihipStream_tbEUlT_E1_NS1_11comp_targetILNS1_3genE5ELNS1_11target_archE942ELNS1_3gpuE9ELNS1_3repE0EEENS1_30default_config_static_selectorELNS0_4arch9wavefront6targetE1EEEvS14_
    .private_segment_fixed_size: 0
    .sgpr_count:     4
    .sgpr_spill_count: 0
    .symbol:         _ZN7rocprim17ROCPRIM_400000_NS6detail17trampoline_kernelINS0_14default_configENS1_22reduce_config_selectorIN6thrust23THRUST_200600_302600_NS5tupleIblNS6_9null_typeES8_S8_S8_S8_S8_S8_S8_EEEEZNS1_11reduce_implILb1ES3_NS6_12zip_iteratorINS7_INS6_11hip_rocprim26transform_input_iterator_tIbNSD_35transform_pair_of_input_iterators_tIbNS6_6detail15normal_iteratorINS6_10device_ptrIKxEEEESL_NS6_8equal_toIxEEEENSG_9not_fun_tINSD_8identityEEEEENSD_19counting_iterator_tIlEES8_S8_S8_S8_S8_S8_S8_S8_EEEEPS9_S9_NSD_9__find_if7functorIS9_EEEE10hipError_tPvRmT1_T2_T3_mT4_P12ihipStream_tbEUlT_E1_NS1_11comp_targetILNS1_3genE5ELNS1_11target_archE942ELNS1_3gpuE9ELNS1_3repE0EEENS1_30default_config_static_selectorELNS0_4arch9wavefront6targetE1EEEvS14_.kd
    .uniform_work_group_size: 1
    .uses_dynamic_stack: false
    .vgpr_count:     0
    .vgpr_spill_count: 0
    .wavefront_size: 64
  - .agpr_count:     0
    .args:
      - .offset:         0
        .size:           88
        .value_kind:     by_value
    .group_segment_fixed_size: 320
    .kernarg_segment_align: 8
    .kernarg_segment_size: 88
    .language:       OpenCL C
    .language_version:
      - 2
      - 0
    .max_flat_workgroup_size: 256
    .name:           _ZN7rocprim17ROCPRIM_400000_NS6detail17trampoline_kernelINS0_14default_configENS1_22reduce_config_selectorIN6thrust23THRUST_200600_302600_NS5tupleIblNS6_9null_typeES8_S8_S8_S8_S8_S8_S8_EEEEZNS1_11reduce_implILb1ES3_NS6_12zip_iteratorINS7_INS6_11hip_rocprim26transform_input_iterator_tIbNSD_35transform_pair_of_input_iterators_tIbNS6_6detail15normal_iteratorINS6_10device_ptrIKxEEEESL_NS6_8equal_toIxEEEENSG_9not_fun_tINSD_8identityEEEEENSD_19counting_iterator_tIlEES8_S8_S8_S8_S8_S8_S8_S8_EEEEPS9_S9_NSD_9__find_if7functorIS9_EEEE10hipError_tPvRmT1_T2_T3_mT4_P12ihipStream_tbEUlT_E1_NS1_11comp_targetILNS1_3genE4ELNS1_11target_archE910ELNS1_3gpuE8ELNS1_3repE0EEENS1_30default_config_static_selectorELNS0_4arch9wavefront6targetE1EEEvS14_
    .private_segment_fixed_size: 0
    .sgpr_count:     44
    .sgpr_spill_count: 0
    .symbol:         _ZN7rocprim17ROCPRIM_400000_NS6detail17trampoline_kernelINS0_14default_configENS1_22reduce_config_selectorIN6thrust23THRUST_200600_302600_NS5tupleIblNS6_9null_typeES8_S8_S8_S8_S8_S8_S8_EEEEZNS1_11reduce_implILb1ES3_NS6_12zip_iteratorINS7_INS6_11hip_rocprim26transform_input_iterator_tIbNSD_35transform_pair_of_input_iterators_tIbNS6_6detail15normal_iteratorINS6_10device_ptrIKxEEEESL_NS6_8equal_toIxEEEENSG_9not_fun_tINSD_8identityEEEEENSD_19counting_iterator_tIlEES8_S8_S8_S8_S8_S8_S8_S8_EEEEPS9_S9_NSD_9__find_if7functorIS9_EEEE10hipError_tPvRmT1_T2_T3_mT4_P12ihipStream_tbEUlT_E1_NS1_11comp_targetILNS1_3genE4ELNS1_11target_archE910ELNS1_3gpuE8ELNS1_3repE0EEENS1_30default_config_static_selectorELNS0_4arch9wavefront6targetE1EEEvS14_.kd
    .uniform_work_group_size: 1
    .uses_dynamic_stack: false
    .vgpr_count:     44
    .vgpr_spill_count: 0
    .wavefront_size: 64
  - .agpr_count:     0
    .args:
      - .offset:         0
        .size:           88
        .value_kind:     by_value
    .group_segment_fixed_size: 0
    .kernarg_segment_align: 8
    .kernarg_segment_size: 88
    .language:       OpenCL C
    .language_version:
      - 2
      - 0
    .max_flat_workgroup_size: 128
    .name:           _ZN7rocprim17ROCPRIM_400000_NS6detail17trampoline_kernelINS0_14default_configENS1_22reduce_config_selectorIN6thrust23THRUST_200600_302600_NS5tupleIblNS6_9null_typeES8_S8_S8_S8_S8_S8_S8_EEEEZNS1_11reduce_implILb1ES3_NS6_12zip_iteratorINS7_INS6_11hip_rocprim26transform_input_iterator_tIbNSD_35transform_pair_of_input_iterators_tIbNS6_6detail15normal_iteratorINS6_10device_ptrIKxEEEESL_NS6_8equal_toIxEEEENSG_9not_fun_tINSD_8identityEEEEENSD_19counting_iterator_tIlEES8_S8_S8_S8_S8_S8_S8_S8_EEEEPS9_S9_NSD_9__find_if7functorIS9_EEEE10hipError_tPvRmT1_T2_T3_mT4_P12ihipStream_tbEUlT_E1_NS1_11comp_targetILNS1_3genE3ELNS1_11target_archE908ELNS1_3gpuE7ELNS1_3repE0EEENS1_30default_config_static_selectorELNS0_4arch9wavefront6targetE1EEEvS14_
    .private_segment_fixed_size: 0
    .sgpr_count:     4
    .sgpr_spill_count: 0
    .symbol:         _ZN7rocprim17ROCPRIM_400000_NS6detail17trampoline_kernelINS0_14default_configENS1_22reduce_config_selectorIN6thrust23THRUST_200600_302600_NS5tupleIblNS6_9null_typeES8_S8_S8_S8_S8_S8_S8_EEEEZNS1_11reduce_implILb1ES3_NS6_12zip_iteratorINS7_INS6_11hip_rocprim26transform_input_iterator_tIbNSD_35transform_pair_of_input_iterators_tIbNS6_6detail15normal_iteratorINS6_10device_ptrIKxEEEESL_NS6_8equal_toIxEEEENSG_9not_fun_tINSD_8identityEEEEENSD_19counting_iterator_tIlEES8_S8_S8_S8_S8_S8_S8_S8_EEEEPS9_S9_NSD_9__find_if7functorIS9_EEEE10hipError_tPvRmT1_T2_T3_mT4_P12ihipStream_tbEUlT_E1_NS1_11comp_targetILNS1_3genE3ELNS1_11target_archE908ELNS1_3gpuE7ELNS1_3repE0EEENS1_30default_config_static_selectorELNS0_4arch9wavefront6targetE1EEEvS14_.kd
    .uniform_work_group_size: 1
    .uses_dynamic_stack: false
    .vgpr_count:     0
    .vgpr_spill_count: 0
    .wavefront_size: 64
  - .agpr_count:     0
    .args:
      - .offset:         0
        .size:           88
        .value_kind:     by_value
    .group_segment_fixed_size: 0
    .kernarg_segment_align: 8
    .kernarg_segment_size: 88
    .language:       OpenCL C
    .language_version:
      - 2
      - 0
    .max_flat_workgroup_size: 128
    .name:           _ZN7rocprim17ROCPRIM_400000_NS6detail17trampoline_kernelINS0_14default_configENS1_22reduce_config_selectorIN6thrust23THRUST_200600_302600_NS5tupleIblNS6_9null_typeES8_S8_S8_S8_S8_S8_S8_EEEEZNS1_11reduce_implILb1ES3_NS6_12zip_iteratorINS7_INS6_11hip_rocprim26transform_input_iterator_tIbNSD_35transform_pair_of_input_iterators_tIbNS6_6detail15normal_iteratorINS6_10device_ptrIKxEEEESL_NS6_8equal_toIxEEEENSG_9not_fun_tINSD_8identityEEEEENSD_19counting_iterator_tIlEES8_S8_S8_S8_S8_S8_S8_S8_EEEEPS9_S9_NSD_9__find_if7functorIS9_EEEE10hipError_tPvRmT1_T2_T3_mT4_P12ihipStream_tbEUlT_E1_NS1_11comp_targetILNS1_3genE2ELNS1_11target_archE906ELNS1_3gpuE6ELNS1_3repE0EEENS1_30default_config_static_selectorELNS0_4arch9wavefront6targetE1EEEvS14_
    .private_segment_fixed_size: 0
    .sgpr_count:     4
    .sgpr_spill_count: 0
    .symbol:         _ZN7rocprim17ROCPRIM_400000_NS6detail17trampoline_kernelINS0_14default_configENS1_22reduce_config_selectorIN6thrust23THRUST_200600_302600_NS5tupleIblNS6_9null_typeES8_S8_S8_S8_S8_S8_S8_EEEEZNS1_11reduce_implILb1ES3_NS6_12zip_iteratorINS7_INS6_11hip_rocprim26transform_input_iterator_tIbNSD_35transform_pair_of_input_iterators_tIbNS6_6detail15normal_iteratorINS6_10device_ptrIKxEEEESL_NS6_8equal_toIxEEEENSG_9not_fun_tINSD_8identityEEEEENSD_19counting_iterator_tIlEES8_S8_S8_S8_S8_S8_S8_S8_EEEEPS9_S9_NSD_9__find_if7functorIS9_EEEE10hipError_tPvRmT1_T2_T3_mT4_P12ihipStream_tbEUlT_E1_NS1_11comp_targetILNS1_3genE2ELNS1_11target_archE906ELNS1_3gpuE6ELNS1_3repE0EEENS1_30default_config_static_selectorELNS0_4arch9wavefront6targetE1EEEvS14_.kd
    .uniform_work_group_size: 1
    .uses_dynamic_stack: false
    .vgpr_count:     0
    .vgpr_spill_count: 0
    .wavefront_size: 64
  - .agpr_count:     0
    .args:
      - .offset:         0
        .size:           88
        .value_kind:     by_value
    .group_segment_fixed_size: 0
    .kernarg_segment_align: 8
    .kernarg_segment_size: 88
    .language:       OpenCL C
    .language_version:
      - 2
      - 0
    .max_flat_workgroup_size: 256
    .name:           _ZN7rocprim17ROCPRIM_400000_NS6detail17trampoline_kernelINS0_14default_configENS1_22reduce_config_selectorIN6thrust23THRUST_200600_302600_NS5tupleIblNS6_9null_typeES8_S8_S8_S8_S8_S8_S8_EEEEZNS1_11reduce_implILb1ES3_NS6_12zip_iteratorINS7_INS6_11hip_rocprim26transform_input_iterator_tIbNSD_35transform_pair_of_input_iterators_tIbNS6_6detail15normal_iteratorINS6_10device_ptrIKxEEEESL_NS6_8equal_toIxEEEENSG_9not_fun_tINSD_8identityEEEEENSD_19counting_iterator_tIlEES8_S8_S8_S8_S8_S8_S8_S8_EEEEPS9_S9_NSD_9__find_if7functorIS9_EEEE10hipError_tPvRmT1_T2_T3_mT4_P12ihipStream_tbEUlT_E1_NS1_11comp_targetILNS1_3genE10ELNS1_11target_archE1201ELNS1_3gpuE5ELNS1_3repE0EEENS1_30default_config_static_selectorELNS0_4arch9wavefront6targetE1EEEvS14_
    .private_segment_fixed_size: 0
    .sgpr_count:     4
    .sgpr_spill_count: 0
    .symbol:         _ZN7rocprim17ROCPRIM_400000_NS6detail17trampoline_kernelINS0_14default_configENS1_22reduce_config_selectorIN6thrust23THRUST_200600_302600_NS5tupleIblNS6_9null_typeES8_S8_S8_S8_S8_S8_S8_EEEEZNS1_11reduce_implILb1ES3_NS6_12zip_iteratorINS7_INS6_11hip_rocprim26transform_input_iterator_tIbNSD_35transform_pair_of_input_iterators_tIbNS6_6detail15normal_iteratorINS6_10device_ptrIKxEEEESL_NS6_8equal_toIxEEEENSG_9not_fun_tINSD_8identityEEEEENSD_19counting_iterator_tIlEES8_S8_S8_S8_S8_S8_S8_S8_EEEEPS9_S9_NSD_9__find_if7functorIS9_EEEE10hipError_tPvRmT1_T2_T3_mT4_P12ihipStream_tbEUlT_E1_NS1_11comp_targetILNS1_3genE10ELNS1_11target_archE1201ELNS1_3gpuE5ELNS1_3repE0EEENS1_30default_config_static_selectorELNS0_4arch9wavefront6targetE1EEEvS14_.kd
    .uniform_work_group_size: 1
    .uses_dynamic_stack: false
    .vgpr_count:     0
    .vgpr_spill_count: 0
    .wavefront_size: 64
  - .agpr_count:     0
    .args:
      - .offset:         0
        .size:           88
        .value_kind:     by_value
    .group_segment_fixed_size: 0
    .kernarg_segment_align: 8
    .kernarg_segment_size: 88
    .language:       OpenCL C
    .language_version:
      - 2
      - 0
    .max_flat_workgroup_size: 256
    .name:           _ZN7rocprim17ROCPRIM_400000_NS6detail17trampoline_kernelINS0_14default_configENS1_22reduce_config_selectorIN6thrust23THRUST_200600_302600_NS5tupleIblNS6_9null_typeES8_S8_S8_S8_S8_S8_S8_EEEEZNS1_11reduce_implILb1ES3_NS6_12zip_iteratorINS7_INS6_11hip_rocprim26transform_input_iterator_tIbNSD_35transform_pair_of_input_iterators_tIbNS6_6detail15normal_iteratorINS6_10device_ptrIKxEEEESL_NS6_8equal_toIxEEEENSG_9not_fun_tINSD_8identityEEEEENSD_19counting_iterator_tIlEES8_S8_S8_S8_S8_S8_S8_S8_EEEEPS9_S9_NSD_9__find_if7functorIS9_EEEE10hipError_tPvRmT1_T2_T3_mT4_P12ihipStream_tbEUlT_E1_NS1_11comp_targetILNS1_3genE10ELNS1_11target_archE1200ELNS1_3gpuE4ELNS1_3repE0EEENS1_30default_config_static_selectorELNS0_4arch9wavefront6targetE1EEEvS14_
    .private_segment_fixed_size: 0
    .sgpr_count:     4
    .sgpr_spill_count: 0
    .symbol:         _ZN7rocprim17ROCPRIM_400000_NS6detail17trampoline_kernelINS0_14default_configENS1_22reduce_config_selectorIN6thrust23THRUST_200600_302600_NS5tupleIblNS6_9null_typeES8_S8_S8_S8_S8_S8_S8_EEEEZNS1_11reduce_implILb1ES3_NS6_12zip_iteratorINS7_INS6_11hip_rocprim26transform_input_iterator_tIbNSD_35transform_pair_of_input_iterators_tIbNS6_6detail15normal_iteratorINS6_10device_ptrIKxEEEESL_NS6_8equal_toIxEEEENSG_9not_fun_tINSD_8identityEEEEENSD_19counting_iterator_tIlEES8_S8_S8_S8_S8_S8_S8_S8_EEEEPS9_S9_NSD_9__find_if7functorIS9_EEEE10hipError_tPvRmT1_T2_T3_mT4_P12ihipStream_tbEUlT_E1_NS1_11comp_targetILNS1_3genE10ELNS1_11target_archE1200ELNS1_3gpuE4ELNS1_3repE0EEENS1_30default_config_static_selectorELNS0_4arch9wavefront6targetE1EEEvS14_.kd
    .uniform_work_group_size: 1
    .uses_dynamic_stack: false
    .vgpr_count:     0
    .vgpr_spill_count: 0
    .wavefront_size: 64
  - .agpr_count:     0
    .args:
      - .offset:         0
        .size:           88
        .value_kind:     by_value
    .group_segment_fixed_size: 0
    .kernarg_segment_align: 8
    .kernarg_segment_size: 88
    .language:       OpenCL C
    .language_version:
      - 2
      - 0
    .max_flat_workgroup_size: 256
    .name:           _ZN7rocprim17ROCPRIM_400000_NS6detail17trampoline_kernelINS0_14default_configENS1_22reduce_config_selectorIN6thrust23THRUST_200600_302600_NS5tupleIblNS6_9null_typeES8_S8_S8_S8_S8_S8_S8_EEEEZNS1_11reduce_implILb1ES3_NS6_12zip_iteratorINS7_INS6_11hip_rocprim26transform_input_iterator_tIbNSD_35transform_pair_of_input_iterators_tIbNS6_6detail15normal_iteratorINS6_10device_ptrIKxEEEESL_NS6_8equal_toIxEEEENSG_9not_fun_tINSD_8identityEEEEENSD_19counting_iterator_tIlEES8_S8_S8_S8_S8_S8_S8_S8_EEEEPS9_S9_NSD_9__find_if7functorIS9_EEEE10hipError_tPvRmT1_T2_T3_mT4_P12ihipStream_tbEUlT_E1_NS1_11comp_targetILNS1_3genE9ELNS1_11target_archE1100ELNS1_3gpuE3ELNS1_3repE0EEENS1_30default_config_static_selectorELNS0_4arch9wavefront6targetE1EEEvS14_
    .private_segment_fixed_size: 0
    .sgpr_count:     4
    .sgpr_spill_count: 0
    .symbol:         _ZN7rocprim17ROCPRIM_400000_NS6detail17trampoline_kernelINS0_14default_configENS1_22reduce_config_selectorIN6thrust23THRUST_200600_302600_NS5tupleIblNS6_9null_typeES8_S8_S8_S8_S8_S8_S8_EEEEZNS1_11reduce_implILb1ES3_NS6_12zip_iteratorINS7_INS6_11hip_rocprim26transform_input_iterator_tIbNSD_35transform_pair_of_input_iterators_tIbNS6_6detail15normal_iteratorINS6_10device_ptrIKxEEEESL_NS6_8equal_toIxEEEENSG_9not_fun_tINSD_8identityEEEEENSD_19counting_iterator_tIlEES8_S8_S8_S8_S8_S8_S8_S8_EEEEPS9_S9_NSD_9__find_if7functorIS9_EEEE10hipError_tPvRmT1_T2_T3_mT4_P12ihipStream_tbEUlT_E1_NS1_11comp_targetILNS1_3genE9ELNS1_11target_archE1100ELNS1_3gpuE3ELNS1_3repE0EEENS1_30default_config_static_selectorELNS0_4arch9wavefront6targetE1EEEvS14_.kd
    .uniform_work_group_size: 1
    .uses_dynamic_stack: false
    .vgpr_count:     0
    .vgpr_spill_count: 0
    .wavefront_size: 64
  - .agpr_count:     0
    .args:
      - .offset:         0
        .size:           88
        .value_kind:     by_value
    .group_segment_fixed_size: 0
    .kernarg_segment_align: 8
    .kernarg_segment_size: 88
    .language:       OpenCL C
    .language_version:
      - 2
      - 0
    .max_flat_workgroup_size: 256
    .name:           _ZN7rocprim17ROCPRIM_400000_NS6detail17trampoline_kernelINS0_14default_configENS1_22reduce_config_selectorIN6thrust23THRUST_200600_302600_NS5tupleIblNS6_9null_typeES8_S8_S8_S8_S8_S8_S8_EEEEZNS1_11reduce_implILb1ES3_NS6_12zip_iteratorINS7_INS6_11hip_rocprim26transform_input_iterator_tIbNSD_35transform_pair_of_input_iterators_tIbNS6_6detail15normal_iteratorINS6_10device_ptrIKxEEEESL_NS6_8equal_toIxEEEENSG_9not_fun_tINSD_8identityEEEEENSD_19counting_iterator_tIlEES8_S8_S8_S8_S8_S8_S8_S8_EEEEPS9_S9_NSD_9__find_if7functorIS9_EEEE10hipError_tPvRmT1_T2_T3_mT4_P12ihipStream_tbEUlT_E1_NS1_11comp_targetILNS1_3genE8ELNS1_11target_archE1030ELNS1_3gpuE2ELNS1_3repE0EEENS1_30default_config_static_selectorELNS0_4arch9wavefront6targetE1EEEvS14_
    .private_segment_fixed_size: 0
    .sgpr_count:     4
    .sgpr_spill_count: 0
    .symbol:         _ZN7rocprim17ROCPRIM_400000_NS6detail17trampoline_kernelINS0_14default_configENS1_22reduce_config_selectorIN6thrust23THRUST_200600_302600_NS5tupleIblNS6_9null_typeES8_S8_S8_S8_S8_S8_S8_EEEEZNS1_11reduce_implILb1ES3_NS6_12zip_iteratorINS7_INS6_11hip_rocprim26transform_input_iterator_tIbNSD_35transform_pair_of_input_iterators_tIbNS6_6detail15normal_iteratorINS6_10device_ptrIKxEEEESL_NS6_8equal_toIxEEEENSG_9not_fun_tINSD_8identityEEEEENSD_19counting_iterator_tIlEES8_S8_S8_S8_S8_S8_S8_S8_EEEEPS9_S9_NSD_9__find_if7functorIS9_EEEE10hipError_tPvRmT1_T2_T3_mT4_P12ihipStream_tbEUlT_E1_NS1_11comp_targetILNS1_3genE8ELNS1_11target_archE1030ELNS1_3gpuE2ELNS1_3repE0EEENS1_30default_config_static_selectorELNS0_4arch9wavefront6targetE1EEEvS14_.kd
    .uniform_work_group_size: 1
    .uses_dynamic_stack: false
    .vgpr_count:     0
    .vgpr_spill_count: 0
    .wavefront_size: 64
  - .agpr_count:     0
    .args:
      - .offset:         0
        .size:           48
        .value_kind:     by_value
    .group_segment_fixed_size: 0
    .kernarg_segment_align: 8
    .kernarg_segment_size: 48
    .language:       OpenCL C
    .language_version:
      - 2
      - 0
    .max_flat_workgroup_size: 256
    .name:           _ZN7rocprim17ROCPRIM_400000_NS6detail17trampoline_kernelINS0_14default_configENS1_21merge_config_selectorIiNS0_10empty_typeEEEZNS1_10merge_implIS3_N6thrust23THRUST_200600_302600_NS6detail15normal_iteratorINS9_10device_ptrIKiEEEESF_NSB_INSC_IiEEEEPS5_SI_SI_NS9_4lessIiEEEE10hipError_tPvRmT0_T1_T2_T3_T4_T5_mmT6_P12ihipStream_tbEUlT_E_NS1_11comp_targetILNS1_3genE0ELNS1_11target_archE4294967295ELNS1_3gpuE0ELNS1_3repE0EEENS1_30default_config_static_selectorELNS0_4arch9wavefront6targetE1EEEvSP_
    .private_segment_fixed_size: 0
    .sgpr_count:     4
    .sgpr_spill_count: 0
    .symbol:         _ZN7rocprim17ROCPRIM_400000_NS6detail17trampoline_kernelINS0_14default_configENS1_21merge_config_selectorIiNS0_10empty_typeEEEZNS1_10merge_implIS3_N6thrust23THRUST_200600_302600_NS6detail15normal_iteratorINS9_10device_ptrIKiEEEESF_NSB_INSC_IiEEEEPS5_SI_SI_NS9_4lessIiEEEE10hipError_tPvRmT0_T1_T2_T3_T4_T5_mmT6_P12ihipStream_tbEUlT_E_NS1_11comp_targetILNS1_3genE0ELNS1_11target_archE4294967295ELNS1_3gpuE0ELNS1_3repE0EEENS1_30default_config_static_selectorELNS0_4arch9wavefront6targetE1EEEvSP_.kd
    .uniform_work_group_size: 1
    .uses_dynamic_stack: false
    .vgpr_count:     0
    .vgpr_spill_count: 0
    .wavefront_size: 64
  - .agpr_count:     0
    .args:
      - .offset:         0
        .size:           48
        .value_kind:     by_value
    .group_segment_fixed_size: 0
    .kernarg_segment_align: 8
    .kernarg_segment_size: 48
    .language:       OpenCL C
    .language_version:
      - 2
      - 0
    .max_flat_workgroup_size: 256
    .name:           _ZN7rocprim17ROCPRIM_400000_NS6detail17trampoline_kernelINS0_14default_configENS1_21merge_config_selectorIiNS0_10empty_typeEEEZNS1_10merge_implIS3_N6thrust23THRUST_200600_302600_NS6detail15normal_iteratorINS9_10device_ptrIKiEEEESF_NSB_INSC_IiEEEEPS5_SI_SI_NS9_4lessIiEEEE10hipError_tPvRmT0_T1_T2_T3_T4_T5_mmT6_P12ihipStream_tbEUlT_E_NS1_11comp_targetILNS1_3genE5ELNS1_11target_archE942ELNS1_3gpuE9ELNS1_3repE0EEENS1_30default_config_static_selectorELNS0_4arch9wavefront6targetE1EEEvSP_
    .private_segment_fixed_size: 0
    .sgpr_count:     4
    .sgpr_spill_count: 0
    .symbol:         _ZN7rocprim17ROCPRIM_400000_NS6detail17trampoline_kernelINS0_14default_configENS1_21merge_config_selectorIiNS0_10empty_typeEEEZNS1_10merge_implIS3_N6thrust23THRUST_200600_302600_NS6detail15normal_iteratorINS9_10device_ptrIKiEEEESF_NSB_INSC_IiEEEEPS5_SI_SI_NS9_4lessIiEEEE10hipError_tPvRmT0_T1_T2_T3_T4_T5_mmT6_P12ihipStream_tbEUlT_E_NS1_11comp_targetILNS1_3genE5ELNS1_11target_archE942ELNS1_3gpuE9ELNS1_3repE0EEENS1_30default_config_static_selectorELNS0_4arch9wavefront6targetE1EEEvSP_.kd
    .uniform_work_group_size: 1
    .uses_dynamic_stack: false
    .vgpr_count:     0
    .vgpr_spill_count: 0
    .wavefront_size: 64
  - .agpr_count:     0
    .args:
      - .offset:         0
        .size:           48
        .value_kind:     by_value
      - .offset:         48
        .size:           4
        .value_kind:     hidden_block_count_x
      - .offset:         52
        .size:           4
        .value_kind:     hidden_block_count_y
      - .offset:         56
        .size:           4
        .value_kind:     hidden_block_count_z
      - .offset:         60
        .size:           2
        .value_kind:     hidden_group_size_x
      - .offset:         62
        .size:           2
        .value_kind:     hidden_group_size_y
      - .offset:         64
        .size:           2
        .value_kind:     hidden_group_size_z
      - .offset:         66
        .size:           2
        .value_kind:     hidden_remainder_x
      - .offset:         68
        .size:           2
        .value_kind:     hidden_remainder_y
      - .offset:         70
        .size:           2
        .value_kind:     hidden_remainder_z
      - .offset:         88
        .size:           8
        .value_kind:     hidden_global_offset_x
      - .offset:         96
        .size:           8
        .value_kind:     hidden_global_offset_y
      - .offset:         104
        .size:           8
        .value_kind:     hidden_global_offset_z
      - .offset:         112
        .size:           2
        .value_kind:     hidden_grid_dims
    .group_segment_fixed_size: 0
    .kernarg_segment_align: 8
    .kernarg_segment_size: 304
    .language:       OpenCL C
    .language_version:
      - 2
      - 0
    .max_flat_workgroup_size: 256
    .name:           _ZN7rocprim17ROCPRIM_400000_NS6detail17trampoline_kernelINS0_14default_configENS1_21merge_config_selectorIiNS0_10empty_typeEEEZNS1_10merge_implIS3_N6thrust23THRUST_200600_302600_NS6detail15normal_iteratorINS9_10device_ptrIKiEEEESF_NSB_INSC_IiEEEEPS5_SI_SI_NS9_4lessIiEEEE10hipError_tPvRmT0_T1_T2_T3_T4_T5_mmT6_P12ihipStream_tbEUlT_E_NS1_11comp_targetILNS1_3genE4ELNS1_11target_archE910ELNS1_3gpuE8ELNS1_3repE0EEENS1_30default_config_static_selectorELNS0_4arch9wavefront6targetE1EEEvSP_
    .private_segment_fixed_size: 0
    .sgpr_count:     18
    .sgpr_spill_count: 0
    .symbol:         _ZN7rocprim17ROCPRIM_400000_NS6detail17trampoline_kernelINS0_14default_configENS1_21merge_config_selectorIiNS0_10empty_typeEEEZNS1_10merge_implIS3_N6thrust23THRUST_200600_302600_NS6detail15normal_iteratorINS9_10device_ptrIKiEEEESF_NSB_INSC_IiEEEEPS5_SI_SI_NS9_4lessIiEEEE10hipError_tPvRmT0_T1_T2_T3_T4_T5_mmT6_P12ihipStream_tbEUlT_E_NS1_11comp_targetILNS1_3genE4ELNS1_11target_archE910ELNS1_3gpuE8ELNS1_3repE0EEENS1_30default_config_static_selectorELNS0_4arch9wavefront6targetE1EEEvSP_.kd
    .uniform_work_group_size: 1
    .uses_dynamic_stack: false
    .vgpr_count:     14
    .vgpr_spill_count: 0
    .wavefront_size: 64
  - .agpr_count:     0
    .args:
      - .offset:         0
        .size:           48
        .value_kind:     by_value
    .group_segment_fixed_size: 0
    .kernarg_segment_align: 8
    .kernarg_segment_size: 48
    .language:       OpenCL C
    .language_version:
      - 2
      - 0
    .max_flat_workgroup_size: 256
    .name:           _ZN7rocprim17ROCPRIM_400000_NS6detail17trampoline_kernelINS0_14default_configENS1_21merge_config_selectorIiNS0_10empty_typeEEEZNS1_10merge_implIS3_N6thrust23THRUST_200600_302600_NS6detail15normal_iteratorINS9_10device_ptrIKiEEEESF_NSB_INSC_IiEEEEPS5_SI_SI_NS9_4lessIiEEEE10hipError_tPvRmT0_T1_T2_T3_T4_T5_mmT6_P12ihipStream_tbEUlT_E_NS1_11comp_targetILNS1_3genE3ELNS1_11target_archE908ELNS1_3gpuE7ELNS1_3repE0EEENS1_30default_config_static_selectorELNS0_4arch9wavefront6targetE1EEEvSP_
    .private_segment_fixed_size: 0
    .sgpr_count:     4
    .sgpr_spill_count: 0
    .symbol:         _ZN7rocprim17ROCPRIM_400000_NS6detail17trampoline_kernelINS0_14default_configENS1_21merge_config_selectorIiNS0_10empty_typeEEEZNS1_10merge_implIS3_N6thrust23THRUST_200600_302600_NS6detail15normal_iteratorINS9_10device_ptrIKiEEEESF_NSB_INSC_IiEEEEPS5_SI_SI_NS9_4lessIiEEEE10hipError_tPvRmT0_T1_T2_T3_T4_T5_mmT6_P12ihipStream_tbEUlT_E_NS1_11comp_targetILNS1_3genE3ELNS1_11target_archE908ELNS1_3gpuE7ELNS1_3repE0EEENS1_30default_config_static_selectorELNS0_4arch9wavefront6targetE1EEEvSP_.kd
    .uniform_work_group_size: 1
    .uses_dynamic_stack: false
    .vgpr_count:     0
    .vgpr_spill_count: 0
    .wavefront_size: 64
  - .agpr_count:     0
    .args:
      - .offset:         0
        .size:           48
        .value_kind:     by_value
    .group_segment_fixed_size: 0
    .kernarg_segment_align: 8
    .kernarg_segment_size: 48
    .language:       OpenCL C
    .language_version:
      - 2
      - 0
    .max_flat_workgroup_size: 256
    .name:           _ZN7rocprim17ROCPRIM_400000_NS6detail17trampoline_kernelINS0_14default_configENS1_21merge_config_selectorIiNS0_10empty_typeEEEZNS1_10merge_implIS3_N6thrust23THRUST_200600_302600_NS6detail15normal_iteratorINS9_10device_ptrIKiEEEESF_NSB_INSC_IiEEEEPS5_SI_SI_NS9_4lessIiEEEE10hipError_tPvRmT0_T1_T2_T3_T4_T5_mmT6_P12ihipStream_tbEUlT_E_NS1_11comp_targetILNS1_3genE2ELNS1_11target_archE906ELNS1_3gpuE6ELNS1_3repE0EEENS1_30default_config_static_selectorELNS0_4arch9wavefront6targetE1EEEvSP_
    .private_segment_fixed_size: 0
    .sgpr_count:     4
    .sgpr_spill_count: 0
    .symbol:         _ZN7rocprim17ROCPRIM_400000_NS6detail17trampoline_kernelINS0_14default_configENS1_21merge_config_selectorIiNS0_10empty_typeEEEZNS1_10merge_implIS3_N6thrust23THRUST_200600_302600_NS6detail15normal_iteratorINS9_10device_ptrIKiEEEESF_NSB_INSC_IiEEEEPS5_SI_SI_NS9_4lessIiEEEE10hipError_tPvRmT0_T1_T2_T3_T4_T5_mmT6_P12ihipStream_tbEUlT_E_NS1_11comp_targetILNS1_3genE2ELNS1_11target_archE906ELNS1_3gpuE6ELNS1_3repE0EEENS1_30default_config_static_selectorELNS0_4arch9wavefront6targetE1EEEvSP_.kd
    .uniform_work_group_size: 1
    .uses_dynamic_stack: false
    .vgpr_count:     0
    .vgpr_spill_count: 0
    .wavefront_size: 64
  - .agpr_count:     0
    .args:
      - .offset:         0
        .size:           48
        .value_kind:     by_value
    .group_segment_fixed_size: 0
    .kernarg_segment_align: 8
    .kernarg_segment_size: 48
    .language:       OpenCL C
    .language_version:
      - 2
      - 0
    .max_flat_workgroup_size: 1024
    .name:           _ZN7rocprim17ROCPRIM_400000_NS6detail17trampoline_kernelINS0_14default_configENS1_21merge_config_selectorIiNS0_10empty_typeEEEZNS1_10merge_implIS3_N6thrust23THRUST_200600_302600_NS6detail15normal_iteratorINS9_10device_ptrIKiEEEESF_NSB_INSC_IiEEEEPS5_SI_SI_NS9_4lessIiEEEE10hipError_tPvRmT0_T1_T2_T3_T4_T5_mmT6_P12ihipStream_tbEUlT_E_NS1_11comp_targetILNS1_3genE10ELNS1_11target_archE1201ELNS1_3gpuE5ELNS1_3repE0EEENS1_30default_config_static_selectorELNS0_4arch9wavefront6targetE1EEEvSP_
    .private_segment_fixed_size: 0
    .sgpr_count:     4
    .sgpr_spill_count: 0
    .symbol:         _ZN7rocprim17ROCPRIM_400000_NS6detail17trampoline_kernelINS0_14default_configENS1_21merge_config_selectorIiNS0_10empty_typeEEEZNS1_10merge_implIS3_N6thrust23THRUST_200600_302600_NS6detail15normal_iteratorINS9_10device_ptrIKiEEEESF_NSB_INSC_IiEEEEPS5_SI_SI_NS9_4lessIiEEEE10hipError_tPvRmT0_T1_T2_T3_T4_T5_mmT6_P12ihipStream_tbEUlT_E_NS1_11comp_targetILNS1_3genE10ELNS1_11target_archE1201ELNS1_3gpuE5ELNS1_3repE0EEENS1_30default_config_static_selectorELNS0_4arch9wavefront6targetE1EEEvSP_.kd
    .uniform_work_group_size: 1
    .uses_dynamic_stack: false
    .vgpr_count:     0
    .vgpr_spill_count: 0
    .wavefront_size: 64
  - .agpr_count:     0
    .args:
      - .offset:         0
        .size:           48
        .value_kind:     by_value
    .group_segment_fixed_size: 0
    .kernarg_segment_align: 8
    .kernarg_segment_size: 48
    .language:       OpenCL C
    .language_version:
      - 2
      - 0
    .max_flat_workgroup_size: 1024
    .name:           _ZN7rocprim17ROCPRIM_400000_NS6detail17trampoline_kernelINS0_14default_configENS1_21merge_config_selectorIiNS0_10empty_typeEEEZNS1_10merge_implIS3_N6thrust23THRUST_200600_302600_NS6detail15normal_iteratorINS9_10device_ptrIKiEEEESF_NSB_INSC_IiEEEEPS5_SI_SI_NS9_4lessIiEEEE10hipError_tPvRmT0_T1_T2_T3_T4_T5_mmT6_P12ihipStream_tbEUlT_E_NS1_11comp_targetILNS1_3genE10ELNS1_11target_archE1200ELNS1_3gpuE4ELNS1_3repE0EEENS1_30default_config_static_selectorELNS0_4arch9wavefront6targetE1EEEvSP_
    .private_segment_fixed_size: 0
    .sgpr_count:     4
    .sgpr_spill_count: 0
    .symbol:         _ZN7rocprim17ROCPRIM_400000_NS6detail17trampoline_kernelINS0_14default_configENS1_21merge_config_selectorIiNS0_10empty_typeEEEZNS1_10merge_implIS3_N6thrust23THRUST_200600_302600_NS6detail15normal_iteratorINS9_10device_ptrIKiEEEESF_NSB_INSC_IiEEEEPS5_SI_SI_NS9_4lessIiEEEE10hipError_tPvRmT0_T1_T2_T3_T4_T5_mmT6_P12ihipStream_tbEUlT_E_NS1_11comp_targetILNS1_3genE10ELNS1_11target_archE1200ELNS1_3gpuE4ELNS1_3repE0EEENS1_30default_config_static_selectorELNS0_4arch9wavefront6targetE1EEEvSP_.kd
    .uniform_work_group_size: 1
    .uses_dynamic_stack: false
    .vgpr_count:     0
    .vgpr_spill_count: 0
    .wavefront_size: 64
  - .agpr_count:     0
    .args:
      - .offset:         0
        .size:           48
        .value_kind:     by_value
    .group_segment_fixed_size: 0
    .kernarg_segment_align: 8
    .kernarg_segment_size: 48
    .language:       OpenCL C
    .language_version:
      - 2
      - 0
    .max_flat_workgroup_size: 1024
    .name:           _ZN7rocprim17ROCPRIM_400000_NS6detail17trampoline_kernelINS0_14default_configENS1_21merge_config_selectorIiNS0_10empty_typeEEEZNS1_10merge_implIS3_N6thrust23THRUST_200600_302600_NS6detail15normal_iteratorINS9_10device_ptrIKiEEEESF_NSB_INSC_IiEEEEPS5_SI_SI_NS9_4lessIiEEEE10hipError_tPvRmT0_T1_T2_T3_T4_T5_mmT6_P12ihipStream_tbEUlT_E_NS1_11comp_targetILNS1_3genE9ELNS1_11target_archE1100ELNS1_3gpuE3ELNS1_3repE0EEENS1_30default_config_static_selectorELNS0_4arch9wavefront6targetE1EEEvSP_
    .private_segment_fixed_size: 0
    .sgpr_count:     4
    .sgpr_spill_count: 0
    .symbol:         _ZN7rocprim17ROCPRIM_400000_NS6detail17trampoline_kernelINS0_14default_configENS1_21merge_config_selectorIiNS0_10empty_typeEEEZNS1_10merge_implIS3_N6thrust23THRUST_200600_302600_NS6detail15normal_iteratorINS9_10device_ptrIKiEEEESF_NSB_INSC_IiEEEEPS5_SI_SI_NS9_4lessIiEEEE10hipError_tPvRmT0_T1_T2_T3_T4_T5_mmT6_P12ihipStream_tbEUlT_E_NS1_11comp_targetILNS1_3genE9ELNS1_11target_archE1100ELNS1_3gpuE3ELNS1_3repE0EEENS1_30default_config_static_selectorELNS0_4arch9wavefront6targetE1EEEvSP_.kd
    .uniform_work_group_size: 1
    .uses_dynamic_stack: false
    .vgpr_count:     0
    .vgpr_spill_count: 0
    .wavefront_size: 64
  - .agpr_count:     0
    .args:
      - .offset:         0
        .size:           48
        .value_kind:     by_value
    .group_segment_fixed_size: 0
    .kernarg_segment_align: 8
    .kernarg_segment_size: 48
    .language:       OpenCL C
    .language_version:
      - 2
      - 0
    .max_flat_workgroup_size: 1024
    .name:           _ZN7rocprim17ROCPRIM_400000_NS6detail17trampoline_kernelINS0_14default_configENS1_21merge_config_selectorIiNS0_10empty_typeEEEZNS1_10merge_implIS3_N6thrust23THRUST_200600_302600_NS6detail15normal_iteratorINS9_10device_ptrIKiEEEESF_NSB_INSC_IiEEEEPS5_SI_SI_NS9_4lessIiEEEE10hipError_tPvRmT0_T1_T2_T3_T4_T5_mmT6_P12ihipStream_tbEUlT_E_NS1_11comp_targetILNS1_3genE8ELNS1_11target_archE1030ELNS1_3gpuE2ELNS1_3repE0EEENS1_30default_config_static_selectorELNS0_4arch9wavefront6targetE1EEEvSP_
    .private_segment_fixed_size: 0
    .sgpr_count:     4
    .sgpr_spill_count: 0
    .symbol:         _ZN7rocprim17ROCPRIM_400000_NS6detail17trampoline_kernelINS0_14default_configENS1_21merge_config_selectorIiNS0_10empty_typeEEEZNS1_10merge_implIS3_N6thrust23THRUST_200600_302600_NS6detail15normal_iteratorINS9_10device_ptrIKiEEEESF_NSB_INSC_IiEEEEPS5_SI_SI_NS9_4lessIiEEEE10hipError_tPvRmT0_T1_T2_T3_T4_T5_mmT6_P12ihipStream_tbEUlT_E_NS1_11comp_targetILNS1_3genE8ELNS1_11target_archE1030ELNS1_3gpuE2ELNS1_3repE0EEENS1_30default_config_static_selectorELNS0_4arch9wavefront6targetE1EEEvSP_.kd
    .uniform_work_group_size: 1
    .uses_dynamic_stack: false
    .vgpr_count:     0
    .vgpr_spill_count: 0
    .wavefront_size: 64
  - .agpr_count:     0
    .args:
      - .offset:         0
        .size:           88
        .value_kind:     by_value
    .group_segment_fixed_size: 0
    .kernarg_segment_align: 8
    .kernarg_segment_size: 88
    .language:       OpenCL C
    .language_version:
      - 2
      - 0
    .max_flat_workgroup_size: 256
    .name:           _ZN7rocprim17ROCPRIM_400000_NS6detail17trampoline_kernelINS0_14default_configENS1_21merge_config_selectorIiNS0_10empty_typeEEEZNS1_10merge_implIS3_N6thrust23THRUST_200600_302600_NS6detail15normal_iteratorINS9_10device_ptrIKiEEEESF_NSB_INSC_IiEEEEPS5_SI_SI_NS9_4lessIiEEEE10hipError_tPvRmT0_T1_T2_T3_T4_T5_mmT6_P12ihipStream_tbEUlT_E0_NS1_11comp_targetILNS1_3genE0ELNS1_11target_archE4294967295ELNS1_3gpuE0ELNS1_3repE0EEENS1_30default_config_static_selectorELNS0_4arch9wavefront6targetE1EEEvSP_
    .private_segment_fixed_size: 0
    .sgpr_count:     4
    .sgpr_spill_count: 0
    .symbol:         _ZN7rocprim17ROCPRIM_400000_NS6detail17trampoline_kernelINS0_14default_configENS1_21merge_config_selectorIiNS0_10empty_typeEEEZNS1_10merge_implIS3_N6thrust23THRUST_200600_302600_NS6detail15normal_iteratorINS9_10device_ptrIKiEEEESF_NSB_INSC_IiEEEEPS5_SI_SI_NS9_4lessIiEEEE10hipError_tPvRmT0_T1_T2_T3_T4_T5_mmT6_P12ihipStream_tbEUlT_E0_NS1_11comp_targetILNS1_3genE0ELNS1_11target_archE4294967295ELNS1_3gpuE0ELNS1_3repE0EEENS1_30default_config_static_selectorELNS0_4arch9wavefront6targetE1EEEvSP_.kd
    .uniform_work_group_size: 1
    .uses_dynamic_stack: false
    .vgpr_count:     0
    .vgpr_spill_count: 0
    .wavefront_size: 64
  - .agpr_count:     0
    .args:
      - .offset:         0
        .size:           88
        .value_kind:     by_value
    .group_segment_fixed_size: 0
    .kernarg_segment_align: 8
    .kernarg_segment_size: 88
    .language:       OpenCL C
    .language_version:
      - 2
      - 0
    .max_flat_workgroup_size: 256
    .name:           _ZN7rocprim17ROCPRIM_400000_NS6detail17trampoline_kernelINS0_14default_configENS1_21merge_config_selectorIiNS0_10empty_typeEEEZNS1_10merge_implIS3_N6thrust23THRUST_200600_302600_NS6detail15normal_iteratorINS9_10device_ptrIKiEEEESF_NSB_INSC_IiEEEEPS5_SI_SI_NS9_4lessIiEEEE10hipError_tPvRmT0_T1_T2_T3_T4_T5_mmT6_P12ihipStream_tbEUlT_E0_NS1_11comp_targetILNS1_3genE5ELNS1_11target_archE942ELNS1_3gpuE9ELNS1_3repE0EEENS1_30default_config_static_selectorELNS0_4arch9wavefront6targetE1EEEvSP_
    .private_segment_fixed_size: 0
    .sgpr_count:     4
    .sgpr_spill_count: 0
    .symbol:         _ZN7rocprim17ROCPRIM_400000_NS6detail17trampoline_kernelINS0_14default_configENS1_21merge_config_selectorIiNS0_10empty_typeEEEZNS1_10merge_implIS3_N6thrust23THRUST_200600_302600_NS6detail15normal_iteratorINS9_10device_ptrIKiEEEESF_NSB_INSC_IiEEEEPS5_SI_SI_NS9_4lessIiEEEE10hipError_tPvRmT0_T1_T2_T3_T4_T5_mmT6_P12ihipStream_tbEUlT_E0_NS1_11comp_targetILNS1_3genE5ELNS1_11target_archE942ELNS1_3gpuE9ELNS1_3repE0EEENS1_30default_config_static_selectorELNS0_4arch9wavefront6targetE1EEEvSP_.kd
    .uniform_work_group_size: 1
    .uses_dynamic_stack: false
    .vgpr_count:     0
    .vgpr_spill_count: 0
    .wavefront_size: 64
  - .agpr_count:     0
    .args:
      - .offset:         0
        .size:           88
        .value_kind:     by_value
    .group_segment_fixed_size: 10256
    .kernarg_segment_align: 8
    .kernarg_segment_size: 88
    .language:       OpenCL C
    .language_version:
      - 2
      - 0
    .max_flat_workgroup_size: 256
    .name:           _ZN7rocprim17ROCPRIM_400000_NS6detail17trampoline_kernelINS0_14default_configENS1_21merge_config_selectorIiNS0_10empty_typeEEEZNS1_10merge_implIS3_N6thrust23THRUST_200600_302600_NS6detail15normal_iteratorINS9_10device_ptrIKiEEEESF_NSB_INSC_IiEEEEPS5_SI_SI_NS9_4lessIiEEEE10hipError_tPvRmT0_T1_T2_T3_T4_T5_mmT6_P12ihipStream_tbEUlT_E0_NS1_11comp_targetILNS1_3genE4ELNS1_11target_archE910ELNS1_3gpuE8ELNS1_3repE0EEENS1_30default_config_static_selectorELNS0_4arch9wavefront6targetE1EEEvSP_
    .private_segment_fixed_size: 0
    .sgpr_count:     28
    .sgpr_spill_count: 0
    .symbol:         _ZN7rocprim17ROCPRIM_400000_NS6detail17trampoline_kernelINS0_14default_configENS1_21merge_config_selectorIiNS0_10empty_typeEEEZNS1_10merge_implIS3_N6thrust23THRUST_200600_302600_NS6detail15normal_iteratorINS9_10device_ptrIKiEEEESF_NSB_INSC_IiEEEEPS5_SI_SI_NS9_4lessIiEEEE10hipError_tPvRmT0_T1_T2_T3_T4_T5_mmT6_P12ihipStream_tbEUlT_E0_NS1_11comp_targetILNS1_3genE4ELNS1_11target_archE910ELNS1_3gpuE8ELNS1_3repE0EEENS1_30default_config_static_selectorELNS0_4arch9wavefront6targetE1EEEvSP_.kd
    .uniform_work_group_size: 1
    .uses_dynamic_stack: false
    .vgpr_count:     36
    .vgpr_spill_count: 0
    .wavefront_size: 64
  - .agpr_count:     0
    .args:
      - .offset:         0
        .size:           88
        .value_kind:     by_value
    .group_segment_fixed_size: 0
    .kernarg_segment_align: 8
    .kernarg_segment_size: 88
    .language:       OpenCL C
    .language_version:
      - 2
      - 0
    .max_flat_workgroup_size: 256
    .name:           _ZN7rocprim17ROCPRIM_400000_NS6detail17trampoline_kernelINS0_14default_configENS1_21merge_config_selectorIiNS0_10empty_typeEEEZNS1_10merge_implIS3_N6thrust23THRUST_200600_302600_NS6detail15normal_iteratorINS9_10device_ptrIKiEEEESF_NSB_INSC_IiEEEEPS5_SI_SI_NS9_4lessIiEEEE10hipError_tPvRmT0_T1_T2_T3_T4_T5_mmT6_P12ihipStream_tbEUlT_E0_NS1_11comp_targetILNS1_3genE3ELNS1_11target_archE908ELNS1_3gpuE7ELNS1_3repE0EEENS1_30default_config_static_selectorELNS0_4arch9wavefront6targetE1EEEvSP_
    .private_segment_fixed_size: 0
    .sgpr_count:     4
    .sgpr_spill_count: 0
    .symbol:         _ZN7rocprim17ROCPRIM_400000_NS6detail17trampoline_kernelINS0_14default_configENS1_21merge_config_selectorIiNS0_10empty_typeEEEZNS1_10merge_implIS3_N6thrust23THRUST_200600_302600_NS6detail15normal_iteratorINS9_10device_ptrIKiEEEESF_NSB_INSC_IiEEEEPS5_SI_SI_NS9_4lessIiEEEE10hipError_tPvRmT0_T1_T2_T3_T4_T5_mmT6_P12ihipStream_tbEUlT_E0_NS1_11comp_targetILNS1_3genE3ELNS1_11target_archE908ELNS1_3gpuE7ELNS1_3repE0EEENS1_30default_config_static_selectorELNS0_4arch9wavefront6targetE1EEEvSP_.kd
    .uniform_work_group_size: 1
    .uses_dynamic_stack: false
    .vgpr_count:     0
    .vgpr_spill_count: 0
    .wavefront_size: 64
  - .agpr_count:     0
    .args:
      - .offset:         0
        .size:           88
        .value_kind:     by_value
    .group_segment_fixed_size: 0
    .kernarg_segment_align: 8
    .kernarg_segment_size: 88
    .language:       OpenCL C
    .language_version:
      - 2
      - 0
    .max_flat_workgroup_size: 256
    .name:           _ZN7rocprim17ROCPRIM_400000_NS6detail17trampoline_kernelINS0_14default_configENS1_21merge_config_selectorIiNS0_10empty_typeEEEZNS1_10merge_implIS3_N6thrust23THRUST_200600_302600_NS6detail15normal_iteratorINS9_10device_ptrIKiEEEESF_NSB_INSC_IiEEEEPS5_SI_SI_NS9_4lessIiEEEE10hipError_tPvRmT0_T1_T2_T3_T4_T5_mmT6_P12ihipStream_tbEUlT_E0_NS1_11comp_targetILNS1_3genE2ELNS1_11target_archE906ELNS1_3gpuE6ELNS1_3repE0EEENS1_30default_config_static_selectorELNS0_4arch9wavefront6targetE1EEEvSP_
    .private_segment_fixed_size: 0
    .sgpr_count:     4
    .sgpr_spill_count: 0
    .symbol:         _ZN7rocprim17ROCPRIM_400000_NS6detail17trampoline_kernelINS0_14default_configENS1_21merge_config_selectorIiNS0_10empty_typeEEEZNS1_10merge_implIS3_N6thrust23THRUST_200600_302600_NS6detail15normal_iteratorINS9_10device_ptrIKiEEEESF_NSB_INSC_IiEEEEPS5_SI_SI_NS9_4lessIiEEEE10hipError_tPvRmT0_T1_T2_T3_T4_T5_mmT6_P12ihipStream_tbEUlT_E0_NS1_11comp_targetILNS1_3genE2ELNS1_11target_archE906ELNS1_3gpuE6ELNS1_3repE0EEENS1_30default_config_static_selectorELNS0_4arch9wavefront6targetE1EEEvSP_.kd
    .uniform_work_group_size: 1
    .uses_dynamic_stack: false
    .vgpr_count:     0
    .vgpr_spill_count: 0
    .wavefront_size: 64
  - .agpr_count:     0
    .args:
      - .offset:         0
        .size:           88
        .value_kind:     by_value
    .group_segment_fixed_size: 0
    .kernarg_segment_align: 8
    .kernarg_segment_size: 88
    .language:       OpenCL C
    .language_version:
      - 2
      - 0
    .max_flat_workgroup_size: 1024
    .name:           _ZN7rocprim17ROCPRIM_400000_NS6detail17trampoline_kernelINS0_14default_configENS1_21merge_config_selectorIiNS0_10empty_typeEEEZNS1_10merge_implIS3_N6thrust23THRUST_200600_302600_NS6detail15normal_iteratorINS9_10device_ptrIKiEEEESF_NSB_INSC_IiEEEEPS5_SI_SI_NS9_4lessIiEEEE10hipError_tPvRmT0_T1_T2_T3_T4_T5_mmT6_P12ihipStream_tbEUlT_E0_NS1_11comp_targetILNS1_3genE10ELNS1_11target_archE1201ELNS1_3gpuE5ELNS1_3repE0EEENS1_30default_config_static_selectorELNS0_4arch9wavefront6targetE1EEEvSP_
    .private_segment_fixed_size: 0
    .sgpr_count:     4
    .sgpr_spill_count: 0
    .symbol:         _ZN7rocprim17ROCPRIM_400000_NS6detail17trampoline_kernelINS0_14default_configENS1_21merge_config_selectorIiNS0_10empty_typeEEEZNS1_10merge_implIS3_N6thrust23THRUST_200600_302600_NS6detail15normal_iteratorINS9_10device_ptrIKiEEEESF_NSB_INSC_IiEEEEPS5_SI_SI_NS9_4lessIiEEEE10hipError_tPvRmT0_T1_T2_T3_T4_T5_mmT6_P12ihipStream_tbEUlT_E0_NS1_11comp_targetILNS1_3genE10ELNS1_11target_archE1201ELNS1_3gpuE5ELNS1_3repE0EEENS1_30default_config_static_selectorELNS0_4arch9wavefront6targetE1EEEvSP_.kd
    .uniform_work_group_size: 1
    .uses_dynamic_stack: false
    .vgpr_count:     0
    .vgpr_spill_count: 0
    .wavefront_size: 64
  - .agpr_count:     0
    .args:
      - .offset:         0
        .size:           88
        .value_kind:     by_value
    .group_segment_fixed_size: 0
    .kernarg_segment_align: 8
    .kernarg_segment_size: 88
    .language:       OpenCL C
    .language_version:
      - 2
      - 0
    .max_flat_workgroup_size: 1024
    .name:           _ZN7rocprim17ROCPRIM_400000_NS6detail17trampoline_kernelINS0_14default_configENS1_21merge_config_selectorIiNS0_10empty_typeEEEZNS1_10merge_implIS3_N6thrust23THRUST_200600_302600_NS6detail15normal_iteratorINS9_10device_ptrIKiEEEESF_NSB_INSC_IiEEEEPS5_SI_SI_NS9_4lessIiEEEE10hipError_tPvRmT0_T1_T2_T3_T4_T5_mmT6_P12ihipStream_tbEUlT_E0_NS1_11comp_targetILNS1_3genE10ELNS1_11target_archE1200ELNS1_3gpuE4ELNS1_3repE0EEENS1_30default_config_static_selectorELNS0_4arch9wavefront6targetE1EEEvSP_
    .private_segment_fixed_size: 0
    .sgpr_count:     4
    .sgpr_spill_count: 0
    .symbol:         _ZN7rocprim17ROCPRIM_400000_NS6detail17trampoline_kernelINS0_14default_configENS1_21merge_config_selectorIiNS0_10empty_typeEEEZNS1_10merge_implIS3_N6thrust23THRUST_200600_302600_NS6detail15normal_iteratorINS9_10device_ptrIKiEEEESF_NSB_INSC_IiEEEEPS5_SI_SI_NS9_4lessIiEEEE10hipError_tPvRmT0_T1_T2_T3_T4_T5_mmT6_P12ihipStream_tbEUlT_E0_NS1_11comp_targetILNS1_3genE10ELNS1_11target_archE1200ELNS1_3gpuE4ELNS1_3repE0EEENS1_30default_config_static_selectorELNS0_4arch9wavefront6targetE1EEEvSP_.kd
    .uniform_work_group_size: 1
    .uses_dynamic_stack: false
    .vgpr_count:     0
    .vgpr_spill_count: 0
    .wavefront_size: 64
  - .agpr_count:     0
    .args:
      - .offset:         0
        .size:           88
        .value_kind:     by_value
    .group_segment_fixed_size: 0
    .kernarg_segment_align: 8
    .kernarg_segment_size: 88
    .language:       OpenCL C
    .language_version:
      - 2
      - 0
    .max_flat_workgroup_size: 1024
    .name:           _ZN7rocprim17ROCPRIM_400000_NS6detail17trampoline_kernelINS0_14default_configENS1_21merge_config_selectorIiNS0_10empty_typeEEEZNS1_10merge_implIS3_N6thrust23THRUST_200600_302600_NS6detail15normal_iteratorINS9_10device_ptrIKiEEEESF_NSB_INSC_IiEEEEPS5_SI_SI_NS9_4lessIiEEEE10hipError_tPvRmT0_T1_T2_T3_T4_T5_mmT6_P12ihipStream_tbEUlT_E0_NS1_11comp_targetILNS1_3genE9ELNS1_11target_archE1100ELNS1_3gpuE3ELNS1_3repE0EEENS1_30default_config_static_selectorELNS0_4arch9wavefront6targetE1EEEvSP_
    .private_segment_fixed_size: 0
    .sgpr_count:     4
    .sgpr_spill_count: 0
    .symbol:         _ZN7rocprim17ROCPRIM_400000_NS6detail17trampoline_kernelINS0_14default_configENS1_21merge_config_selectorIiNS0_10empty_typeEEEZNS1_10merge_implIS3_N6thrust23THRUST_200600_302600_NS6detail15normal_iteratorINS9_10device_ptrIKiEEEESF_NSB_INSC_IiEEEEPS5_SI_SI_NS9_4lessIiEEEE10hipError_tPvRmT0_T1_T2_T3_T4_T5_mmT6_P12ihipStream_tbEUlT_E0_NS1_11comp_targetILNS1_3genE9ELNS1_11target_archE1100ELNS1_3gpuE3ELNS1_3repE0EEENS1_30default_config_static_selectorELNS0_4arch9wavefront6targetE1EEEvSP_.kd
    .uniform_work_group_size: 1
    .uses_dynamic_stack: false
    .vgpr_count:     0
    .vgpr_spill_count: 0
    .wavefront_size: 64
  - .agpr_count:     0
    .args:
      - .offset:         0
        .size:           88
        .value_kind:     by_value
    .group_segment_fixed_size: 0
    .kernarg_segment_align: 8
    .kernarg_segment_size: 88
    .language:       OpenCL C
    .language_version:
      - 2
      - 0
    .max_flat_workgroup_size: 1024
    .name:           _ZN7rocprim17ROCPRIM_400000_NS6detail17trampoline_kernelINS0_14default_configENS1_21merge_config_selectorIiNS0_10empty_typeEEEZNS1_10merge_implIS3_N6thrust23THRUST_200600_302600_NS6detail15normal_iteratorINS9_10device_ptrIKiEEEESF_NSB_INSC_IiEEEEPS5_SI_SI_NS9_4lessIiEEEE10hipError_tPvRmT0_T1_T2_T3_T4_T5_mmT6_P12ihipStream_tbEUlT_E0_NS1_11comp_targetILNS1_3genE8ELNS1_11target_archE1030ELNS1_3gpuE2ELNS1_3repE0EEENS1_30default_config_static_selectorELNS0_4arch9wavefront6targetE1EEEvSP_
    .private_segment_fixed_size: 0
    .sgpr_count:     4
    .sgpr_spill_count: 0
    .symbol:         _ZN7rocprim17ROCPRIM_400000_NS6detail17trampoline_kernelINS0_14default_configENS1_21merge_config_selectorIiNS0_10empty_typeEEEZNS1_10merge_implIS3_N6thrust23THRUST_200600_302600_NS6detail15normal_iteratorINS9_10device_ptrIKiEEEESF_NSB_INSC_IiEEEEPS5_SI_SI_NS9_4lessIiEEEE10hipError_tPvRmT0_T1_T2_T3_T4_T5_mmT6_P12ihipStream_tbEUlT_E0_NS1_11comp_targetILNS1_3genE8ELNS1_11target_archE1030ELNS1_3gpuE2ELNS1_3repE0EEENS1_30default_config_static_selectorELNS0_4arch9wavefront6targetE1EEEvSP_.kd
    .uniform_work_group_size: 1
    .uses_dynamic_stack: false
    .vgpr_count:     0
    .vgpr_spill_count: 0
    .wavefront_size: 64
  - .agpr_count:     0
    .args:
      - .offset:         0
        .size:           104
        .value_kind:     by_value
    .group_segment_fixed_size: 0
    .kernarg_segment_align: 8
    .kernarg_segment_size: 104
    .language:       OpenCL C
    .language_version:
      - 2
      - 0
    .max_flat_workgroup_size: 128
    .name:           _ZN7rocprim17ROCPRIM_400000_NS6detail17trampoline_kernelINS0_14default_configENS1_22reduce_config_selectorIN6thrust23THRUST_200600_302600_NS5tupleIblNS6_9null_typeES8_S8_S8_S8_S8_S8_S8_EEEEZNS1_11reduce_implILb1ES3_NS6_12zip_iteratorINS7_INS6_11hip_rocprim26transform_input_iterator_tIbNSD_35transform_pair_of_input_iterators_tIbNS6_6detail15normal_iteratorINS6_10device_ptrIKiEEEESL_NS6_8equal_toIiEEEENSG_9not_fun_tINSD_8identityEEEEENSD_19counting_iterator_tIlEES8_S8_S8_S8_S8_S8_S8_S8_EEEEPS9_S9_NSD_9__find_if7functorIS9_EEEE10hipError_tPvRmT1_T2_T3_mT4_P12ihipStream_tbEUlT_E0_NS1_11comp_targetILNS1_3genE0ELNS1_11target_archE4294967295ELNS1_3gpuE0ELNS1_3repE0EEENS1_30default_config_static_selectorELNS0_4arch9wavefront6targetE1EEEvS14_
    .private_segment_fixed_size: 0
    .sgpr_count:     4
    .sgpr_spill_count: 0
    .symbol:         _ZN7rocprim17ROCPRIM_400000_NS6detail17trampoline_kernelINS0_14default_configENS1_22reduce_config_selectorIN6thrust23THRUST_200600_302600_NS5tupleIblNS6_9null_typeES8_S8_S8_S8_S8_S8_S8_EEEEZNS1_11reduce_implILb1ES3_NS6_12zip_iteratorINS7_INS6_11hip_rocprim26transform_input_iterator_tIbNSD_35transform_pair_of_input_iterators_tIbNS6_6detail15normal_iteratorINS6_10device_ptrIKiEEEESL_NS6_8equal_toIiEEEENSG_9not_fun_tINSD_8identityEEEEENSD_19counting_iterator_tIlEES8_S8_S8_S8_S8_S8_S8_S8_EEEEPS9_S9_NSD_9__find_if7functorIS9_EEEE10hipError_tPvRmT1_T2_T3_mT4_P12ihipStream_tbEUlT_E0_NS1_11comp_targetILNS1_3genE0ELNS1_11target_archE4294967295ELNS1_3gpuE0ELNS1_3repE0EEENS1_30default_config_static_selectorELNS0_4arch9wavefront6targetE1EEEvS14_.kd
    .uniform_work_group_size: 1
    .uses_dynamic_stack: false
    .vgpr_count:     0
    .vgpr_spill_count: 0
    .wavefront_size: 64
  - .agpr_count:     0
    .args:
      - .offset:         0
        .size:           104
        .value_kind:     by_value
    .group_segment_fixed_size: 0
    .kernarg_segment_align: 8
    .kernarg_segment_size: 104
    .language:       OpenCL C
    .language_version:
      - 2
      - 0
    .max_flat_workgroup_size: 256
    .name:           _ZN7rocprim17ROCPRIM_400000_NS6detail17trampoline_kernelINS0_14default_configENS1_22reduce_config_selectorIN6thrust23THRUST_200600_302600_NS5tupleIblNS6_9null_typeES8_S8_S8_S8_S8_S8_S8_EEEEZNS1_11reduce_implILb1ES3_NS6_12zip_iteratorINS7_INS6_11hip_rocprim26transform_input_iterator_tIbNSD_35transform_pair_of_input_iterators_tIbNS6_6detail15normal_iteratorINS6_10device_ptrIKiEEEESL_NS6_8equal_toIiEEEENSG_9not_fun_tINSD_8identityEEEEENSD_19counting_iterator_tIlEES8_S8_S8_S8_S8_S8_S8_S8_EEEEPS9_S9_NSD_9__find_if7functorIS9_EEEE10hipError_tPvRmT1_T2_T3_mT4_P12ihipStream_tbEUlT_E0_NS1_11comp_targetILNS1_3genE5ELNS1_11target_archE942ELNS1_3gpuE9ELNS1_3repE0EEENS1_30default_config_static_selectorELNS0_4arch9wavefront6targetE1EEEvS14_
    .private_segment_fixed_size: 0
    .sgpr_count:     4
    .sgpr_spill_count: 0
    .symbol:         _ZN7rocprim17ROCPRIM_400000_NS6detail17trampoline_kernelINS0_14default_configENS1_22reduce_config_selectorIN6thrust23THRUST_200600_302600_NS5tupleIblNS6_9null_typeES8_S8_S8_S8_S8_S8_S8_EEEEZNS1_11reduce_implILb1ES3_NS6_12zip_iteratorINS7_INS6_11hip_rocprim26transform_input_iterator_tIbNSD_35transform_pair_of_input_iterators_tIbNS6_6detail15normal_iteratorINS6_10device_ptrIKiEEEESL_NS6_8equal_toIiEEEENSG_9not_fun_tINSD_8identityEEEEENSD_19counting_iterator_tIlEES8_S8_S8_S8_S8_S8_S8_S8_EEEEPS9_S9_NSD_9__find_if7functorIS9_EEEE10hipError_tPvRmT1_T2_T3_mT4_P12ihipStream_tbEUlT_E0_NS1_11comp_targetILNS1_3genE5ELNS1_11target_archE942ELNS1_3gpuE9ELNS1_3repE0EEENS1_30default_config_static_selectorELNS0_4arch9wavefront6targetE1EEEvS14_.kd
    .uniform_work_group_size: 1
    .uses_dynamic_stack: false
    .vgpr_count:     0
    .vgpr_spill_count: 0
    .wavefront_size: 64
  - .agpr_count:     0
    .args:
      - .offset:         0
        .size:           104
        .value_kind:     by_value
    .group_segment_fixed_size: 128
    .kernarg_segment_align: 8
    .kernarg_segment_size: 104
    .language:       OpenCL C
    .language_version:
      - 2
      - 0
    .max_flat_workgroup_size: 256
    .name:           _ZN7rocprim17ROCPRIM_400000_NS6detail17trampoline_kernelINS0_14default_configENS1_22reduce_config_selectorIN6thrust23THRUST_200600_302600_NS5tupleIblNS6_9null_typeES8_S8_S8_S8_S8_S8_S8_EEEEZNS1_11reduce_implILb1ES3_NS6_12zip_iteratorINS7_INS6_11hip_rocprim26transform_input_iterator_tIbNSD_35transform_pair_of_input_iterators_tIbNS6_6detail15normal_iteratorINS6_10device_ptrIKiEEEESL_NS6_8equal_toIiEEEENSG_9not_fun_tINSD_8identityEEEEENSD_19counting_iterator_tIlEES8_S8_S8_S8_S8_S8_S8_S8_EEEEPS9_S9_NSD_9__find_if7functorIS9_EEEE10hipError_tPvRmT1_T2_T3_mT4_P12ihipStream_tbEUlT_E0_NS1_11comp_targetILNS1_3genE4ELNS1_11target_archE910ELNS1_3gpuE8ELNS1_3repE0EEENS1_30default_config_static_selectorELNS0_4arch9wavefront6targetE1EEEvS14_
    .private_segment_fixed_size: 0
    .sgpr_count:     32
    .sgpr_spill_count: 0
    .symbol:         _ZN7rocprim17ROCPRIM_400000_NS6detail17trampoline_kernelINS0_14default_configENS1_22reduce_config_selectorIN6thrust23THRUST_200600_302600_NS5tupleIblNS6_9null_typeES8_S8_S8_S8_S8_S8_S8_EEEEZNS1_11reduce_implILb1ES3_NS6_12zip_iteratorINS7_INS6_11hip_rocprim26transform_input_iterator_tIbNSD_35transform_pair_of_input_iterators_tIbNS6_6detail15normal_iteratorINS6_10device_ptrIKiEEEESL_NS6_8equal_toIiEEEENSG_9not_fun_tINSD_8identityEEEEENSD_19counting_iterator_tIlEES8_S8_S8_S8_S8_S8_S8_S8_EEEEPS9_S9_NSD_9__find_if7functorIS9_EEEE10hipError_tPvRmT1_T2_T3_mT4_P12ihipStream_tbEUlT_E0_NS1_11comp_targetILNS1_3genE4ELNS1_11target_archE910ELNS1_3gpuE8ELNS1_3repE0EEENS1_30default_config_static_selectorELNS0_4arch9wavefront6targetE1EEEvS14_.kd
    .uniform_work_group_size: 1
    .uses_dynamic_stack: false
    .vgpr_count:     12
    .vgpr_spill_count: 0
    .wavefront_size: 64
  - .agpr_count:     0
    .args:
      - .offset:         0
        .size:           104
        .value_kind:     by_value
    .group_segment_fixed_size: 0
    .kernarg_segment_align: 8
    .kernarg_segment_size: 104
    .language:       OpenCL C
    .language_version:
      - 2
      - 0
    .max_flat_workgroup_size: 128
    .name:           _ZN7rocprim17ROCPRIM_400000_NS6detail17trampoline_kernelINS0_14default_configENS1_22reduce_config_selectorIN6thrust23THRUST_200600_302600_NS5tupleIblNS6_9null_typeES8_S8_S8_S8_S8_S8_S8_EEEEZNS1_11reduce_implILb1ES3_NS6_12zip_iteratorINS7_INS6_11hip_rocprim26transform_input_iterator_tIbNSD_35transform_pair_of_input_iterators_tIbNS6_6detail15normal_iteratorINS6_10device_ptrIKiEEEESL_NS6_8equal_toIiEEEENSG_9not_fun_tINSD_8identityEEEEENSD_19counting_iterator_tIlEES8_S8_S8_S8_S8_S8_S8_S8_EEEEPS9_S9_NSD_9__find_if7functorIS9_EEEE10hipError_tPvRmT1_T2_T3_mT4_P12ihipStream_tbEUlT_E0_NS1_11comp_targetILNS1_3genE3ELNS1_11target_archE908ELNS1_3gpuE7ELNS1_3repE0EEENS1_30default_config_static_selectorELNS0_4arch9wavefront6targetE1EEEvS14_
    .private_segment_fixed_size: 0
    .sgpr_count:     4
    .sgpr_spill_count: 0
    .symbol:         _ZN7rocprim17ROCPRIM_400000_NS6detail17trampoline_kernelINS0_14default_configENS1_22reduce_config_selectorIN6thrust23THRUST_200600_302600_NS5tupleIblNS6_9null_typeES8_S8_S8_S8_S8_S8_S8_EEEEZNS1_11reduce_implILb1ES3_NS6_12zip_iteratorINS7_INS6_11hip_rocprim26transform_input_iterator_tIbNSD_35transform_pair_of_input_iterators_tIbNS6_6detail15normal_iteratorINS6_10device_ptrIKiEEEESL_NS6_8equal_toIiEEEENSG_9not_fun_tINSD_8identityEEEEENSD_19counting_iterator_tIlEES8_S8_S8_S8_S8_S8_S8_S8_EEEEPS9_S9_NSD_9__find_if7functorIS9_EEEE10hipError_tPvRmT1_T2_T3_mT4_P12ihipStream_tbEUlT_E0_NS1_11comp_targetILNS1_3genE3ELNS1_11target_archE908ELNS1_3gpuE7ELNS1_3repE0EEENS1_30default_config_static_selectorELNS0_4arch9wavefront6targetE1EEEvS14_.kd
    .uniform_work_group_size: 1
    .uses_dynamic_stack: false
    .vgpr_count:     0
    .vgpr_spill_count: 0
    .wavefront_size: 64
  - .agpr_count:     0
    .args:
      - .offset:         0
        .size:           104
        .value_kind:     by_value
    .group_segment_fixed_size: 0
    .kernarg_segment_align: 8
    .kernarg_segment_size: 104
    .language:       OpenCL C
    .language_version:
      - 2
      - 0
    .max_flat_workgroup_size: 128
    .name:           _ZN7rocprim17ROCPRIM_400000_NS6detail17trampoline_kernelINS0_14default_configENS1_22reduce_config_selectorIN6thrust23THRUST_200600_302600_NS5tupleIblNS6_9null_typeES8_S8_S8_S8_S8_S8_S8_EEEEZNS1_11reduce_implILb1ES3_NS6_12zip_iteratorINS7_INS6_11hip_rocprim26transform_input_iterator_tIbNSD_35transform_pair_of_input_iterators_tIbNS6_6detail15normal_iteratorINS6_10device_ptrIKiEEEESL_NS6_8equal_toIiEEEENSG_9not_fun_tINSD_8identityEEEEENSD_19counting_iterator_tIlEES8_S8_S8_S8_S8_S8_S8_S8_EEEEPS9_S9_NSD_9__find_if7functorIS9_EEEE10hipError_tPvRmT1_T2_T3_mT4_P12ihipStream_tbEUlT_E0_NS1_11comp_targetILNS1_3genE2ELNS1_11target_archE906ELNS1_3gpuE6ELNS1_3repE0EEENS1_30default_config_static_selectorELNS0_4arch9wavefront6targetE1EEEvS14_
    .private_segment_fixed_size: 0
    .sgpr_count:     4
    .sgpr_spill_count: 0
    .symbol:         _ZN7rocprim17ROCPRIM_400000_NS6detail17trampoline_kernelINS0_14default_configENS1_22reduce_config_selectorIN6thrust23THRUST_200600_302600_NS5tupleIblNS6_9null_typeES8_S8_S8_S8_S8_S8_S8_EEEEZNS1_11reduce_implILb1ES3_NS6_12zip_iteratorINS7_INS6_11hip_rocprim26transform_input_iterator_tIbNSD_35transform_pair_of_input_iterators_tIbNS6_6detail15normal_iteratorINS6_10device_ptrIKiEEEESL_NS6_8equal_toIiEEEENSG_9not_fun_tINSD_8identityEEEEENSD_19counting_iterator_tIlEES8_S8_S8_S8_S8_S8_S8_S8_EEEEPS9_S9_NSD_9__find_if7functorIS9_EEEE10hipError_tPvRmT1_T2_T3_mT4_P12ihipStream_tbEUlT_E0_NS1_11comp_targetILNS1_3genE2ELNS1_11target_archE906ELNS1_3gpuE6ELNS1_3repE0EEENS1_30default_config_static_selectorELNS0_4arch9wavefront6targetE1EEEvS14_.kd
    .uniform_work_group_size: 1
    .uses_dynamic_stack: false
    .vgpr_count:     0
    .vgpr_spill_count: 0
    .wavefront_size: 64
  - .agpr_count:     0
    .args:
      - .offset:         0
        .size:           104
        .value_kind:     by_value
    .group_segment_fixed_size: 0
    .kernarg_segment_align: 8
    .kernarg_segment_size: 104
    .language:       OpenCL C
    .language_version:
      - 2
      - 0
    .max_flat_workgroup_size: 256
    .name:           _ZN7rocprim17ROCPRIM_400000_NS6detail17trampoline_kernelINS0_14default_configENS1_22reduce_config_selectorIN6thrust23THRUST_200600_302600_NS5tupleIblNS6_9null_typeES8_S8_S8_S8_S8_S8_S8_EEEEZNS1_11reduce_implILb1ES3_NS6_12zip_iteratorINS7_INS6_11hip_rocprim26transform_input_iterator_tIbNSD_35transform_pair_of_input_iterators_tIbNS6_6detail15normal_iteratorINS6_10device_ptrIKiEEEESL_NS6_8equal_toIiEEEENSG_9not_fun_tINSD_8identityEEEEENSD_19counting_iterator_tIlEES8_S8_S8_S8_S8_S8_S8_S8_EEEEPS9_S9_NSD_9__find_if7functorIS9_EEEE10hipError_tPvRmT1_T2_T3_mT4_P12ihipStream_tbEUlT_E0_NS1_11comp_targetILNS1_3genE10ELNS1_11target_archE1201ELNS1_3gpuE5ELNS1_3repE0EEENS1_30default_config_static_selectorELNS0_4arch9wavefront6targetE1EEEvS14_
    .private_segment_fixed_size: 0
    .sgpr_count:     4
    .sgpr_spill_count: 0
    .symbol:         _ZN7rocprim17ROCPRIM_400000_NS6detail17trampoline_kernelINS0_14default_configENS1_22reduce_config_selectorIN6thrust23THRUST_200600_302600_NS5tupleIblNS6_9null_typeES8_S8_S8_S8_S8_S8_S8_EEEEZNS1_11reduce_implILb1ES3_NS6_12zip_iteratorINS7_INS6_11hip_rocprim26transform_input_iterator_tIbNSD_35transform_pair_of_input_iterators_tIbNS6_6detail15normal_iteratorINS6_10device_ptrIKiEEEESL_NS6_8equal_toIiEEEENSG_9not_fun_tINSD_8identityEEEEENSD_19counting_iterator_tIlEES8_S8_S8_S8_S8_S8_S8_S8_EEEEPS9_S9_NSD_9__find_if7functorIS9_EEEE10hipError_tPvRmT1_T2_T3_mT4_P12ihipStream_tbEUlT_E0_NS1_11comp_targetILNS1_3genE10ELNS1_11target_archE1201ELNS1_3gpuE5ELNS1_3repE0EEENS1_30default_config_static_selectorELNS0_4arch9wavefront6targetE1EEEvS14_.kd
    .uniform_work_group_size: 1
    .uses_dynamic_stack: false
    .vgpr_count:     0
    .vgpr_spill_count: 0
    .wavefront_size: 64
  - .agpr_count:     0
    .args:
      - .offset:         0
        .size:           104
        .value_kind:     by_value
    .group_segment_fixed_size: 0
    .kernarg_segment_align: 8
    .kernarg_segment_size: 104
    .language:       OpenCL C
    .language_version:
      - 2
      - 0
    .max_flat_workgroup_size: 256
    .name:           _ZN7rocprim17ROCPRIM_400000_NS6detail17trampoline_kernelINS0_14default_configENS1_22reduce_config_selectorIN6thrust23THRUST_200600_302600_NS5tupleIblNS6_9null_typeES8_S8_S8_S8_S8_S8_S8_EEEEZNS1_11reduce_implILb1ES3_NS6_12zip_iteratorINS7_INS6_11hip_rocprim26transform_input_iterator_tIbNSD_35transform_pair_of_input_iterators_tIbNS6_6detail15normal_iteratorINS6_10device_ptrIKiEEEESL_NS6_8equal_toIiEEEENSG_9not_fun_tINSD_8identityEEEEENSD_19counting_iterator_tIlEES8_S8_S8_S8_S8_S8_S8_S8_EEEEPS9_S9_NSD_9__find_if7functorIS9_EEEE10hipError_tPvRmT1_T2_T3_mT4_P12ihipStream_tbEUlT_E0_NS1_11comp_targetILNS1_3genE10ELNS1_11target_archE1200ELNS1_3gpuE4ELNS1_3repE0EEENS1_30default_config_static_selectorELNS0_4arch9wavefront6targetE1EEEvS14_
    .private_segment_fixed_size: 0
    .sgpr_count:     4
    .sgpr_spill_count: 0
    .symbol:         _ZN7rocprim17ROCPRIM_400000_NS6detail17trampoline_kernelINS0_14default_configENS1_22reduce_config_selectorIN6thrust23THRUST_200600_302600_NS5tupleIblNS6_9null_typeES8_S8_S8_S8_S8_S8_S8_EEEEZNS1_11reduce_implILb1ES3_NS6_12zip_iteratorINS7_INS6_11hip_rocprim26transform_input_iterator_tIbNSD_35transform_pair_of_input_iterators_tIbNS6_6detail15normal_iteratorINS6_10device_ptrIKiEEEESL_NS6_8equal_toIiEEEENSG_9not_fun_tINSD_8identityEEEEENSD_19counting_iterator_tIlEES8_S8_S8_S8_S8_S8_S8_S8_EEEEPS9_S9_NSD_9__find_if7functorIS9_EEEE10hipError_tPvRmT1_T2_T3_mT4_P12ihipStream_tbEUlT_E0_NS1_11comp_targetILNS1_3genE10ELNS1_11target_archE1200ELNS1_3gpuE4ELNS1_3repE0EEENS1_30default_config_static_selectorELNS0_4arch9wavefront6targetE1EEEvS14_.kd
    .uniform_work_group_size: 1
    .uses_dynamic_stack: false
    .vgpr_count:     0
    .vgpr_spill_count: 0
    .wavefront_size: 64
  - .agpr_count:     0
    .args:
      - .offset:         0
        .size:           104
        .value_kind:     by_value
    .group_segment_fixed_size: 0
    .kernarg_segment_align: 8
    .kernarg_segment_size: 104
    .language:       OpenCL C
    .language_version:
      - 2
      - 0
    .max_flat_workgroup_size: 256
    .name:           _ZN7rocprim17ROCPRIM_400000_NS6detail17trampoline_kernelINS0_14default_configENS1_22reduce_config_selectorIN6thrust23THRUST_200600_302600_NS5tupleIblNS6_9null_typeES8_S8_S8_S8_S8_S8_S8_EEEEZNS1_11reduce_implILb1ES3_NS6_12zip_iteratorINS7_INS6_11hip_rocprim26transform_input_iterator_tIbNSD_35transform_pair_of_input_iterators_tIbNS6_6detail15normal_iteratorINS6_10device_ptrIKiEEEESL_NS6_8equal_toIiEEEENSG_9not_fun_tINSD_8identityEEEEENSD_19counting_iterator_tIlEES8_S8_S8_S8_S8_S8_S8_S8_EEEEPS9_S9_NSD_9__find_if7functorIS9_EEEE10hipError_tPvRmT1_T2_T3_mT4_P12ihipStream_tbEUlT_E0_NS1_11comp_targetILNS1_3genE9ELNS1_11target_archE1100ELNS1_3gpuE3ELNS1_3repE0EEENS1_30default_config_static_selectorELNS0_4arch9wavefront6targetE1EEEvS14_
    .private_segment_fixed_size: 0
    .sgpr_count:     4
    .sgpr_spill_count: 0
    .symbol:         _ZN7rocprim17ROCPRIM_400000_NS6detail17trampoline_kernelINS0_14default_configENS1_22reduce_config_selectorIN6thrust23THRUST_200600_302600_NS5tupleIblNS6_9null_typeES8_S8_S8_S8_S8_S8_S8_EEEEZNS1_11reduce_implILb1ES3_NS6_12zip_iteratorINS7_INS6_11hip_rocprim26transform_input_iterator_tIbNSD_35transform_pair_of_input_iterators_tIbNS6_6detail15normal_iteratorINS6_10device_ptrIKiEEEESL_NS6_8equal_toIiEEEENSG_9not_fun_tINSD_8identityEEEEENSD_19counting_iterator_tIlEES8_S8_S8_S8_S8_S8_S8_S8_EEEEPS9_S9_NSD_9__find_if7functorIS9_EEEE10hipError_tPvRmT1_T2_T3_mT4_P12ihipStream_tbEUlT_E0_NS1_11comp_targetILNS1_3genE9ELNS1_11target_archE1100ELNS1_3gpuE3ELNS1_3repE0EEENS1_30default_config_static_selectorELNS0_4arch9wavefront6targetE1EEEvS14_.kd
    .uniform_work_group_size: 1
    .uses_dynamic_stack: false
    .vgpr_count:     0
    .vgpr_spill_count: 0
    .wavefront_size: 64
  - .agpr_count:     0
    .args:
      - .offset:         0
        .size:           104
        .value_kind:     by_value
    .group_segment_fixed_size: 0
    .kernarg_segment_align: 8
    .kernarg_segment_size: 104
    .language:       OpenCL C
    .language_version:
      - 2
      - 0
    .max_flat_workgroup_size: 256
    .name:           _ZN7rocprim17ROCPRIM_400000_NS6detail17trampoline_kernelINS0_14default_configENS1_22reduce_config_selectorIN6thrust23THRUST_200600_302600_NS5tupleIblNS6_9null_typeES8_S8_S8_S8_S8_S8_S8_EEEEZNS1_11reduce_implILb1ES3_NS6_12zip_iteratorINS7_INS6_11hip_rocprim26transform_input_iterator_tIbNSD_35transform_pair_of_input_iterators_tIbNS6_6detail15normal_iteratorINS6_10device_ptrIKiEEEESL_NS6_8equal_toIiEEEENSG_9not_fun_tINSD_8identityEEEEENSD_19counting_iterator_tIlEES8_S8_S8_S8_S8_S8_S8_S8_EEEEPS9_S9_NSD_9__find_if7functorIS9_EEEE10hipError_tPvRmT1_T2_T3_mT4_P12ihipStream_tbEUlT_E0_NS1_11comp_targetILNS1_3genE8ELNS1_11target_archE1030ELNS1_3gpuE2ELNS1_3repE0EEENS1_30default_config_static_selectorELNS0_4arch9wavefront6targetE1EEEvS14_
    .private_segment_fixed_size: 0
    .sgpr_count:     4
    .sgpr_spill_count: 0
    .symbol:         _ZN7rocprim17ROCPRIM_400000_NS6detail17trampoline_kernelINS0_14default_configENS1_22reduce_config_selectorIN6thrust23THRUST_200600_302600_NS5tupleIblNS6_9null_typeES8_S8_S8_S8_S8_S8_S8_EEEEZNS1_11reduce_implILb1ES3_NS6_12zip_iteratorINS7_INS6_11hip_rocprim26transform_input_iterator_tIbNSD_35transform_pair_of_input_iterators_tIbNS6_6detail15normal_iteratorINS6_10device_ptrIKiEEEESL_NS6_8equal_toIiEEEENSG_9not_fun_tINSD_8identityEEEEENSD_19counting_iterator_tIlEES8_S8_S8_S8_S8_S8_S8_S8_EEEEPS9_S9_NSD_9__find_if7functorIS9_EEEE10hipError_tPvRmT1_T2_T3_mT4_P12ihipStream_tbEUlT_E0_NS1_11comp_targetILNS1_3genE8ELNS1_11target_archE1030ELNS1_3gpuE2ELNS1_3repE0EEENS1_30default_config_static_selectorELNS0_4arch9wavefront6targetE1EEEvS14_.kd
    .uniform_work_group_size: 1
    .uses_dynamic_stack: false
    .vgpr_count:     0
    .vgpr_spill_count: 0
    .wavefront_size: 64
  - .agpr_count:     0
    .args:
      - .offset:         0
        .size:           88
        .value_kind:     by_value
    .group_segment_fixed_size: 0
    .kernarg_segment_align: 8
    .kernarg_segment_size: 88
    .language:       OpenCL C
    .language_version:
      - 2
      - 0
    .max_flat_workgroup_size: 128
    .name:           _ZN7rocprim17ROCPRIM_400000_NS6detail17trampoline_kernelINS0_14default_configENS1_22reduce_config_selectorIN6thrust23THRUST_200600_302600_NS5tupleIblNS6_9null_typeES8_S8_S8_S8_S8_S8_S8_EEEEZNS1_11reduce_implILb1ES3_NS6_12zip_iteratorINS7_INS6_11hip_rocprim26transform_input_iterator_tIbNSD_35transform_pair_of_input_iterators_tIbNS6_6detail15normal_iteratorINS6_10device_ptrIKiEEEESL_NS6_8equal_toIiEEEENSG_9not_fun_tINSD_8identityEEEEENSD_19counting_iterator_tIlEES8_S8_S8_S8_S8_S8_S8_S8_EEEEPS9_S9_NSD_9__find_if7functorIS9_EEEE10hipError_tPvRmT1_T2_T3_mT4_P12ihipStream_tbEUlT_E1_NS1_11comp_targetILNS1_3genE0ELNS1_11target_archE4294967295ELNS1_3gpuE0ELNS1_3repE0EEENS1_30default_config_static_selectorELNS0_4arch9wavefront6targetE1EEEvS14_
    .private_segment_fixed_size: 0
    .sgpr_count:     4
    .sgpr_spill_count: 0
    .symbol:         _ZN7rocprim17ROCPRIM_400000_NS6detail17trampoline_kernelINS0_14default_configENS1_22reduce_config_selectorIN6thrust23THRUST_200600_302600_NS5tupleIblNS6_9null_typeES8_S8_S8_S8_S8_S8_S8_EEEEZNS1_11reduce_implILb1ES3_NS6_12zip_iteratorINS7_INS6_11hip_rocprim26transform_input_iterator_tIbNSD_35transform_pair_of_input_iterators_tIbNS6_6detail15normal_iteratorINS6_10device_ptrIKiEEEESL_NS6_8equal_toIiEEEENSG_9not_fun_tINSD_8identityEEEEENSD_19counting_iterator_tIlEES8_S8_S8_S8_S8_S8_S8_S8_EEEEPS9_S9_NSD_9__find_if7functorIS9_EEEE10hipError_tPvRmT1_T2_T3_mT4_P12ihipStream_tbEUlT_E1_NS1_11comp_targetILNS1_3genE0ELNS1_11target_archE4294967295ELNS1_3gpuE0ELNS1_3repE0EEENS1_30default_config_static_selectorELNS0_4arch9wavefront6targetE1EEEvS14_.kd
    .uniform_work_group_size: 1
    .uses_dynamic_stack: false
    .vgpr_count:     0
    .vgpr_spill_count: 0
    .wavefront_size: 64
  - .agpr_count:     0
    .args:
      - .offset:         0
        .size:           88
        .value_kind:     by_value
    .group_segment_fixed_size: 0
    .kernarg_segment_align: 8
    .kernarg_segment_size: 88
    .language:       OpenCL C
    .language_version:
      - 2
      - 0
    .max_flat_workgroup_size: 256
    .name:           _ZN7rocprim17ROCPRIM_400000_NS6detail17trampoline_kernelINS0_14default_configENS1_22reduce_config_selectorIN6thrust23THRUST_200600_302600_NS5tupleIblNS6_9null_typeES8_S8_S8_S8_S8_S8_S8_EEEEZNS1_11reduce_implILb1ES3_NS6_12zip_iteratorINS7_INS6_11hip_rocprim26transform_input_iterator_tIbNSD_35transform_pair_of_input_iterators_tIbNS6_6detail15normal_iteratorINS6_10device_ptrIKiEEEESL_NS6_8equal_toIiEEEENSG_9not_fun_tINSD_8identityEEEEENSD_19counting_iterator_tIlEES8_S8_S8_S8_S8_S8_S8_S8_EEEEPS9_S9_NSD_9__find_if7functorIS9_EEEE10hipError_tPvRmT1_T2_T3_mT4_P12ihipStream_tbEUlT_E1_NS1_11comp_targetILNS1_3genE5ELNS1_11target_archE942ELNS1_3gpuE9ELNS1_3repE0EEENS1_30default_config_static_selectorELNS0_4arch9wavefront6targetE1EEEvS14_
    .private_segment_fixed_size: 0
    .sgpr_count:     4
    .sgpr_spill_count: 0
    .symbol:         _ZN7rocprim17ROCPRIM_400000_NS6detail17trampoline_kernelINS0_14default_configENS1_22reduce_config_selectorIN6thrust23THRUST_200600_302600_NS5tupleIblNS6_9null_typeES8_S8_S8_S8_S8_S8_S8_EEEEZNS1_11reduce_implILb1ES3_NS6_12zip_iteratorINS7_INS6_11hip_rocprim26transform_input_iterator_tIbNSD_35transform_pair_of_input_iterators_tIbNS6_6detail15normal_iteratorINS6_10device_ptrIKiEEEESL_NS6_8equal_toIiEEEENSG_9not_fun_tINSD_8identityEEEEENSD_19counting_iterator_tIlEES8_S8_S8_S8_S8_S8_S8_S8_EEEEPS9_S9_NSD_9__find_if7functorIS9_EEEE10hipError_tPvRmT1_T2_T3_mT4_P12ihipStream_tbEUlT_E1_NS1_11comp_targetILNS1_3genE5ELNS1_11target_archE942ELNS1_3gpuE9ELNS1_3repE0EEENS1_30default_config_static_selectorELNS0_4arch9wavefront6targetE1EEEvS14_.kd
    .uniform_work_group_size: 1
    .uses_dynamic_stack: false
    .vgpr_count:     0
    .vgpr_spill_count: 0
    .wavefront_size: 64
  - .agpr_count:     0
    .args:
      - .offset:         0
        .size:           88
        .value_kind:     by_value
    .group_segment_fixed_size: 320
    .kernarg_segment_align: 8
    .kernarg_segment_size: 88
    .language:       OpenCL C
    .language_version:
      - 2
      - 0
    .max_flat_workgroup_size: 256
    .name:           _ZN7rocprim17ROCPRIM_400000_NS6detail17trampoline_kernelINS0_14default_configENS1_22reduce_config_selectorIN6thrust23THRUST_200600_302600_NS5tupleIblNS6_9null_typeES8_S8_S8_S8_S8_S8_S8_EEEEZNS1_11reduce_implILb1ES3_NS6_12zip_iteratorINS7_INS6_11hip_rocprim26transform_input_iterator_tIbNSD_35transform_pair_of_input_iterators_tIbNS6_6detail15normal_iteratorINS6_10device_ptrIKiEEEESL_NS6_8equal_toIiEEEENSG_9not_fun_tINSD_8identityEEEEENSD_19counting_iterator_tIlEES8_S8_S8_S8_S8_S8_S8_S8_EEEEPS9_S9_NSD_9__find_if7functorIS9_EEEE10hipError_tPvRmT1_T2_T3_mT4_P12ihipStream_tbEUlT_E1_NS1_11comp_targetILNS1_3genE4ELNS1_11target_archE910ELNS1_3gpuE8ELNS1_3repE0EEENS1_30default_config_static_selectorELNS0_4arch9wavefront6targetE1EEEvS14_
    .private_segment_fixed_size: 0
    .sgpr_count:     44
    .sgpr_spill_count: 0
    .symbol:         _ZN7rocprim17ROCPRIM_400000_NS6detail17trampoline_kernelINS0_14default_configENS1_22reduce_config_selectorIN6thrust23THRUST_200600_302600_NS5tupleIblNS6_9null_typeES8_S8_S8_S8_S8_S8_S8_EEEEZNS1_11reduce_implILb1ES3_NS6_12zip_iteratorINS7_INS6_11hip_rocprim26transform_input_iterator_tIbNSD_35transform_pair_of_input_iterators_tIbNS6_6detail15normal_iteratorINS6_10device_ptrIKiEEEESL_NS6_8equal_toIiEEEENSG_9not_fun_tINSD_8identityEEEEENSD_19counting_iterator_tIlEES8_S8_S8_S8_S8_S8_S8_S8_EEEEPS9_S9_NSD_9__find_if7functorIS9_EEEE10hipError_tPvRmT1_T2_T3_mT4_P12ihipStream_tbEUlT_E1_NS1_11comp_targetILNS1_3genE4ELNS1_11target_archE910ELNS1_3gpuE8ELNS1_3repE0EEENS1_30default_config_static_selectorELNS0_4arch9wavefront6targetE1EEEvS14_.kd
    .uniform_work_group_size: 1
    .uses_dynamic_stack: false
    .vgpr_count:     27
    .vgpr_spill_count: 0
    .wavefront_size: 64
  - .agpr_count:     0
    .args:
      - .offset:         0
        .size:           88
        .value_kind:     by_value
    .group_segment_fixed_size: 0
    .kernarg_segment_align: 8
    .kernarg_segment_size: 88
    .language:       OpenCL C
    .language_version:
      - 2
      - 0
    .max_flat_workgroup_size: 128
    .name:           _ZN7rocprim17ROCPRIM_400000_NS6detail17trampoline_kernelINS0_14default_configENS1_22reduce_config_selectorIN6thrust23THRUST_200600_302600_NS5tupleIblNS6_9null_typeES8_S8_S8_S8_S8_S8_S8_EEEEZNS1_11reduce_implILb1ES3_NS6_12zip_iteratorINS7_INS6_11hip_rocprim26transform_input_iterator_tIbNSD_35transform_pair_of_input_iterators_tIbNS6_6detail15normal_iteratorINS6_10device_ptrIKiEEEESL_NS6_8equal_toIiEEEENSG_9not_fun_tINSD_8identityEEEEENSD_19counting_iterator_tIlEES8_S8_S8_S8_S8_S8_S8_S8_EEEEPS9_S9_NSD_9__find_if7functorIS9_EEEE10hipError_tPvRmT1_T2_T3_mT4_P12ihipStream_tbEUlT_E1_NS1_11comp_targetILNS1_3genE3ELNS1_11target_archE908ELNS1_3gpuE7ELNS1_3repE0EEENS1_30default_config_static_selectorELNS0_4arch9wavefront6targetE1EEEvS14_
    .private_segment_fixed_size: 0
    .sgpr_count:     4
    .sgpr_spill_count: 0
    .symbol:         _ZN7rocprim17ROCPRIM_400000_NS6detail17trampoline_kernelINS0_14default_configENS1_22reduce_config_selectorIN6thrust23THRUST_200600_302600_NS5tupleIblNS6_9null_typeES8_S8_S8_S8_S8_S8_S8_EEEEZNS1_11reduce_implILb1ES3_NS6_12zip_iteratorINS7_INS6_11hip_rocprim26transform_input_iterator_tIbNSD_35transform_pair_of_input_iterators_tIbNS6_6detail15normal_iteratorINS6_10device_ptrIKiEEEESL_NS6_8equal_toIiEEEENSG_9not_fun_tINSD_8identityEEEEENSD_19counting_iterator_tIlEES8_S8_S8_S8_S8_S8_S8_S8_EEEEPS9_S9_NSD_9__find_if7functorIS9_EEEE10hipError_tPvRmT1_T2_T3_mT4_P12ihipStream_tbEUlT_E1_NS1_11comp_targetILNS1_3genE3ELNS1_11target_archE908ELNS1_3gpuE7ELNS1_3repE0EEENS1_30default_config_static_selectorELNS0_4arch9wavefront6targetE1EEEvS14_.kd
    .uniform_work_group_size: 1
    .uses_dynamic_stack: false
    .vgpr_count:     0
    .vgpr_spill_count: 0
    .wavefront_size: 64
  - .agpr_count:     0
    .args:
      - .offset:         0
        .size:           88
        .value_kind:     by_value
    .group_segment_fixed_size: 0
    .kernarg_segment_align: 8
    .kernarg_segment_size: 88
    .language:       OpenCL C
    .language_version:
      - 2
      - 0
    .max_flat_workgroup_size: 128
    .name:           _ZN7rocprim17ROCPRIM_400000_NS6detail17trampoline_kernelINS0_14default_configENS1_22reduce_config_selectorIN6thrust23THRUST_200600_302600_NS5tupleIblNS6_9null_typeES8_S8_S8_S8_S8_S8_S8_EEEEZNS1_11reduce_implILb1ES3_NS6_12zip_iteratorINS7_INS6_11hip_rocprim26transform_input_iterator_tIbNSD_35transform_pair_of_input_iterators_tIbNS6_6detail15normal_iteratorINS6_10device_ptrIKiEEEESL_NS6_8equal_toIiEEEENSG_9not_fun_tINSD_8identityEEEEENSD_19counting_iterator_tIlEES8_S8_S8_S8_S8_S8_S8_S8_EEEEPS9_S9_NSD_9__find_if7functorIS9_EEEE10hipError_tPvRmT1_T2_T3_mT4_P12ihipStream_tbEUlT_E1_NS1_11comp_targetILNS1_3genE2ELNS1_11target_archE906ELNS1_3gpuE6ELNS1_3repE0EEENS1_30default_config_static_selectorELNS0_4arch9wavefront6targetE1EEEvS14_
    .private_segment_fixed_size: 0
    .sgpr_count:     4
    .sgpr_spill_count: 0
    .symbol:         _ZN7rocprim17ROCPRIM_400000_NS6detail17trampoline_kernelINS0_14default_configENS1_22reduce_config_selectorIN6thrust23THRUST_200600_302600_NS5tupleIblNS6_9null_typeES8_S8_S8_S8_S8_S8_S8_EEEEZNS1_11reduce_implILb1ES3_NS6_12zip_iteratorINS7_INS6_11hip_rocprim26transform_input_iterator_tIbNSD_35transform_pair_of_input_iterators_tIbNS6_6detail15normal_iteratorINS6_10device_ptrIKiEEEESL_NS6_8equal_toIiEEEENSG_9not_fun_tINSD_8identityEEEEENSD_19counting_iterator_tIlEES8_S8_S8_S8_S8_S8_S8_S8_EEEEPS9_S9_NSD_9__find_if7functorIS9_EEEE10hipError_tPvRmT1_T2_T3_mT4_P12ihipStream_tbEUlT_E1_NS1_11comp_targetILNS1_3genE2ELNS1_11target_archE906ELNS1_3gpuE6ELNS1_3repE0EEENS1_30default_config_static_selectorELNS0_4arch9wavefront6targetE1EEEvS14_.kd
    .uniform_work_group_size: 1
    .uses_dynamic_stack: false
    .vgpr_count:     0
    .vgpr_spill_count: 0
    .wavefront_size: 64
  - .agpr_count:     0
    .args:
      - .offset:         0
        .size:           88
        .value_kind:     by_value
    .group_segment_fixed_size: 0
    .kernarg_segment_align: 8
    .kernarg_segment_size: 88
    .language:       OpenCL C
    .language_version:
      - 2
      - 0
    .max_flat_workgroup_size: 256
    .name:           _ZN7rocprim17ROCPRIM_400000_NS6detail17trampoline_kernelINS0_14default_configENS1_22reduce_config_selectorIN6thrust23THRUST_200600_302600_NS5tupleIblNS6_9null_typeES8_S8_S8_S8_S8_S8_S8_EEEEZNS1_11reduce_implILb1ES3_NS6_12zip_iteratorINS7_INS6_11hip_rocprim26transform_input_iterator_tIbNSD_35transform_pair_of_input_iterators_tIbNS6_6detail15normal_iteratorINS6_10device_ptrIKiEEEESL_NS6_8equal_toIiEEEENSG_9not_fun_tINSD_8identityEEEEENSD_19counting_iterator_tIlEES8_S8_S8_S8_S8_S8_S8_S8_EEEEPS9_S9_NSD_9__find_if7functorIS9_EEEE10hipError_tPvRmT1_T2_T3_mT4_P12ihipStream_tbEUlT_E1_NS1_11comp_targetILNS1_3genE10ELNS1_11target_archE1201ELNS1_3gpuE5ELNS1_3repE0EEENS1_30default_config_static_selectorELNS0_4arch9wavefront6targetE1EEEvS14_
    .private_segment_fixed_size: 0
    .sgpr_count:     4
    .sgpr_spill_count: 0
    .symbol:         _ZN7rocprim17ROCPRIM_400000_NS6detail17trampoline_kernelINS0_14default_configENS1_22reduce_config_selectorIN6thrust23THRUST_200600_302600_NS5tupleIblNS6_9null_typeES8_S8_S8_S8_S8_S8_S8_EEEEZNS1_11reduce_implILb1ES3_NS6_12zip_iteratorINS7_INS6_11hip_rocprim26transform_input_iterator_tIbNSD_35transform_pair_of_input_iterators_tIbNS6_6detail15normal_iteratorINS6_10device_ptrIKiEEEESL_NS6_8equal_toIiEEEENSG_9not_fun_tINSD_8identityEEEEENSD_19counting_iterator_tIlEES8_S8_S8_S8_S8_S8_S8_S8_EEEEPS9_S9_NSD_9__find_if7functorIS9_EEEE10hipError_tPvRmT1_T2_T3_mT4_P12ihipStream_tbEUlT_E1_NS1_11comp_targetILNS1_3genE10ELNS1_11target_archE1201ELNS1_3gpuE5ELNS1_3repE0EEENS1_30default_config_static_selectorELNS0_4arch9wavefront6targetE1EEEvS14_.kd
    .uniform_work_group_size: 1
    .uses_dynamic_stack: false
    .vgpr_count:     0
    .vgpr_spill_count: 0
    .wavefront_size: 64
  - .agpr_count:     0
    .args:
      - .offset:         0
        .size:           88
        .value_kind:     by_value
    .group_segment_fixed_size: 0
    .kernarg_segment_align: 8
    .kernarg_segment_size: 88
    .language:       OpenCL C
    .language_version:
      - 2
      - 0
    .max_flat_workgroup_size: 256
    .name:           _ZN7rocprim17ROCPRIM_400000_NS6detail17trampoline_kernelINS0_14default_configENS1_22reduce_config_selectorIN6thrust23THRUST_200600_302600_NS5tupleIblNS6_9null_typeES8_S8_S8_S8_S8_S8_S8_EEEEZNS1_11reduce_implILb1ES3_NS6_12zip_iteratorINS7_INS6_11hip_rocprim26transform_input_iterator_tIbNSD_35transform_pair_of_input_iterators_tIbNS6_6detail15normal_iteratorINS6_10device_ptrIKiEEEESL_NS6_8equal_toIiEEEENSG_9not_fun_tINSD_8identityEEEEENSD_19counting_iterator_tIlEES8_S8_S8_S8_S8_S8_S8_S8_EEEEPS9_S9_NSD_9__find_if7functorIS9_EEEE10hipError_tPvRmT1_T2_T3_mT4_P12ihipStream_tbEUlT_E1_NS1_11comp_targetILNS1_3genE10ELNS1_11target_archE1200ELNS1_3gpuE4ELNS1_3repE0EEENS1_30default_config_static_selectorELNS0_4arch9wavefront6targetE1EEEvS14_
    .private_segment_fixed_size: 0
    .sgpr_count:     4
    .sgpr_spill_count: 0
    .symbol:         _ZN7rocprim17ROCPRIM_400000_NS6detail17trampoline_kernelINS0_14default_configENS1_22reduce_config_selectorIN6thrust23THRUST_200600_302600_NS5tupleIblNS6_9null_typeES8_S8_S8_S8_S8_S8_S8_EEEEZNS1_11reduce_implILb1ES3_NS6_12zip_iteratorINS7_INS6_11hip_rocprim26transform_input_iterator_tIbNSD_35transform_pair_of_input_iterators_tIbNS6_6detail15normal_iteratorINS6_10device_ptrIKiEEEESL_NS6_8equal_toIiEEEENSG_9not_fun_tINSD_8identityEEEEENSD_19counting_iterator_tIlEES8_S8_S8_S8_S8_S8_S8_S8_EEEEPS9_S9_NSD_9__find_if7functorIS9_EEEE10hipError_tPvRmT1_T2_T3_mT4_P12ihipStream_tbEUlT_E1_NS1_11comp_targetILNS1_3genE10ELNS1_11target_archE1200ELNS1_3gpuE4ELNS1_3repE0EEENS1_30default_config_static_selectorELNS0_4arch9wavefront6targetE1EEEvS14_.kd
    .uniform_work_group_size: 1
    .uses_dynamic_stack: false
    .vgpr_count:     0
    .vgpr_spill_count: 0
    .wavefront_size: 64
  - .agpr_count:     0
    .args:
      - .offset:         0
        .size:           88
        .value_kind:     by_value
    .group_segment_fixed_size: 0
    .kernarg_segment_align: 8
    .kernarg_segment_size: 88
    .language:       OpenCL C
    .language_version:
      - 2
      - 0
    .max_flat_workgroup_size: 256
    .name:           _ZN7rocprim17ROCPRIM_400000_NS6detail17trampoline_kernelINS0_14default_configENS1_22reduce_config_selectorIN6thrust23THRUST_200600_302600_NS5tupleIblNS6_9null_typeES8_S8_S8_S8_S8_S8_S8_EEEEZNS1_11reduce_implILb1ES3_NS6_12zip_iteratorINS7_INS6_11hip_rocprim26transform_input_iterator_tIbNSD_35transform_pair_of_input_iterators_tIbNS6_6detail15normal_iteratorINS6_10device_ptrIKiEEEESL_NS6_8equal_toIiEEEENSG_9not_fun_tINSD_8identityEEEEENSD_19counting_iterator_tIlEES8_S8_S8_S8_S8_S8_S8_S8_EEEEPS9_S9_NSD_9__find_if7functorIS9_EEEE10hipError_tPvRmT1_T2_T3_mT4_P12ihipStream_tbEUlT_E1_NS1_11comp_targetILNS1_3genE9ELNS1_11target_archE1100ELNS1_3gpuE3ELNS1_3repE0EEENS1_30default_config_static_selectorELNS0_4arch9wavefront6targetE1EEEvS14_
    .private_segment_fixed_size: 0
    .sgpr_count:     4
    .sgpr_spill_count: 0
    .symbol:         _ZN7rocprim17ROCPRIM_400000_NS6detail17trampoline_kernelINS0_14default_configENS1_22reduce_config_selectorIN6thrust23THRUST_200600_302600_NS5tupleIblNS6_9null_typeES8_S8_S8_S8_S8_S8_S8_EEEEZNS1_11reduce_implILb1ES3_NS6_12zip_iteratorINS7_INS6_11hip_rocprim26transform_input_iterator_tIbNSD_35transform_pair_of_input_iterators_tIbNS6_6detail15normal_iteratorINS6_10device_ptrIKiEEEESL_NS6_8equal_toIiEEEENSG_9not_fun_tINSD_8identityEEEEENSD_19counting_iterator_tIlEES8_S8_S8_S8_S8_S8_S8_S8_EEEEPS9_S9_NSD_9__find_if7functorIS9_EEEE10hipError_tPvRmT1_T2_T3_mT4_P12ihipStream_tbEUlT_E1_NS1_11comp_targetILNS1_3genE9ELNS1_11target_archE1100ELNS1_3gpuE3ELNS1_3repE0EEENS1_30default_config_static_selectorELNS0_4arch9wavefront6targetE1EEEvS14_.kd
    .uniform_work_group_size: 1
    .uses_dynamic_stack: false
    .vgpr_count:     0
    .vgpr_spill_count: 0
    .wavefront_size: 64
  - .agpr_count:     0
    .args:
      - .offset:         0
        .size:           88
        .value_kind:     by_value
    .group_segment_fixed_size: 0
    .kernarg_segment_align: 8
    .kernarg_segment_size: 88
    .language:       OpenCL C
    .language_version:
      - 2
      - 0
    .max_flat_workgroup_size: 256
    .name:           _ZN7rocprim17ROCPRIM_400000_NS6detail17trampoline_kernelINS0_14default_configENS1_22reduce_config_selectorIN6thrust23THRUST_200600_302600_NS5tupleIblNS6_9null_typeES8_S8_S8_S8_S8_S8_S8_EEEEZNS1_11reduce_implILb1ES3_NS6_12zip_iteratorINS7_INS6_11hip_rocprim26transform_input_iterator_tIbNSD_35transform_pair_of_input_iterators_tIbNS6_6detail15normal_iteratorINS6_10device_ptrIKiEEEESL_NS6_8equal_toIiEEEENSG_9not_fun_tINSD_8identityEEEEENSD_19counting_iterator_tIlEES8_S8_S8_S8_S8_S8_S8_S8_EEEEPS9_S9_NSD_9__find_if7functorIS9_EEEE10hipError_tPvRmT1_T2_T3_mT4_P12ihipStream_tbEUlT_E1_NS1_11comp_targetILNS1_3genE8ELNS1_11target_archE1030ELNS1_3gpuE2ELNS1_3repE0EEENS1_30default_config_static_selectorELNS0_4arch9wavefront6targetE1EEEvS14_
    .private_segment_fixed_size: 0
    .sgpr_count:     4
    .sgpr_spill_count: 0
    .symbol:         _ZN7rocprim17ROCPRIM_400000_NS6detail17trampoline_kernelINS0_14default_configENS1_22reduce_config_selectorIN6thrust23THRUST_200600_302600_NS5tupleIblNS6_9null_typeES8_S8_S8_S8_S8_S8_S8_EEEEZNS1_11reduce_implILb1ES3_NS6_12zip_iteratorINS7_INS6_11hip_rocprim26transform_input_iterator_tIbNSD_35transform_pair_of_input_iterators_tIbNS6_6detail15normal_iteratorINS6_10device_ptrIKiEEEESL_NS6_8equal_toIiEEEENSG_9not_fun_tINSD_8identityEEEEENSD_19counting_iterator_tIlEES8_S8_S8_S8_S8_S8_S8_S8_EEEEPS9_S9_NSD_9__find_if7functorIS9_EEEE10hipError_tPvRmT1_T2_T3_mT4_P12ihipStream_tbEUlT_E1_NS1_11comp_targetILNS1_3genE8ELNS1_11target_archE1030ELNS1_3gpuE2ELNS1_3repE0EEENS1_30default_config_static_selectorELNS0_4arch9wavefront6targetE1EEEvS14_.kd
    .uniform_work_group_size: 1
    .uses_dynamic_stack: false
    .vgpr_count:     0
    .vgpr_spill_count: 0
    .wavefront_size: 64
  - .agpr_count:     0
    .args:
      - .offset:         0
        .size:           16
        .value_kind:     by_value
      - .offset:         16
        .size:           8
        .value_kind:     by_value
      - .offset:         24
        .size:           8
        .value_kind:     by_value
    .group_segment_fixed_size: 0
    .kernarg_segment_align: 8
    .kernarg_segment_size: 32
    .language:       OpenCL C
    .language_version:
      - 2
      - 0
    .max_flat_workgroup_size: 256
    .name:           _ZN6thrust23THRUST_200600_302600_NS11hip_rocprim14__parallel_for6kernelILj256ENS1_20__uninitialized_fill7functorINS0_10device_ptrIsEEsEEmLj1EEEvT0_T1_SA_
    .private_segment_fixed_size: 0
    .sgpr_count:     16
    .sgpr_spill_count: 0
    .symbol:         _ZN6thrust23THRUST_200600_302600_NS11hip_rocprim14__parallel_for6kernelILj256ENS1_20__uninitialized_fill7functorINS0_10device_ptrIsEEsEEmLj1EEEvT0_T1_SA_.kd
    .uniform_work_group_size: 1
    .uses_dynamic_stack: false
    .vgpr_count:     4
    .vgpr_spill_count: 0
    .wavefront_size: 64
  - .agpr_count:     0
    .args:
      - .offset:         0
        .size:           48
        .value_kind:     by_value
    .group_segment_fixed_size: 0
    .kernarg_segment_align: 8
    .kernarg_segment_size: 48
    .language:       OpenCL C
    .language_version:
      - 2
      - 0
    .max_flat_workgroup_size: 512
    .name:           _ZN7rocprim17ROCPRIM_400000_NS6detail17trampoline_kernelINS0_14default_configENS1_21merge_config_selectorIsNS0_10empty_typeEEEZNS1_10merge_implIS3_N6thrust23THRUST_200600_302600_NS6detail15normal_iteratorINS9_10device_ptrIKsEEEESF_NSB_INSC_IsEEEEPS5_SI_SI_NS9_4lessIsEEEE10hipError_tPvRmT0_T1_T2_T3_T4_T5_mmT6_P12ihipStream_tbEUlT_E_NS1_11comp_targetILNS1_3genE0ELNS1_11target_archE4294967295ELNS1_3gpuE0ELNS1_3repE0EEENS1_30default_config_static_selectorELNS0_4arch9wavefront6targetE1EEEvSP_
    .private_segment_fixed_size: 0
    .sgpr_count:     4
    .sgpr_spill_count: 0
    .symbol:         _ZN7rocprim17ROCPRIM_400000_NS6detail17trampoline_kernelINS0_14default_configENS1_21merge_config_selectorIsNS0_10empty_typeEEEZNS1_10merge_implIS3_N6thrust23THRUST_200600_302600_NS6detail15normal_iteratorINS9_10device_ptrIKsEEEESF_NSB_INSC_IsEEEEPS5_SI_SI_NS9_4lessIsEEEE10hipError_tPvRmT0_T1_T2_T3_T4_T5_mmT6_P12ihipStream_tbEUlT_E_NS1_11comp_targetILNS1_3genE0ELNS1_11target_archE4294967295ELNS1_3gpuE0ELNS1_3repE0EEENS1_30default_config_static_selectorELNS0_4arch9wavefront6targetE1EEEvSP_.kd
    .uniform_work_group_size: 1
    .uses_dynamic_stack: false
    .vgpr_count:     0
    .vgpr_spill_count: 0
    .wavefront_size: 64
  - .agpr_count:     0
    .args:
      - .offset:         0
        .size:           48
        .value_kind:     by_value
    .group_segment_fixed_size: 0
    .kernarg_segment_align: 8
    .kernarg_segment_size: 48
    .language:       OpenCL C
    .language_version:
      - 2
      - 0
    .max_flat_workgroup_size: 256
    .name:           _ZN7rocprim17ROCPRIM_400000_NS6detail17trampoline_kernelINS0_14default_configENS1_21merge_config_selectorIsNS0_10empty_typeEEEZNS1_10merge_implIS3_N6thrust23THRUST_200600_302600_NS6detail15normal_iteratorINS9_10device_ptrIKsEEEESF_NSB_INSC_IsEEEEPS5_SI_SI_NS9_4lessIsEEEE10hipError_tPvRmT0_T1_T2_T3_T4_T5_mmT6_P12ihipStream_tbEUlT_E_NS1_11comp_targetILNS1_3genE5ELNS1_11target_archE942ELNS1_3gpuE9ELNS1_3repE0EEENS1_30default_config_static_selectorELNS0_4arch9wavefront6targetE1EEEvSP_
    .private_segment_fixed_size: 0
    .sgpr_count:     4
    .sgpr_spill_count: 0
    .symbol:         _ZN7rocprim17ROCPRIM_400000_NS6detail17trampoline_kernelINS0_14default_configENS1_21merge_config_selectorIsNS0_10empty_typeEEEZNS1_10merge_implIS3_N6thrust23THRUST_200600_302600_NS6detail15normal_iteratorINS9_10device_ptrIKsEEEESF_NSB_INSC_IsEEEEPS5_SI_SI_NS9_4lessIsEEEE10hipError_tPvRmT0_T1_T2_T3_T4_T5_mmT6_P12ihipStream_tbEUlT_E_NS1_11comp_targetILNS1_3genE5ELNS1_11target_archE942ELNS1_3gpuE9ELNS1_3repE0EEENS1_30default_config_static_selectorELNS0_4arch9wavefront6targetE1EEEvSP_.kd
    .uniform_work_group_size: 1
    .uses_dynamic_stack: false
    .vgpr_count:     0
    .vgpr_spill_count: 0
    .wavefront_size: 64
  - .agpr_count:     0
    .args:
      - .offset:         0
        .size:           48
        .value_kind:     by_value
      - .offset:         48
        .size:           4
        .value_kind:     hidden_block_count_x
      - .offset:         52
        .size:           4
        .value_kind:     hidden_block_count_y
      - .offset:         56
        .size:           4
        .value_kind:     hidden_block_count_z
      - .offset:         60
        .size:           2
        .value_kind:     hidden_group_size_x
      - .offset:         62
        .size:           2
        .value_kind:     hidden_group_size_y
      - .offset:         64
        .size:           2
        .value_kind:     hidden_group_size_z
      - .offset:         66
        .size:           2
        .value_kind:     hidden_remainder_x
      - .offset:         68
        .size:           2
        .value_kind:     hidden_remainder_y
      - .offset:         70
        .size:           2
        .value_kind:     hidden_remainder_z
      - .offset:         88
        .size:           8
        .value_kind:     hidden_global_offset_x
      - .offset:         96
        .size:           8
        .value_kind:     hidden_global_offset_y
      - .offset:         104
        .size:           8
        .value_kind:     hidden_global_offset_z
      - .offset:         112
        .size:           2
        .value_kind:     hidden_grid_dims
    .group_segment_fixed_size: 0
    .kernarg_segment_align: 8
    .kernarg_segment_size: 304
    .language:       OpenCL C
    .language_version:
      - 2
      - 0
    .max_flat_workgroup_size: 256
    .name:           _ZN7rocprim17ROCPRIM_400000_NS6detail17trampoline_kernelINS0_14default_configENS1_21merge_config_selectorIsNS0_10empty_typeEEEZNS1_10merge_implIS3_N6thrust23THRUST_200600_302600_NS6detail15normal_iteratorINS9_10device_ptrIKsEEEESF_NSB_INSC_IsEEEEPS5_SI_SI_NS9_4lessIsEEEE10hipError_tPvRmT0_T1_T2_T3_T4_T5_mmT6_P12ihipStream_tbEUlT_E_NS1_11comp_targetILNS1_3genE4ELNS1_11target_archE910ELNS1_3gpuE8ELNS1_3repE0EEENS1_30default_config_static_selectorELNS0_4arch9wavefront6targetE1EEEvSP_
    .private_segment_fixed_size: 0
    .sgpr_count:     18
    .sgpr_spill_count: 0
    .symbol:         _ZN7rocprim17ROCPRIM_400000_NS6detail17trampoline_kernelINS0_14default_configENS1_21merge_config_selectorIsNS0_10empty_typeEEEZNS1_10merge_implIS3_N6thrust23THRUST_200600_302600_NS6detail15normal_iteratorINS9_10device_ptrIKsEEEESF_NSB_INSC_IsEEEEPS5_SI_SI_NS9_4lessIsEEEE10hipError_tPvRmT0_T1_T2_T3_T4_T5_mmT6_P12ihipStream_tbEUlT_E_NS1_11comp_targetILNS1_3genE4ELNS1_11target_archE910ELNS1_3gpuE8ELNS1_3repE0EEENS1_30default_config_static_selectorELNS0_4arch9wavefront6targetE1EEEvSP_.kd
    .uniform_work_group_size: 1
    .uses_dynamic_stack: false
    .vgpr_count:     15
    .vgpr_spill_count: 0
    .wavefront_size: 64
  - .agpr_count:     0
    .args:
      - .offset:         0
        .size:           48
        .value_kind:     by_value
    .group_segment_fixed_size: 0
    .kernarg_segment_align: 8
    .kernarg_segment_size: 48
    .language:       OpenCL C
    .language_version:
      - 2
      - 0
    .max_flat_workgroup_size: 512
    .name:           _ZN7rocprim17ROCPRIM_400000_NS6detail17trampoline_kernelINS0_14default_configENS1_21merge_config_selectorIsNS0_10empty_typeEEEZNS1_10merge_implIS3_N6thrust23THRUST_200600_302600_NS6detail15normal_iteratorINS9_10device_ptrIKsEEEESF_NSB_INSC_IsEEEEPS5_SI_SI_NS9_4lessIsEEEE10hipError_tPvRmT0_T1_T2_T3_T4_T5_mmT6_P12ihipStream_tbEUlT_E_NS1_11comp_targetILNS1_3genE3ELNS1_11target_archE908ELNS1_3gpuE7ELNS1_3repE0EEENS1_30default_config_static_selectorELNS0_4arch9wavefront6targetE1EEEvSP_
    .private_segment_fixed_size: 0
    .sgpr_count:     4
    .sgpr_spill_count: 0
    .symbol:         _ZN7rocprim17ROCPRIM_400000_NS6detail17trampoline_kernelINS0_14default_configENS1_21merge_config_selectorIsNS0_10empty_typeEEEZNS1_10merge_implIS3_N6thrust23THRUST_200600_302600_NS6detail15normal_iteratorINS9_10device_ptrIKsEEEESF_NSB_INSC_IsEEEEPS5_SI_SI_NS9_4lessIsEEEE10hipError_tPvRmT0_T1_T2_T3_T4_T5_mmT6_P12ihipStream_tbEUlT_E_NS1_11comp_targetILNS1_3genE3ELNS1_11target_archE908ELNS1_3gpuE7ELNS1_3repE0EEENS1_30default_config_static_selectorELNS0_4arch9wavefront6targetE1EEEvSP_.kd
    .uniform_work_group_size: 1
    .uses_dynamic_stack: false
    .vgpr_count:     0
    .vgpr_spill_count: 0
    .wavefront_size: 64
  - .agpr_count:     0
    .args:
      - .offset:         0
        .size:           48
        .value_kind:     by_value
    .group_segment_fixed_size: 0
    .kernarg_segment_align: 8
    .kernarg_segment_size: 48
    .language:       OpenCL C
    .language_version:
      - 2
      - 0
    .max_flat_workgroup_size: 256
    .name:           _ZN7rocprim17ROCPRIM_400000_NS6detail17trampoline_kernelINS0_14default_configENS1_21merge_config_selectorIsNS0_10empty_typeEEEZNS1_10merge_implIS3_N6thrust23THRUST_200600_302600_NS6detail15normal_iteratorINS9_10device_ptrIKsEEEESF_NSB_INSC_IsEEEEPS5_SI_SI_NS9_4lessIsEEEE10hipError_tPvRmT0_T1_T2_T3_T4_T5_mmT6_P12ihipStream_tbEUlT_E_NS1_11comp_targetILNS1_3genE2ELNS1_11target_archE906ELNS1_3gpuE6ELNS1_3repE0EEENS1_30default_config_static_selectorELNS0_4arch9wavefront6targetE1EEEvSP_
    .private_segment_fixed_size: 0
    .sgpr_count:     4
    .sgpr_spill_count: 0
    .symbol:         _ZN7rocprim17ROCPRIM_400000_NS6detail17trampoline_kernelINS0_14default_configENS1_21merge_config_selectorIsNS0_10empty_typeEEEZNS1_10merge_implIS3_N6thrust23THRUST_200600_302600_NS6detail15normal_iteratorINS9_10device_ptrIKsEEEESF_NSB_INSC_IsEEEEPS5_SI_SI_NS9_4lessIsEEEE10hipError_tPvRmT0_T1_T2_T3_T4_T5_mmT6_P12ihipStream_tbEUlT_E_NS1_11comp_targetILNS1_3genE2ELNS1_11target_archE906ELNS1_3gpuE6ELNS1_3repE0EEENS1_30default_config_static_selectorELNS0_4arch9wavefront6targetE1EEEvSP_.kd
    .uniform_work_group_size: 1
    .uses_dynamic_stack: false
    .vgpr_count:     0
    .vgpr_spill_count: 0
    .wavefront_size: 64
  - .agpr_count:     0
    .args:
      - .offset:         0
        .size:           48
        .value_kind:     by_value
    .group_segment_fixed_size: 0
    .kernarg_segment_align: 8
    .kernarg_segment_size: 48
    .language:       OpenCL C
    .language_version:
      - 2
      - 0
    .max_flat_workgroup_size: 512
    .name:           _ZN7rocprim17ROCPRIM_400000_NS6detail17trampoline_kernelINS0_14default_configENS1_21merge_config_selectorIsNS0_10empty_typeEEEZNS1_10merge_implIS3_N6thrust23THRUST_200600_302600_NS6detail15normal_iteratorINS9_10device_ptrIKsEEEESF_NSB_INSC_IsEEEEPS5_SI_SI_NS9_4lessIsEEEE10hipError_tPvRmT0_T1_T2_T3_T4_T5_mmT6_P12ihipStream_tbEUlT_E_NS1_11comp_targetILNS1_3genE10ELNS1_11target_archE1201ELNS1_3gpuE5ELNS1_3repE0EEENS1_30default_config_static_selectorELNS0_4arch9wavefront6targetE1EEEvSP_
    .private_segment_fixed_size: 0
    .sgpr_count:     4
    .sgpr_spill_count: 0
    .symbol:         _ZN7rocprim17ROCPRIM_400000_NS6detail17trampoline_kernelINS0_14default_configENS1_21merge_config_selectorIsNS0_10empty_typeEEEZNS1_10merge_implIS3_N6thrust23THRUST_200600_302600_NS6detail15normal_iteratorINS9_10device_ptrIKsEEEESF_NSB_INSC_IsEEEEPS5_SI_SI_NS9_4lessIsEEEE10hipError_tPvRmT0_T1_T2_T3_T4_T5_mmT6_P12ihipStream_tbEUlT_E_NS1_11comp_targetILNS1_3genE10ELNS1_11target_archE1201ELNS1_3gpuE5ELNS1_3repE0EEENS1_30default_config_static_selectorELNS0_4arch9wavefront6targetE1EEEvSP_.kd
    .uniform_work_group_size: 1
    .uses_dynamic_stack: false
    .vgpr_count:     0
    .vgpr_spill_count: 0
    .wavefront_size: 64
  - .agpr_count:     0
    .args:
      - .offset:         0
        .size:           48
        .value_kind:     by_value
    .group_segment_fixed_size: 0
    .kernarg_segment_align: 8
    .kernarg_segment_size: 48
    .language:       OpenCL C
    .language_version:
      - 2
      - 0
    .max_flat_workgroup_size: 512
    .name:           _ZN7rocprim17ROCPRIM_400000_NS6detail17trampoline_kernelINS0_14default_configENS1_21merge_config_selectorIsNS0_10empty_typeEEEZNS1_10merge_implIS3_N6thrust23THRUST_200600_302600_NS6detail15normal_iteratorINS9_10device_ptrIKsEEEESF_NSB_INSC_IsEEEEPS5_SI_SI_NS9_4lessIsEEEE10hipError_tPvRmT0_T1_T2_T3_T4_T5_mmT6_P12ihipStream_tbEUlT_E_NS1_11comp_targetILNS1_3genE10ELNS1_11target_archE1200ELNS1_3gpuE4ELNS1_3repE0EEENS1_30default_config_static_selectorELNS0_4arch9wavefront6targetE1EEEvSP_
    .private_segment_fixed_size: 0
    .sgpr_count:     4
    .sgpr_spill_count: 0
    .symbol:         _ZN7rocprim17ROCPRIM_400000_NS6detail17trampoline_kernelINS0_14default_configENS1_21merge_config_selectorIsNS0_10empty_typeEEEZNS1_10merge_implIS3_N6thrust23THRUST_200600_302600_NS6detail15normal_iteratorINS9_10device_ptrIKsEEEESF_NSB_INSC_IsEEEEPS5_SI_SI_NS9_4lessIsEEEE10hipError_tPvRmT0_T1_T2_T3_T4_T5_mmT6_P12ihipStream_tbEUlT_E_NS1_11comp_targetILNS1_3genE10ELNS1_11target_archE1200ELNS1_3gpuE4ELNS1_3repE0EEENS1_30default_config_static_selectorELNS0_4arch9wavefront6targetE1EEEvSP_.kd
    .uniform_work_group_size: 1
    .uses_dynamic_stack: false
    .vgpr_count:     0
    .vgpr_spill_count: 0
    .wavefront_size: 64
  - .agpr_count:     0
    .args:
      - .offset:         0
        .size:           48
        .value_kind:     by_value
    .group_segment_fixed_size: 0
    .kernarg_segment_align: 8
    .kernarg_segment_size: 48
    .language:       OpenCL C
    .language_version:
      - 2
      - 0
    .max_flat_workgroup_size: 512
    .name:           _ZN7rocprim17ROCPRIM_400000_NS6detail17trampoline_kernelINS0_14default_configENS1_21merge_config_selectorIsNS0_10empty_typeEEEZNS1_10merge_implIS3_N6thrust23THRUST_200600_302600_NS6detail15normal_iteratorINS9_10device_ptrIKsEEEESF_NSB_INSC_IsEEEEPS5_SI_SI_NS9_4lessIsEEEE10hipError_tPvRmT0_T1_T2_T3_T4_T5_mmT6_P12ihipStream_tbEUlT_E_NS1_11comp_targetILNS1_3genE9ELNS1_11target_archE1100ELNS1_3gpuE3ELNS1_3repE0EEENS1_30default_config_static_selectorELNS0_4arch9wavefront6targetE1EEEvSP_
    .private_segment_fixed_size: 0
    .sgpr_count:     4
    .sgpr_spill_count: 0
    .symbol:         _ZN7rocprim17ROCPRIM_400000_NS6detail17trampoline_kernelINS0_14default_configENS1_21merge_config_selectorIsNS0_10empty_typeEEEZNS1_10merge_implIS3_N6thrust23THRUST_200600_302600_NS6detail15normal_iteratorINS9_10device_ptrIKsEEEESF_NSB_INSC_IsEEEEPS5_SI_SI_NS9_4lessIsEEEE10hipError_tPvRmT0_T1_T2_T3_T4_T5_mmT6_P12ihipStream_tbEUlT_E_NS1_11comp_targetILNS1_3genE9ELNS1_11target_archE1100ELNS1_3gpuE3ELNS1_3repE0EEENS1_30default_config_static_selectorELNS0_4arch9wavefront6targetE1EEEvSP_.kd
    .uniform_work_group_size: 1
    .uses_dynamic_stack: false
    .vgpr_count:     0
    .vgpr_spill_count: 0
    .wavefront_size: 64
  - .agpr_count:     0
    .args:
      - .offset:         0
        .size:           48
        .value_kind:     by_value
    .group_segment_fixed_size: 0
    .kernarg_segment_align: 8
    .kernarg_segment_size: 48
    .language:       OpenCL C
    .language_version:
      - 2
      - 0
    .max_flat_workgroup_size: 256
    .name:           _ZN7rocprim17ROCPRIM_400000_NS6detail17trampoline_kernelINS0_14default_configENS1_21merge_config_selectorIsNS0_10empty_typeEEEZNS1_10merge_implIS3_N6thrust23THRUST_200600_302600_NS6detail15normal_iteratorINS9_10device_ptrIKsEEEESF_NSB_INSC_IsEEEEPS5_SI_SI_NS9_4lessIsEEEE10hipError_tPvRmT0_T1_T2_T3_T4_T5_mmT6_P12ihipStream_tbEUlT_E_NS1_11comp_targetILNS1_3genE8ELNS1_11target_archE1030ELNS1_3gpuE2ELNS1_3repE0EEENS1_30default_config_static_selectorELNS0_4arch9wavefront6targetE1EEEvSP_
    .private_segment_fixed_size: 0
    .sgpr_count:     4
    .sgpr_spill_count: 0
    .symbol:         _ZN7rocprim17ROCPRIM_400000_NS6detail17trampoline_kernelINS0_14default_configENS1_21merge_config_selectorIsNS0_10empty_typeEEEZNS1_10merge_implIS3_N6thrust23THRUST_200600_302600_NS6detail15normal_iteratorINS9_10device_ptrIKsEEEESF_NSB_INSC_IsEEEEPS5_SI_SI_NS9_4lessIsEEEE10hipError_tPvRmT0_T1_T2_T3_T4_T5_mmT6_P12ihipStream_tbEUlT_E_NS1_11comp_targetILNS1_3genE8ELNS1_11target_archE1030ELNS1_3gpuE2ELNS1_3repE0EEENS1_30default_config_static_selectorELNS0_4arch9wavefront6targetE1EEEvSP_.kd
    .uniform_work_group_size: 1
    .uses_dynamic_stack: false
    .vgpr_count:     0
    .vgpr_spill_count: 0
    .wavefront_size: 64
  - .agpr_count:     0
    .args:
      - .offset:         0
        .size:           88
        .value_kind:     by_value
    .group_segment_fixed_size: 0
    .kernarg_segment_align: 8
    .kernarg_segment_size: 88
    .language:       OpenCL C
    .language_version:
      - 2
      - 0
    .max_flat_workgroup_size: 512
    .name:           _ZN7rocprim17ROCPRIM_400000_NS6detail17trampoline_kernelINS0_14default_configENS1_21merge_config_selectorIsNS0_10empty_typeEEEZNS1_10merge_implIS3_N6thrust23THRUST_200600_302600_NS6detail15normal_iteratorINS9_10device_ptrIKsEEEESF_NSB_INSC_IsEEEEPS5_SI_SI_NS9_4lessIsEEEE10hipError_tPvRmT0_T1_T2_T3_T4_T5_mmT6_P12ihipStream_tbEUlT_E0_NS1_11comp_targetILNS1_3genE0ELNS1_11target_archE4294967295ELNS1_3gpuE0ELNS1_3repE0EEENS1_30default_config_static_selectorELNS0_4arch9wavefront6targetE1EEEvSP_
    .private_segment_fixed_size: 0
    .sgpr_count:     4
    .sgpr_spill_count: 0
    .symbol:         _ZN7rocprim17ROCPRIM_400000_NS6detail17trampoline_kernelINS0_14default_configENS1_21merge_config_selectorIsNS0_10empty_typeEEEZNS1_10merge_implIS3_N6thrust23THRUST_200600_302600_NS6detail15normal_iteratorINS9_10device_ptrIKsEEEESF_NSB_INSC_IsEEEEPS5_SI_SI_NS9_4lessIsEEEE10hipError_tPvRmT0_T1_T2_T3_T4_T5_mmT6_P12ihipStream_tbEUlT_E0_NS1_11comp_targetILNS1_3genE0ELNS1_11target_archE4294967295ELNS1_3gpuE0ELNS1_3repE0EEENS1_30default_config_static_selectorELNS0_4arch9wavefront6targetE1EEEvSP_.kd
    .uniform_work_group_size: 1
    .uses_dynamic_stack: false
    .vgpr_count:     0
    .vgpr_spill_count: 0
    .wavefront_size: 64
  - .agpr_count:     0
    .args:
      - .offset:         0
        .size:           88
        .value_kind:     by_value
    .group_segment_fixed_size: 0
    .kernarg_segment_align: 8
    .kernarg_segment_size: 88
    .language:       OpenCL C
    .language_version:
      - 2
      - 0
    .max_flat_workgroup_size: 256
    .name:           _ZN7rocprim17ROCPRIM_400000_NS6detail17trampoline_kernelINS0_14default_configENS1_21merge_config_selectorIsNS0_10empty_typeEEEZNS1_10merge_implIS3_N6thrust23THRUST_200600_302600_NS6detail15normal_iteratorINS9_10device_ptrIKsEEEESF_NSB_INSC_IsEEEEPS5_SI_SI_NS9_4lessIsEEEE10hipError_tPvRmT0_T1_T2_T3_T4_T5_mmT6_P12ihipStream_tbEUlT_E0_NS1_11comp_targetILNS1_3genE5ELNS1_11target_archE942ELNS1_3gpuE9ELNS1_3repE0EEENS1_30default_config_static_selectorELNS0_4arch9wavefront6targetE1EEEvSP_
    .private_segment_fixed_size: 0
    .sgpr_count:     4
    .sgpr_spill_count: 0
    .symbol:         _ZN7rocprim17ROCPRIM_400000_NS6detail17trampoline_kernelINS0_14default_configENS1_21merge_config_selectorIsNS0_10empty_typeEEEZNS1_10merge_implIS3_N6thrust23THRUST_200600_302600_NS6detail15normal_iteratorINS9_10device_ptrIKsEEEESF_NSB_INSC_IsEEEEPS5_SI_SI_NS9_4lessIsEEEE10hipError_tPvRmT0_T1_T2_T3_T4_T5_mmT6_P12ihipStream_tbEUlT_E0_NS1_11comp_targetILNS1_3genE5ELNS1_11target_archE942ELNS1_3gpuE9ELNS1_3repE0EEENS1_30default_config_static_selectorELNS0_4arch9wavefront6targetE1EEEvSP_.kd
    .uniform_work_group_size: 1
    .uses_dynamic_stack: false
    .vgpr_count:     0
    .vgpr_spill_count: 0
    .wavefront_size: 64
  - .agpr_count:     0
    .args:
      - .offset:         0
        .size:           88
        .value_kind:     by_value
    .group_segment_fixed_size: 8448
    .kernarg_segment_align: 8
    .kernarg_segment_size: 88
    .language:       OpenCL C
    .language_version:
      - 2
      - 0
    .max_flat_workgroup_size: 256
    .name:           _ZN7rocprim17ROCPRIM_400000_NS6detail17trampoline_kernelINS0_14default_configENS1_21merge_config_selectorIsNS0_10empty_typeEEEZNS1_10merge_implIS3_N6thrust23THRUST_200600_302600_NS6detail15normal_iteratorINS9_10device_ptrIKsEEEESF_NSB_INSC_IsEEEEPS5_SI_SI_NS9_4lessIsEEEE10hipError_tPvRmT0_T1_T2_T3_T4_T5_mmT6_P12ihipStream_tbEUlT_E0_NS1_11comp_targetILNS1_3genE4ELNS1_11target_archE910ELNS1_3gpuE8ELNS1_3repE0EEENS1_30default_config_static_selectorELNS0_4arch9wavefront6targetE1EEEvSP_
    .private_segment_fixed_size: 0
    .sgpr_count:     40
    .sgpr_spill_count: 0
    .symbol:         _ZN7rocprim17ROCPRIM_400000_NS6detail17trampoline_kernelINS0_14default_configENS1_21merge_config_selectorIsNS0_10empty_typeEEEZNS1_10merge_implIS3_N6thrust23THRUST_200600_302600_NS6detail15normal_iteratorINS9_10device_ptrIKsEEEESF_NSB_INSC_IsEEEEPS5_SI_SI_NS9_4lessIsEEEE10hipError_tPvRmT0_T1_T2_T3_T4_T5_mmT6_P12ihipStream_tbEUlT_E0_NS1_11comp_targetILNS1_3genE4ELNS1_11target_archE910ELNS1_3gpuE8ELNS1_3repE0EEENS1_30default_config_static_selectorELNS0_4arch9wavefront6targetE1EEEvSP_.kd
    .uniform_work_group_size: 1
    .uses_dynamic_stack: false
    .vgpr_count:     50
    .vgpr_spill_count: 0
    .wavefront_size: 64
  - .agpr_count:     0
    .args:
      - .offset:         0
        .size:           88
        .value_kind:     by_value
    .group_segment_fixed_size: 0
    .kernarg_segment_align: 8
    .kernarg_segment_size: 88
    .language:       OpenCL C
    .language_version:
      - 2
      - 0
    .max_flat_workgroup_size: 512
    .name:           _ZN7rocprim17ROCPRIM_400000_NS6detail17trampoline_kernelINS0_14default_configENS1_21merge_config_selectorIsNS0_10empty_typeEEEZNS1_10merge_implIS3_N6thrust23THRUST_200600_302600_NS6detail15normal_iteratorINS9_10device_ptrIKsEEEESF_NSB_INSC_IsEEEEPS5_SI_SI_NS9_4lessIsEEEE10hipError_tPvRmT0_T1_T2_T3_T4_T5_mmT6_P12ihipStream_tbEUlT_E0_NS1_11comp_targetILNS1_3genE3ELNS1_11target_archE908ELNS1_3gpuE7ELNS1_3repE0EEENS1_30default_config_static_selectorELNS0_4arch9wavefront6targetE1EEEvSP_
    .private_segment_fixed_size: 0
    .sgpr_count:     4
    .sgpr_spill_count: 0
    .symbol:         _ZN7rocprim17ROCPRIM_400000_NS6detail17trampoline_kernelINS0_14default_configENS1_21merge_config_selectorIsNS0_10empty_typeEEEZNS1_10merge_implIS3_N6thrust23THRUST_200600_302600_NS6detail15normal_iteratorINS9_10device_ptrIKsEEEESF_NSB_INSC_IsEEEEPS5_SI_SI_NS9_4lessIsEEEE10hipError_tPvRmT0_T1_T2_T3_T4_T5_mmT6_P12ihipStream_tbEUlT_E0_NS1_11comp_targetILNS1_3genE3ELNS1_11target_archE908ELNS1_3gpuE7ELNS1_3repE0EEENS1_30default_config_static_selectorELNS0_4arch9wavefront6targetE1EEEvSP_.kd
    .uniform_work_group_size: 1
    .uses_dynamic_stack: false
    .vgpr_count:     0
    .vgpr_spill_count: 0
    .wavefront_size: 64
  - .agpr_count:     0
    .args:
      - .offset:         0
        .size:           88
        .value_kind:     by_value
    .group_segment_fixed_size: 0
    .kernarg_segment_align: 8
    .kernarg_segment_size: 88
    .language:       OpenCL C
    .language_version:
      - 2
      - 0
    .max_flat_workgroup_size: 256
    .name:           _ZN7rocprim17ROCPRIM_400000_NS6detail17trampoline_kernelINS0_14default_configENS1_21merge_config_selectorIsNS0_10empty_typeEEEZNS1_10merge_implIS3_N6thrust23THRUST_200600_302600_NS6detail15normal_iteratorINS9_10device_ptrIKsEEEESF_NSB_INSC_IsEEEEPS5_SI_SI_NS9_4lessIsEEEE10hipError_tPvRmT0_T1_T2_T3_T4_T5_mmT6_P12ihipStream_tbEUlT_E0_NS1_11comp_targetILNS1_3genE2ELNS1_11target_archE906ELNS1_3gpuE6ELNS1_3repE0EEENS1_30default_config_static_selectorELNS0_4arch9wavefront6targetE1EEEvSP_
    .private_segment_fixed_size: 0
    .sgpr_count:     4
    .sgpr_spill_count: 0
    .symbol:         _ZN7rocprim17ROCPRIM_400000_NS6detail17trampoline_kernelINS0_14default_configENS1_21merge_config_selectorIsNS0_10empty_typeEEEZNS1_10merge_implIS3_N6thrust23THRUST_200600_302600_NS6detail15normal_iteratorINS9_10device_ptrIKsEEEESF_NSB_INSC_IsEEEEPS5_SI_SI_NS9_4lessIsEEEE10hipError_tPvRmT0_T1_T2_T3_T4_T5_mmT6_P12ihipStream_tbEUlT_E0_NS1_11comp_targetILNS1_3genE2ELNS1_11target_archE906ELNS1_3gpuE6ELNS1_3repE0EEENS1_30default_config_static_selectorELNS0_4arch9wavefront6targetE1EEEvSP_.kd
    .uniform_work_group_size: 1
    .uses_dynamic_stack: false
    .vgpr_count:     0
    .vgpr_spill_count: 0
    .wavefront_size: 64
  - .agpr_count:     0
    .args:
      - .offset:         0
        .size:           88
        .value_kind:     by_value
    .group_segment_fixed_size: 0
    .kernarg_segment_align: 8
    .kernarg_segment_size: 88
    .language:       OpenCL C
    .language_version:
      - 2
      - 0
    .max_flat_workgroup_size: 512
    .name:           _ZN7rocprim17ROCPRIM_400000_NS6detail17trampoline_kernelINS0_14default_configENS1_21merge_config_selectorIsNS0_10empty_typeEEEZNS1_10merge_implIS3_N6thrust23THRUST_200600_302600_NS6detail15normal_iteratorINS9_10device_ptrIKsEEEESF_NSB_INSC_IsEEEEPS5_SI_SI_NS9_4lessIsEEEE10hipError_tPvRmT0_T1_T2_T3_T4_T5_mmT6_P12ihipStream_tbEUlT_E0_NS1_11comp_targetILNS1_3genE10ELNS1_11target_archE1201ELNS1_3gpuE5ELNS1_3repE0EEENS1_30default_config_static_selectorELNS0_4arch9wavefront6targetE1EEEvSP_
    .private_segment_fixed_size: 0
    .sgpr_count:     4
    .sgpr_spill_count: 0
    .symbol:         _ZN7rocprim17ROCPRIM_400000_NS6detail17trampoline_kernelINS0_14default_configENS1_21merge_config_selectorIsNS0_10empty_typeEEEZNS1_10merge_implIS3_N6thrust23THRUST_200600_302600_NS6detail15normal_iteratorINS9_10device_ptrIKsEEEESF_NSB_INSC_IsEEEEPS5_SI_SI_NS9_4lessIsEEEE10hipError_tPvRmT0_T1_T2_T3_T4_T5_mmT6_P12ihipStream_tbEUlT_E0_NS1_11comp_targetILNS1_3genE10ELNS1_11target_archE1201ELNS1_3gpuE5ELNS1_3repE0EEENS1_30default_config_static_selectorELNS0_4arch9wavefront6targetE1EEEvSP_.kd
    .uniform_work_group_size: 1
    .uses_dynamic_stack: false
    .vgpr_count:     0
    .vgpr_spill_count: 0
    .wavefront_size: 64
  - .agpr_count:     0
    .args:
      - .offset:         0
        .size:           88
        .value_kind:     by_value
    .group_segment_fixed_size: 0
    .kernarg_segment_align: 8
    .kernarg_segment_size: 88
    .language:       OpenCL C
    .language_version:
      - 2
      - 0
    .max_flat_workgroup_size: 512
    .name:           _ZN7rocprim17ROCPRIM_400000_NS6detail17trampoline_kernelINS0_14default_configENS1_21merge_config_selectorIsNS0_10empty_typeEEEZNS1_10merge_implIS3_N6thrust23THRUST_200600_302600_NS6detail15normal_iteratorINS9_10device_ptrIKsEEEESF_NSB_INSC_IsEEEEPS5_SI_SI_NS9_4lessIsEEEE10hipError_tPvRmT0_T1_T2_T3_T4_T5_mmT6_P12ihipStream_tbEUlT_E0_NS1_11comp_targetILNS1_3genE10ELNS1_11target_archE1200ELNS1_3gpuE4ELNS1_3repE0EEENS1_30default_config_static_selectorELNS0_4arch9wavefront6targetE1EEEvSP_
    .private_segment_fixed_size: 0
    .sgpr_count:     4
    .sgpr_spill_count: 0
    .symbol:         _ZN7rocprim17ROCPRIM_400000_NS6detail17trampoline_kernelINS0_14default_configENS1_21merge_config_selectorIsNS0_10empty_typeEEEZNS1_10merge_implIS3_N6thrust23THRUST_200600_302600_NS6detail15normal_iteratorINS9_10device_ptrIKsEEEESF_NSB_INSC_IsEEEEPS5_SI_SI_NS9_4lessIsEEEE10hipError_tPvRmT0_T1_T2_T3_T4_T5_mmT6_P12ihipStream_tbEUlT_E0_NS1_11comp_targetILNS1_3genE10ELNS1_11target_archE1200ELNS1_3gpuE4ELNS1_3repE0EEENS1_30default_config_static_selectorELNS0_4arch9wavefront6targetE1EEEvSP_.kd
    .uniform_work_group_size: 1
    .uses_dynamic_stack: false
    .vgpr_count:     0
    .vgpr_spill_count: 0
    .wavefront_size: 64
  - .agpr_count:     0
    .args:
      - .offset:         0
        .size:           88
        .value_kind:     by_value
    .group_segment_fixed_size: 0
    .kernarg_segment_align: 8
    .kernarg_segment_size: 88
    .language:       OpenCL C
    .language_version:
      - 2
      - 0
    .max_flat_workgroup_size: 512
    .name:           _ZN7rocprim17ROCPRIM_400000_NS6detail17trampoline_kernelINS0_14default_configENS1_21merge_config_selectorIsNS0_10empty_typeEEEZNS1_10merge_implIS3_N6thrust23THRUST_200600_302600_NS6detail15normal_iteratorINS9_10device_ptrIKsEEEESF_NSB_INSC_IsEEEEPS5_SI_SI_NS9_4lessIsEEEE10hipError_tPvRmT0_T1_T2_T3_T4_T5_mmT6_P12ihipStream_tbEUlT_E0_NS1_11comp_targetILNS1_3genE9ELNS1_11target_archE1100ELNS1_3gpuE3ELNS1_3repE0EEENS1_30default_config_static_selectorELNS0_4arch9wavefront6targetE1EEEvSP_
    .private_segment_fixed_size: 0
    .sgpr_count:     4
    .sgpr_spill_count: 0
    .symbol:         _ZN7rocprim17ROCPRIM_400000_NS6detail17trampoline_kernelINS0_14default_configENS1_21merge_config_selectorIsNS0_10empty_typeEEEZNS1_10merge_implIS3_N6thrust23THRUST_200600_302600_NS6detail15normal_iteratorINS9_10device_ptrIKsEEEESF_NSB_INSC_IsEEEEPS5_SI_SI_NS9_4lessIsEEEE10hipError_tPvRmT0_T1_T2_T3_T4_T5_mmT6_P12ihipStream_tbEUlT_E0_NS1_11comp_targetILNS1_3genE9ELNS1_11target_archE1100ELNS1_3gpuE3ELNS1_3repE0EEENS1_30default_config_static_selectorELNS0_4arch9wavefront6targetE1EEEvSP_.kd
    .uniform_work_group_size: 1
    .uses_dynamic_stack: false
    .vgpr_count:     0
    .vgpr_spill_count: 0
    .wavefront_size: 64
  - .agpr_count:     0
    .args:
      - .offset:         0
        .size:           88
        .value_kind:     by_value
    .group_segment_fixed_size: 0
    .kernarg_segment_align: 8
    .kernarg_segment_size: 88
    .language:       OpenCL C
    .language_version:
      - 2
      - 0
    .max_flat_workgroup_size: 256
    .name:           _ZN7rocprim17ROCPRIM_400000_NS6detail17trampoline_kernelINS0_14default_configENS1_21merge_config_selectorIsNS0_10empty_typeEEEZNS1_10merge_implIS3_N6thrust23THRUST_200600_302600_NS6detail15normal_iteratorINS9_10device_ptrIKsEEEESF_NSB_INSC_IsEEEEPS5_SI_SI_NS9_4lessIsEEEE10hipError_tPvRmT0_T1_T2_T3_T4_T5_mmT6_P12ihipStream_tbEUlT_E0_NS1_11comp_targetILNS1_3genE8ELNS1_11target_archE1030ELNS1_3gpuE2ELNS1_3repE0EEENS1_30default_config_static_selectorELNS0_4arch9wavefront6targetE1EEEvSP_
    .private_segment_fixed_size: 0
    .sgpr_count:     4
    .sgpr_spill_count: 0
    .symbol:         _ZN7rocprim17ROCPRIM_400000_NS6detail17trampoline_kernelINS0_14default_configENS1_21merge_config_selectorIsNS0_10empty_typeEEEZNS1_10merge_implIS3_N6thrust23THRUST_200600_302600_NS6detail15normal_iteratorINS9_10device_ptrIKsEEEESF_NSB_INSC_IsEEEEPS5_SI_SI_NS9_4lessIsEEEE10hipError_tPvRmT0_T1_T2_T3_T4_T5_mmT6_P12ihipStream_tbEUlT_E0_NS1_11comp_targetILNS1_3genE8ELNS1_11target_archE1030ELNS1_3gpuE2ELNS1_3repE0EEENS1_30default_config_static_selectorELNS0_4arch9wavefront6targetE1EEEvSP_.kd
    .uniform_work_group_size: 1
    .uses_dynamic_stack: false
    .vgpr_count:     0
    .vgpr_spill_count: 0
    .wavefront_size: 64
  - .agpr_count:     0
    .args:
      - .offset:         0
        .size:           104
        .value_kind:     by_value
    .group_segment_fixed_size: 0
    .kernarg_segment_align: 8
    .kernarg_segment_size: 104
    .language:       OpenCL C
    .language_version:
      - 2
      - 0
    .max_flat_workgroup_size: 128
    .name:           _ZN7rocprim17ROCPRIM_400000_NS6detail17trampoline_kernelINS0_14default_configENS1_22reduce_config_selectorIN6thrust23THRUST_200600_302600_NS5tupleIblNS6_9null_typeES8_S8_S8_S8_S8_S8_S8_EEEEZNS1_11reduce_implILb1ES3_NS6_12zip_iteratorINS7_INS6_11hip_rocprim26transform_input_iterator_tIbNSD_35transform_pair_of_input_iterators_tIbNS6_6detail15normal_iteratorINS6_10device_ptrIKsEEEESL_NS6_8equal_toIsEEEENSG_9not_fun_tINSD_8identityEEEEENSD_19counting_iterator_tIlEES8_S8_S8_S8_S8_S8_S8_S8_EEEEPS9_S9_NSD_9__find_if7functorIS9_EEEE10hipError_tPvRmT1_T2_T3_mT4_P12ihipStream_tbEUlT_E0_NS1_11comp_targetILNS1_3genE0ELNS1_11target_archE4294967295ELNS1_3gpuE0ELNS1_3repE0EEENS1_30default_config_static_selectorELNS0_4arch9wavefront6targetE1EEEvS14_
    .private_segment_fixed_size: 0
    .sgpr_count:     4
    .sgpr_spill_count: 0
    .symbol:         _ZN7rocprim17ROCPRIM_400000_NS6detail17trampoline_kernelINS0_14default_configENS1_22reduce_config_selectorIN6thrust23THRUST_200600_302600_NS5tupleIblNS6_9null_typeES8_S8_S8_S8_S8_S8_S8_EEEEZNS1_11reduce_implILb1ES3_NS6_12zip_iteratorINS7_INS6_11hip_rocprim26transform_input_iterator_tIbNSD_35transform_pair_of_input_iterators_tIbNS6_6detail15normal_iteratorINS6_10device_ptrIKsEEEESL_NS6_8equal_toIsEEEENSG_9not_fun_tINSD_8identityEEEEENSD_19counting_iterator_tIlEES8_S8_S8_S8_S8_S8_S8_S8_EEEEPS9_S9_NSD_9__find_if7functorIS9_EEEE10hipError_tPvRmT1_T2_T3_mT4_P12ihipStream_tbEUlT_E0_NS1_11comp_targetILNS1_3genE0ELNS1_11target_archE4294967295ELNS1_3gpuE0ELNS1_3repE0EEENS1_30default_config_static_selectorELNS0_4arch9wavefront6targetE1EEEvS14_.kd
    .uniform_work_group_size: 1
    .uses_dynamic_stack: false
    .vgpr_count:     0
    .vgpr_spill_count: 0
    .wavefront_size: 64
  - .agpr_count:     0
    .args:
      - .offset:         0
        .size:           104
        .value_kind:     by_value
    .group_segment_fixed_size: 0
    .kernarg_segment_align: 8
    .kernarg_segment_size: 104
    .language:       OpenCL C
    .language_version:
      - 2
      - 0
    .max_flat_workgroup_size: 256
    .name:           _ZN7rocprim17ROCPRIM_400000_NS6detail17trampoline_kernelINS0_14default_configENS1_22reduce_config_selectorIN6thrust23THRUST_200600_302600_NS5tupleIblNS6_9null_typeES8_S8_S8_S8_S8_S8_S8_EEEEZNS1_11reduce_implILb1ES3_NS6_12zip_iteratorINS7_INS6_11hip_rocprim26transform_input_iterator_tIbNSD_35transform_pair_of_input_iterators_tIbNS6_6detail15normal_iteratorINS6_10device_ptrIKsEEEESL_NS6_8equal_toIsEEEENSG_9not_fun_tINSD_8identityEEEEENSD_19counting_iterator_tIlEES8_S8_S8_S8_S8_S8_S8_S8_EEEEPS9_S9_NSD_9__find_if7functorIS9_EEEE10hipError_tPvRmT1_T2_T3_mT4_P12ihipStream_tbEUlT_E0_NS1_11comp_targetILNS1_3genE5ELNS1_11target_archE942ELNS1_3gpuE9ELNS1_3repE0EEENS1_30default_config_static_selectorELNS0_4arch9wavefront6targetE1EEEvS14_
    .private_segment_fixed_size: 0
    .sgpr_count:     4
    .sgpr_spill_count: 0
    .symbol:         _ZN7rocprim17ROCPRIM_400000_NS6detail17trampoline_kernelINS0_14default_configENS1_22reduce_config_selectorIN6thrust23THRUST_200600_302600_NS5tupleIblNS6_9null_typeES8_S8_S8_S8_S8_S8_S8_EEEEZNS1_11reduce_implILb1ES3_NS6_12zip_iteratorINS7_INS6_11hip_rocprim26transform_input_iterator_tIbNSD_35transform_pair_of_input_iterators_tIbNS6_6detail15normal_iteratorINS6_10device_ptrIKsEEEESL_NS6_8equal_toIsEEEENSG_9not_fun_tINSD_8identityEEEEENSD_19counting_iterator_tIlEES8_S8_S8_S8_S8_S8_S8_S8_EEEEPS9_S9_NSD_9__find_if7functorIS9_EEEE10hipError_tPvRmT1_T2_T3_mT4_P12ihipStream_tbEUlT_E0_NS1_11comp_targetILNS1_3genE5ELNS1_11target_archE942ELNS1_3gpuE9ELNS1_3repE0EEENS1_30default_config_static_selectorELNS0_4arch9wavefront6targetE1EEEvS14_.kd
    .uniform_work_group_size: 1
    .uses_dynamic_stack: false
    .vgpr_count:     0
    .vgpr_spill_count: 0
    .wavefront_size: 64
  - .agpr_count:     0
    .args:
      - .offset:         0
        .size:           104
        .value_kind:     by_value
    .group_segment_fixed_size: 128
    .kernarg_segment_align: 8
    .kernarg_segment_size: 104
    .language:       OpenCL C
    .language_version:
      - 2
      - 0
    .max_flat_workgroup_size: 256
    .name:           _ZN7rocprim17ROCPRIM_400000_NS6detail17trampoline_kernelINS0_14default_configENS1_22reduce_config_selectorIN6thrust23THRUST_200600_302600_NS5tupleIblNS6_9null_typeES8_S8_S8_S8_S8_S8_S8_EEEEZNS1_11reduce_implILb1ES3_NS6_12zip_iteratorINS7_INS6_11hip_rocprim26transform_input_iterator_tIbNSD_35transform_pair_of_input_iterators_tIbNS6_6detail15normal_iteratorINS6_10device_ptrIKsEEEESL_NS6_8equal_toIsEEEENSG_9not_fun_tINSD_8identityEEEEENSD_19counting_iterator_tIlEES8_S8_S8_S8_S8_S8_S8_S8_EEEEPS9_S9_NSD_9__find_if7functorIS9_EEEE10hipError_tPvRmT1_T2_T3_mT4_P12ihipStream_tbEUlT_E0_NS1_11comp_targetILNS1_3genE4ELNS1_11target_archE910ELNS1_3gpuE8ELNS1_3repE0EEENS1_30default_config_static_selectorELNS0_4arch9wavefront6targetE1EEEvS14_
    .private_segment_fixed_size: 0
    .sgpr_count:     32
    .sgpr_spill_count: 0
    .symbol:         _ZN7rocprim17ROCPRIM_400000_NS6detail17trampoline_kernelINS0_14default_configENS1_22reduce_config_selectorIN6thrust23THRUST_200600_302600_NS5tupleIblNS6_9null_typeES8_S8_S8_S8_S8_S8_S8_EEEEZNS1_11reduce_implILb1ES3_NS6_12zip_iteratorINS7_INS6_11hip_rocprim26transform_input_iterator_tIbNSD_35transform_pair_of_input_iterators_tIbNS6_6detail15normal_iteratorINS6_10device_ptrIKsEEEESL_NS6_8equal_toIsEEEENSG_9not_fun_tINSD_8identityEEEEENSD_19counting_iterator_tIlEES8_S8_S8_S8_S8_S8_S8_S8_EEEEPS9_S9_NSD_9__find_if7functorIS9_EEEE10hipError_tPvRmT1_T2_T3_mT4_P12ihipStream_tbEUlT_E0_NS1_11comp_targetILNS1_3genE4ELNS1_11target_archE910ELNS1_3gpuE8ELNS1_3repE0EEENS1_30default_config_static_selectorELNS0_4arch9wavefront6targetE1EEEvS14_.kd
    .uniform_work_group_size: 1
    .uses_dynamic_stack: false
    .vgpr_count:     12
    .vgpr_spill_count: 0
    .wavefront_size: 64
  - .agpr_count:     0
    .args:
      - .offset:         0
        .size:           104
        .value_kind:     by_value
    .group_segment_fixed_size: 0
    .kernarg_segment_align: 8
    .kernarg_segment_size: 104
    .language:       OpenCL C
    .language_version:
      - 2
      - 0
    .max_flat_workgroup_size: 128
    .name:           _ZN7rocprim17ROCPRIM_400000_NS6detail17trampoline_kernelINS0_14default_configENS1_22reduce_config_selectorIN6thrust23THRUST_200600_302600_NS5tupleIblNS6_9null_typeES8_S8_S8_S8_S8_S8_S8_EEEEZNS1_11reduce_implILb1ES3_NS6_12zip_iteratorINS7_INS6_11hip_rocprim26transform_input_iterator_tIbNSD_35transform_pair_of_input_iterators_tIbNS6_6detail15normal_iteratorINS6_10device_ptrIKsEEEESL_NS6_8equal_toIsEEEENSG_9not_fun_tINSD_8identityEEEEENSD_19counting_iterator_tIlEES8_S8_S8_S8_S8_S8_S8_S8_EEEEPS9_S9_NSD_9__find_if7functorIS9_EEEE10hipError_tPvRmT1_T2_T3_mT4_P12ihipStream_tbEUlT_E0_NS1_11comp_targetILNS1_3genE3ELNS1_11target_archE908ELNS1_3gpuE7ELNS1_3repE0EEENS1_30default_config_static_selectorELNS0_4arch9wavefront6targetE1EEEvS14_
    .private_segment_fixed_size: 0
    .sgpr_count:     4
    .sgpr_spill_count: 0
    .symbol:         _ZN7rocprim17ROCPRIM_400000_NS6detail17trampoline_kernelINS0_14default_configENS1_22reduce_config_selectorIN6thrust23THRUST_200600_302600_NS5tupleIblNS6_9null_typeES8_S8_S8_S8_S8_S8_S8_EEEEZNS1_11reduce_implILb1ES3_NS6_12zip_iteratorINS7_INS6_11hip_rocprim26transform_input_iterator_tIbNSD_35transform_pair_of_input_iterators_tIbNS6_6detail15normal_iteratorINS6_10device_ptrIKsEEEESL_NS6_8equal_toIsEEEENSG_9not_fun_tINSD_8identityEEEEENSD_19counting_iterator_tIlEES8_S8_S8_S8_S8_S8_S8_S8_EEEEPS9_S9_NSD_9__find_if7functorIS9_EEEE10hipError_tPvRmT1_T2_T3_mT4_P12ihipStream_tbEUlT_E0_NS1_11comp_targetILNS1_3genE3ELNS1_11target_archE908ELNS1_3gpuE7ELNS1_3repE0EEENS1_30default_config_static_selectorELNS0_4arch9wavefront6targetE1EEEvS14_.kd
    .uniform_work_group_size: 1
    .uses_dynamic_stack: false
    .vgpr_count:     0
    .vgpr_spill_count: 0
    .wavefront_size: 64
  - .agpr_count:     0
    .args:
      - .offset:         0
        .size:           104
        .value_kind:     by_value
    .group_segment_fixed_size: 0
    .kernarg_segment_align: 8
    .kernarg_segment_size: 104
    .language:       OpenCL C
    .language_version:
      - 2
      - 0
    .max_flat_workgroup_size: 128
    .name:           _ZN7rocprim17ROCPRIM_400000_NS6detail17trampoline_kernelINS0_14default_configENS1_22reduce_config_selectorIN6thrust23THRUST_200600_302600_NS5tupleIblNS6_9null_typeES8_S8_S8_S8_S8_S8_S8_EEEEZNS1_11reduce_implILb1ES3_NS6_12zip_iteratorINS7_INS6_11hip_rocprim26transform_input_iterator_tIbNSD_35transform_pair_of_input_iterators_tIbNS6_6detail15normal_iteratorINS6_10device_ptrIKsEEEESL_NS6_8equal_toIsEEEENSG_9not_fun_tINSD_8identityEEEEENSD_19counting_iterator_tIlEES8_S8_S8_S8_S8_S8_S8_S8_EEEEPS9_S9_NSD_9__find_if7functorIS9_EEEE10hipError_tPvRmT1_T2_T3_mT4_P12ihipStream_tbEUlT_E0_NS1_11comp_targetILNS1_3genE2ELNS1_11target_archE906ELNS1_3gpuE6ELNS1_3repE0EEENS1_30default_config_static_selectorELNS0_4arch9wavefront6targetE1EEEvS14_
    .private_segment_fixed_size: 0
    .sgpr_count:     4
    .sgpr_spill_count: 0
    .symbol:         _ZN7rocprim17ROCPRIM_400000_NS6detail17trampoline_kernelINS0_14default_configENS1_22reduce_config_selectorIN6thrust23THRUST_200600_302600_NS5tupleIblNS6_9null_typeES8_S8_S8_S8_S8_S8_S8_EEEEZNS1_11reduce_implILb1ES3_NS6_12zip_iteratorINS7_INS6_11hip_rocprim26transform_input_iterator_tIbNSD_35transform_pair_of_input_iterators_tIbNS6_6detail15normal_iteratorINS6_10device_ptrIKsEEEESL_NS6_8equal_toIsEEEENSG_9not_fun_tINSD_8identityEEEEENSD_19counting_iterator_tIlEES8_S8_S8_S8_S8_S8_S8_S8_EEEEPS9_S9_NSD_9__find_if7functorIS9_EEEE10hipError_tPvRmT1_T2_T3_mT4_P12ihipStream_tbEUlT_E0_NS1_11comp_targetILNS1_3genE2ELNS1_11target_archE906ELNS1_3gpuE6ELNS1_3repE0EEENS1_30default_config_static_selectorELNS0_4arch9wavefront6targetE1EEEvS14_.kd
    .uniform_work_group_size: 1
    .uses_dynamic_stack: false
    .vgpr_count:     0
    .vgpr_spill_count: 0
    .wavefront_size: 64
  - .agpr_count:     0
    .args:
      - .offset:         0
        .size:           104
        .value_kind:     by_value
    .group_segment_fixed_size: 0
    .kernarg_segment_align: 8
    .kernarg_segment_size: 104
    .language:       OpenCL C
    .language_version:
      - 2
      - 0
    .max_flat_workgroup_size: 256
    .name:           _ZN7rocprim17ROCPRIM_400000_NS6detail17trampoline_kernelINS0_14default_configENS1_22reduce_config_selectorIN6thrust23THRUST_200600_302600_NS5tupleIblNS6_9null_typeES8_S8_S8_S8_S8_S8_S8_EEEEZNS1_11reduce_implILb1ES3_NS6_12zip_iteratorINS7_INS6_11hip_rocprim26transform_input_iterator_tIbNSD_35transform_pair_of_input_iterators_tIbNS6_6detail15normal_iteratorINS6_10device_ptrIKsEEEESL_NS6_8equal_toIsEEEENSG_9not_fun_tINSD_8identityEEEEENSD_19counting_iterator_tIlEES8_S8_S8_S8_S8_S8_S8_S8_EEEEPS9_S9_NSD_9__find_if7functorIS9_EEEE10hipError_tPvRmT1_T2_T3_mT4_P12ihipStream_tbEUlT_E0_NS1_11comp_targetILNS1_3genE10ELNS1_11target_archE1201ELNS1_3gpuE5ELNS1_3repE0EEENS1_30default_config_static_selectorELNS0_4arch9wavefront6targetE1EEEvS14_
    .private_segment_fixed_size: 0
    .sgpr_count:     4
    .sgpr_spill_count: 0
    .symbol:         _ZN7rocprim17ROCPRIM_400000_NS6detail17trampoline_kernelINS0_14default_configENS1_22reduce_config_selectorIN6thrust23THRUST_200600_302600_NS5tupleIblNS6_9null_typeES8_S8_S8_S8_S8_S8_S8_EEEEZNS1_11reduce_implILb1ES3_NS6_12zip_iteratorINS7_INS6_11hip_rocprim26transform_input_iterator_tIbNSD_35transform_pair_of_input_iterators_tIbNS6_6detail15normal_iteratorINS6_10device_ptrIKsEEEESL_NS6_8equal_toIsEEEENSG_9not_fun_tINSD_8identityEEEEENSD_19counting_iterator_tIlEES8_S8_S8_S8_S8_S8_S8_S8_EEEEPS9_S9_NSD_9__find_if7functorIS9_EEEE10hipError_tPvRmT1_T2_T3_mT4_P12ihipStream_tbEUlT_E0_NS1_11comp_targetILNS1_3genE10ELNS1_11target_archE1201ELNS1_3gpuE5ELNS1_3repE0EEENS1_30default_config_static_selectorELNS0_4arch9wavefront6targetE1EEEvS14_.kd
    .uniform_work_group_size: 1
    .uses_dynamic_stack: false
    .vgpr_count:     0
    .vgpr_spill_count: 0
    .wavefront_size: 64
  - .agpr_count:     0
    .args:
      - .offset:         0
        .size:           104
        .value_kind:     by_value
    .group_segment_fixed_size: 0
    .kernarg_segment_align: 8
    .kernarg_segment_size: 104
    .language:       OpenCL C
    .language_version:
      - 2
      - 0
    .max_flat_workgroup_size: 256
    .name:           _ZN7rocprim17ROCPRIM_400000_NS6detail17trampoline_kernelINS0_14default_configENS1_22reduce_config_selectorIN6thrust23THRUST_200600_302600_NS5tupleIblNS6_9null_typeES8_S8_S8_S8_S8_S8_S8_EEEEZNS1_11reduce_implILb1ES3_NS6_12zip_iteratorINS7_INS6_11hip_rocprim26transform_input_iterator_tIbNSD_35transform_pair_of_input_iterators_tIbNS6_6detail15normal_iteratorINS6_10device_ptrIKsEEEESL_NS6_8equal_toIsEEEENSG_9not_fun_tINSD_8identityEEEEENSD_19counting_iterator_tIlEES8_S8_S8_S8_S8_S8_S8_S8_EEEEPS9_S9_NSD_9__find_if7functorIS9_EEEE10hipError_tPvRmT1_T2_T3_mT4_P12ihipStream_tbEUlT_E0_NS1_11comp_targetILNS1_3genE10ELNS1_11target_archE1200ELNS1_3gpuE4ELNS1_3repE0EEENS1_30default_config_static_selectorELNS0_4arch9wavefront6targetE1EEEvS14_
    .private_segment_fixed_size: 0
    .sgpr_count:     4
    .sgpr_spill_count: 0
    .symbol:         _ZN7rocprim17ROCPRIM_400000_NS6detail17trampoline_kernelINS0_14default_configENS1_22reduce_config_selectorIN6thrust23THRUST_200600_302600_NS5tupleIblNS6_9null_typeES8_S8_S8_S8_S8_S8_S8_EEEEZNS1_11reduce_implILb1ES3_NS6_12zip_iteratorINS7_INS6_11hip_rocprim26transform_input_iterator_tIbNSD_35transform_pair_of_input_iterators_tIbNS6_6detail15normal_iteratorINS6_10device_ptrIKsEEEESL_NS6_8equal_toIsEEEENSG_9not_fun_tINSD_8identityEEEEENSD_19counting_iterator_tIlEES8_S8_S8_S8_S8_S8_S8_S8_EEEEPS9_S9_NSD_9__find_if7functorIS9_EEEE10hipError_tPvRmT1_T2_T3_mT4_P12ihipStream_tbEUlT_E0_NS1_11comp_targetILNS1_3genE10ELNS1_11target_archE1200ELNS1_3gpuE4ELNS1_3repE0EEENS1_30default_config_static_selectorELNS0_4arch9wavefront6targetE1EEEvS14_.kd
    .uniform_work_group_size: 1
    .uses_dynamic_stack: false
    .vgpr_count:     0
    .vgpr_spill_count: 0
    .wavefront_size: 64
  - .agpr_count:     0
    .args:
      - .offset:         0
        .size:           104
        .value_kind:     by_value
    .group_segment_fixed_size: 0
    .kernarg_segment_align: 8
    .kernarg_segment_size: 104
    .language:       OpenCL C
    .language_version:
      - 2
      - 0
    .max_flat_workgroup_size: 256
    .name:           _ZN7rocprim17ROCPRIM_400000_NS6detail17trampoline_kernelINS0_14default_configENS1_22reduce_config_selectorIN6thrust23THRUST_200600_302600_NS5tupleIblNS6_9null_typeES8_S8_S8_S8_S8_S8_S8_EEEEZNS1_11reduce_implILb1ES3_NS6_12zip_iteratorINS7_INS6_11hip_rocprim26transform_input_iterator_tIbNSD_35transform_pair_of_input_iterators_tIbNS6_6detail15normal_iteratorINS6_10device_ptrIKsEEEESL_NS6_8equal_toIsEEEENSG_9not_fun_tINSD_8identityEEEEENSD_19counting_iterator_tIlEES8_S8_S8_S8_S8_S8_S8_S8_EEEEPS9_S9_NSD_9__find_if7functorIS9_EEEE10hipError_tPvRmT1_T2_T3_mT4_P12ihipStream_tbEUlT_E0_NS1_11comp_targetILNS1_3genE9ELNS1_11target_archE1100ELNS1_3gpuE3ELNS1_3repE0EEENS1_30default_config_static_selectorELNS0_4arch9wavefront6targetE1EEEvS14_
    .private_segment_fixed_size: 0
    .sgpr_count:     4
    .sgpr_spill_count: 0
    .symbol:         _ZN7rocprim17ROCPRIM_400000_NS6detail17trampoline_kernelINS0_14default_configENS1_22reduce_config_selectorIN6thrust23THRUST_200600_302600_NS5tupleIblNS6_9null_typeES8_S8_S8_S8_S8_S8_S8_EEEEZNS1_11reduce_implILb1ES3_NS6_12zip_iteratorINS7_INS6_11hip_rocprim26transform_input_iterator_tIbNSD_35transform_pair_of_input_iterators_tIbNS6_6detail15normal_iteratorINS6_10device_ptrIKsEEEESL_NS6_8equal_toIsEEEENSG_9not_fun_tINSD_8identityEEEEENSD_19counting_iterator_tIlEES8_S8_S8_S8_S8_S8_S8_S8_EEEEPS9_S9_NSD_9__find_if7functorIS9_EEEE10hipError_tPvRmT1_T2_T3_mT4_P12ihipStream_tbEUlT_E0_NS1_11comp_targetILNS1_3genE9ELNS1_11target_archE1100ELNS1_3gpuE3ELNS1_3repE0EEENS1_30default_config_static_selectorELNS0_4arch9wavefront6targetE1EEEvS14_.kd
    .uniform_work_group_size: 1
    .uses_dynamic_stack: false
    .vgpr_count:     0
    .vgpr_spill_count: 0
    .wavefront_size: 64
  - .agpr_count:     0
    .args:
      - .offset:         0
        .size:           104
        .value_kind:     by_value
    .group_segment_fixed_size: 0
    .kernarg_segment_align: 8
    .kernarg_segment_size: 104
    .language:       OpenCL C
    .language_version:
      - 2
      - 0
    .max_flat_workgroup_size: 256
    .name:           _ZN7rocprim17ROCPRIM_400000_NS6detail17trampoline_kernelINS0_14default_configENS1_22reduce_config_selectorIN6thrust23THRUST_200600_302600_NS5tupleIblNS6_9null_typeES8_S8_S8_S8_S8_S8_S8_EEEEZNS1_11reduce_implILb1ES3_NS6_12zip_iteratorINS7_INS6_11hip_rocprim26transform_input_iterator_tIbNSD_35transform_pair_of_input_iterators_tIbNS6_6detail15normal_iteratorINS6_10device_ptrIKsEEEESL_NS6_8equal_toIsEEEENSG_9not_fun_tINSD_8identityEEEEENSD_19counting_iterator_tIlEES8_S8_S8_S8_S8_S8_S8_S8_EEEEPS9_S9_NSD_9__find_if7functorIS9_EEEE10hipError_tPvRmT1_T2_T3_mT4_P12ihipStream_tbEUlT_E0_NS1_11comp_targetILNS1_3genE8ELNS1_11target_archE1030ELNS1_3gpuE2ELNS1_3repE0EEENS1_30default_config_static_selectorELNS0_4arch9wavefront6targetE1EEEvS14_
    .private_segment_fixed_size: 0
    .sgpr_count:     4
    .sgpr_spill_count: 0
    .symbol:         _ZN7rocprim17ROCPRIM_400000_NS6detail17trampoline_kernelINS0_14default_configENS1_22reduce_config_selectorIN6thrust23THRUST_200600_302600_NS5tupleIblNS6_9null_typeES8_S8_S8_S8_S8_S8_S8_EEEEZNS1_11reduce_implILb1ES3_NS6_12zip_iteratorINS7_INS6_11hip_rocprim26transform_input_iterator_tIbNSD_35transform_pair_of_input_iterators_tIbNS6_6detail15normal_iteratorINS6_10device_ptrIKsEEEESL_NS6_8equal_toIsEEEENSG_9not_fun_tINSD_8identityEEEEENSD_19counting_iterator_tIlEES8_S8_S8_S8_S8_S8_S8_S8_EEEEPS9_S9_NSD_9__find_if7functorIS9_EEEE10hipError_tPvRmT1_T2_T3_mT4_P12ihipStream_tbEUlT_E0_NS1_11comp_targetILNS1_3genE8ELNS1_11target_archE1030ELNS1_3gpuE2ELNS1_3repE0EEENS1_30default_config_static_selectorELNS0_4arch9wavefront6targetE1EEEvS14_.kd
    .uniform_work_group_size: 1
    .uses_dynamic_stack: false
    .vgpr_count:     0
    .vgpr_spill_count: 0
    .wavefront_size: 64
  - .agpr_count:     0
    .args:
      - .offset:         0
        .size:           88
        .value_kind:     by_value
    .group_segment_fixed_size: 0
    .kernarg_segment_align: 8
    .kernarg_segment_size: 88
    .language:       OpenCL C
    .language_version:
      - 2
      - 0
    .max_flat_workgroup_size: 128
    .name:           _ZN7rocprim17ROCPRIM_400000_NS6detail17trampoline_kernelINS0_14default_configENS1_22reduce_config_selectorIN6thrust23THRUST_200600_302600_NS5tupleIblNS6_9null_typeES8_S8_S8_S8_S8_S8_S8_EEEEZNS1_11reduce_implILb1ES3_NS6_12zip_iteratorINS7_INS6_11hip_rocprim26transform_input_iterator_tIbNSD_35transform_pair_of_input_iterators_tIbNS6_6detail15normal_iteratorINS6_10device_ptrIKsEEEESL_NS6_8equal_toIsEEEENSG_9not_fun_tINSD_8identityEEEEENSD_19counting_iterator_tIlEES8_S8_S8_S8_S8_S8_S8_S8_EEEEPS9_S9_NSD_9__find_if7functorIS9_EEEE10hipError_tPvRmT1_T2_T3_mT4_P12ihipStream_tbEUlT_E1_NS1_11comp_targetILNS1_3genE0ELNS1_11target_archE4294967295ELNS1_3gpuE0ELNS1_3repE0EEENS1_30default_config_static_selectorELNS0_4arch9wavefront6targetE1EEEvS14_
    .private_segment_fixed_size: 0
    .sgpr_count:     4
    .sgpr_spill_count: 0
    .symbol:         _ZN7rocprim17ROCPRIM_400000_NS6detail17trampoline_kernelINS0_14default_configENS1_22reduce_config_selectorIN6thrust23THRUST_200600_302600_NS5tupleIblNS6_9null_typeES8_S8_S8_S8_S8_S8_S8_EEEEZNS1_11reduce_implILb1ES3_NS6_12zip_iteratorINS7_INS6_11hip_rocprim26transform_input_iterator_tIbNSD_35transform_pair_of_input_iterators_tIbNS6_6detail15normal_iteratorINS6_10device_ptrIKsEEEESL_NS6_8equal_toIsEEEENSG_9not_fun_tINSD_8identityEEEEENSD_19counting_iterator_tIlEES8_S8_S8_S8_S8_S8_S8_S8_EEEEPS9_S9_NSD_9__find_if7functorIS9_EEEE10hipError_tPvRmT1_T2_T3_mT4_P12ihipStream_tbEUlT_E1_NS1_11comp_targetILNS1_3genE0ELNS1_11target_archE4294967295ELNS1_3gpuE0ELNS1_3repE0EEENS1_30default_config_static_selectorELNS0_4arch9wavefront6targetE1EEEvS14_.kd
    .uniform_work_group_size: 1
    .uses_dynamic_stack: false
    .vgpr_count:     0
    .vgpr_spill_count: 0
    .wavefront_size: 64
  - .agpr_count:     0
    .args:
      - .offset:         0
        .size:           88
        .value_kind:     by_value
    .group_segment_fixed_size: 0
    .kernarg_segment_align: 8
    .kernarg_segment_size: 88
    .language:       OpenCL C
    .language_version:
      - 2
      - 0
    .max_flat_workgroup_size: 256
    .name:           _ZN7rocprim17ROCPRIM_400000_NS6detail17trampoline_kernelINS0_14default_configENS1_22reduce_config_selectorIN6thrust23THRUST_200600_302600_NS5tupleIblNS6_9null_typeES8_S8_S8_S8_S8_S8_S8_EEEEZNS1_11reduce_implILb1ES3_NS6_12zip_iteratorINS7_INS6_11hip_rocprim26transform_input_iterator_tIbNSD_35transform_pair_of_input_iterators_tIbNS6_6detail15normal_iteratorINS6_10device_ptrIKsEEEESL_NS6_8equal_toIsEEEENSG_9not_fun_tINSD_8identityEEEEENSD_19counting_iterator_tIlEES8_S8_S8_S8_S8_S8_S8_S8_EEEEPS9_S9_NSD_9__find_if7functorIS9_EEEE10hipError_tPvRmT1_T2_T3_mT4_P12ihipStream_tbEUlT_E1_NS1_11comp_targetILNS1_3genE5ELNS1_11target_archE942ELNS1_3gpuE9ELNS1_3repE0EEENS1_30default_config_static_selectorELNS0_4arch9wavefront6targetE1EEEvS14_
    .private_segment_fixed_size: 0
    .sgpr_count:     4
    .sgpr_spill_count: 0
    .symbol:         _ZN7rocprim17ROCPRIM_400000_NS6detail17trampoline_kernelINS0_14default_configENS1_22reduce_config_selectorIN6thrust23THRUST_200600_302600_NS5tupleIblNS6_9null_typeES8_S8_S8_S8_S8_S8_S8_EEEEZNS1_11reduce_implILb1ES3_NS6_12zip_iteratorINS7_INS6_11hip_rocprim26transform_input_iterator_tIbNSD_35transform_pair_of_input_iterators_tIbNS6_6detail15normal_iteratorINS6_10device_ptrIKsEEEESL_NS6_8equal_toIsEEEENSG_9not_fun_tINSD_8identityEEEEENSD_19counting_iterator_tIlEES8_S8_S8_S8_S8_S8_S8_S8_EEEEPS9_S9_NSD_9__find_if7functorIS9_EEEE10hipError_tPvRmT1_T2_T3_mT4_P12ihipStream_tbEUlT_E1_NS1_11comp_targetILNS1_3genE5ELNS1_11target_archE942ELNS1_3gpuE9ELNS1_3repE0EEENS1_30default_config_static_selectorELNS0_4arch9wavefront6targetE1EEEvS14_.kd
    .uniform_work_group_size: 1
    .uses_dynamic_stack: false
    .vgpr_count:     0
    .vgpr_spill_count: 0
    .wavefront_size: 64
  - .agpr_count:     0
    .args:
      - .offset:         0
        .size:           88
        .value_kind:     by_value
    .group_segment_fixed_size: 320
    .kernarg_segment_align: 8
    .kernarg_segment_size: 88
    .language:       OpenCL C
    .language_version:
      - 2
      - 0
    .max_flat_workgroup_size: 256
    .name:           _ZN7rocprim17ROCPRIM_400000_NS6detail17trampoline_kernelINS0_14default_configENS1_22reduce_config_selectorIN6thrust23THRUST_200600_302600_NS5tupleIblNS6_9null_typeES8_S8_S8_S8_S8_S8_S8_EEEEZNS1_11reduce_implILb1ES3_NS6_12zip_iteratorINS7_INS6_11hip_rocprim26transform_input_iterator_tIbNSD_35transform_pair_of_input_iterators_tIbNS6_6detail15normal_iteratorINS6_10device_ptrIKsEEEESL_NS6_8equal_toIsEEEENSG_9not_fun_tINSD_8identityEEEEENSD_19counting_iterator_tIlEES8_S8_S8_S8_S8_S8_S8_S8_EEEEPS9_S9_NSD_9__find_if7functorIS9_EEEE10hipError_tPvRmT1_T2_T3_mT4_P12ihipStream_tbEUlT_E1_NS1_11comp_targetILNS1_3genE4ELNS1_11target_archE910ELNS1_3gpuE8ELNS1_3repE0EEENS1_30default_config_static_selectorELNS0_4arch9wavefront6targetE1EEEvS14_
    .private_segment_fixed_size: 0
    .sgpr_count:     46
    .sgpr_spill_count: 0
    .symbol:         _ZN7rocprim17ROCPRIM_400000_NS6detail17trampoline_kernelINS0_14default_configENS1_22reduce_config_selectorIN6thrust23THRUST_200600_302600_NS5tupleIblNS6_9null_typeES8_S8_S8_S8_S8_S8_S8_EEEEZNS1_11reduce_implILb1ES3_NS6_12zip_iteratorINS7_INS6_11hip_rocprim26transform_input_iterator_tIbNSD_35transform_pair_of_input_iterators_tIbNS6_6detail15normal_iteratorINS6_10device_ptrIKsEEEESL_NS6_8equal_toIsEEEENSG_9not_fun_tINSD_8identityEEEEENSD_19counting_iterator_tIlEES8_S8_S8_S8_S8_S8_S8_S8_EEEEPS9_S9_NSD_9__find_if7functorIS9_EEEE10hipError_tPvRmT1_T2_T3_mT4_P12ihipStream_tbEUlT_E1_NS1_11comp_targetILNS1_3genE4ELNS1_11target_archE910ELNS1_3gpuE8ELNS1_3repE0EEENS1_30default_config_static_selectorELNS0_4arch9wavefront6targetE1EEEvS14_.kd
    .uniform_work_group_size: 1
    .uses_dynamic_stack: false
    .vgpr_count:     27
    .vgpr_spill_count: 0
    .wavefront_size: 64
  - .agpr_count:     0
    .args:
      - .offset:         0
        .size:           88
        .value_kind:     by_value
    .group_segment_fixed_size: 0
    .kernarg_segment_align: 8
    .kernarg_segment_size: 88
    .language:       OpenCL C
    .language_version:
      - 2
      - 0
    .max_flat_workgroup_size: 128
    .name:           _ZN7rocprim17ROCPRIM_400000_NS6detail17trampoline_kernelINS0_14default_configENS1_22reduce_config_selectorIN6thrust23THRUST_200600_302600_NS5tupleIblNS6_9null_typeES8_S8_S8_S8_S8_S8_S8_EEEEZNS1_11reduce_implILb1ES3_NS6_12zip_iteratorINS7_INS6_11hip_rocprim26transform_input_iterator_tIbNSD_35transform_pair_of_input_iterators_tIbNS6_6detail15normal_iteratorINS6_10device_ptrIKsEEEESL_NS6_8equal_toIsEEEENSG_9not_fun_tINSD_8identityEEEEENSD_19counting_iterator_tIlEES8_S8_S8_S8_S8_S8_S8_S8_EEEEPS9_S9_NSD_9__find_if7functorIS9_EEEE10hipError_tPvRmT1_T2_T3_mT4_P12ihipStream_tbEUlT_E1_NS1_11comp_targetILNS1_3genE3ELNS1_11target_archE908ELNS1_3gpuE7ELNS1_3repE0EEENS1_30default_config_static_selectorELNS0_4arch9wavefront6targetE1EEEvS14_
    .private_segment_fixed_size: 0
    .sgpr_count:     4
    .sgpr_spill_count: 0
    .symbol:         _ZN7rocprim17ROCPRIM_400000_NS6detail17trampoline_kernelINS0_14default_configENS1_22reduce_config_selectorIN6thrust23THRUST_200600_302600_NS5tupleIblNS6_9null_typeES8_S8_S8_S8_S8_S8_S8_EEEEZNS1_11reduce_implILb1ES3_NS6_12zip_iteratorINS7_INS6_11hip_rocprim26transform_input_iterator_tIbNSD_35transform_pair_of_input_iterators_tIbNS6_6detail15normal_iteratorINS6_10device_ptrIKsEEEESL_NS6_8equal_toIsEEEENSG_9not_fun_tINSD_8identityEEEEENSD_19counting_iterator_tIlEES8_S8_S8_S8_S8_S8_S8_S8_EEEEPS9_S9_NSD_9__find_if7functorIS9_EEEE10hipError_tPvRmT1_T2_T3_mT4_P12ihipStream_tbEUlT_E1_NS1_11comp_targetILNS1_3genE3ELNS1_11target_archE908ELNS1_3gpuE7ELNS1_3repE0EEENS1_30default_config_static_selectorELNS0_4arch9wavefront6targetE1EEEvS14_.kd
    .uniform_work_group_size: 1
    .uses_dynamic_stack: false
    .vgpr_count:     0
    .vgpr_spill_count: 0
    .wavefront_size: 64
  - .agpr_count:     0
    .args:
      - .offset:         0
        .size:           88
        .value_kind:     by_value
    .group_segment_fixed_size: 0
    .kernarg_segment_align: 8
    .kernarg_segment_size: 88
    .language:       OpenCL C
    .language_version:
      - 2
      - 0
    .max_flat_workgroup_size: 128
    .name:           _ZN7rocprim17ROCPRIM_400000_NS6detail17trampoline_kernelINS0_14default_configENS1_22reduce_config_selectorIN6thrust23THRUST_200600_302600_NS5tupleIblNS6_9null_typeES8_S8_S8_S8_S8_S8_S8_EEEEZNS1_11reduce_implILb1ES3_NS6_12zip_iteratorINS7_INS6_11hip_rocprim26transform_input_iterator_tIbNSD_35transform_pair_of_input_iterators_tIbNS6_6detail15normal_iteratorINS6_10device_ptrIKsEEEESL_NS6_8equal_toIsEEEENSG_9not_fun_tINSD_8identityEEEEENSD_19counting_iterator_tIlEES8_S8_S8_S8_S8_S8_S8_S8_EEEEPS9_S9_NSD_9__find_if7functorIS9_EEEE10hipError_tPvRmT1_T2_T3_mT4_P12ihipStream_tbEUlT_E1_NS1_11comp_targetILNS1_3genE2ELNS1_11target_archE906ELNS1_3gpuE6ELNS1_3repE0EEENS1_30default_config_static_selectorELNS0_4arch9wavefront6targetE1EEEvS14_
    .private_segment_fixed_size: 0
    .sgpr_count:     4
    .sgpr_spill_count: 0
    .symbol:         _ZN7rocprim17ROCPRIM_400000_NS6detail17trampoline_kernelINS0_14default_configENS1_22reduce_config_selectorIN6thrust23THRUST_200600_302600_NS5tupleIblNS6_9null_typeES8_S8_S8_S8_S8_S8_S8_EEEEZNS1_11reduce_implILb1ES3_NS6_12zip_iteratorINS7_INS6_11hip_rocprim26transform_input_iterator_tIbNSD_35transform_pair_of_input_iterators_tIbNS6_6detail15normal_iteratorINS6_10device_ptrIKsEEEESL_NS6_8equal_toIsEEEENSG_9not_fun_tINSD_8identityEEEEENSD_19counting_iterator_tIlEES8_S8_S8_S8_S8_S8_S8_S8_EEEEPS9_S9_NSD_9__find_if7functorIS9_EEEE10hipError_tPvRmT1_T2_T3_mT4_P12ihipStream_tbEUlT_E1_NS1_11comp_targetILNS1_3genE2ELNS1_11target_archE906ELNS1_3gpuE6ELNS1_3repE0EEENS1_30default_config_static_selectorELNS0_4arch9wavefront6targetE1EEEvS14_.kd
    .uniform_work_group_size: 1
    .uses_dynamic_stack: false
    .vgpr_count:     0
    .vgpr_spill_count: 0
    .wavefront_size: 64
  - .agpr_count:     0
    .args:
      - .offset:         0
        .size:           88
        .value_kind:     by_value
    .group_segment_fixed_size: 0
    .kernarg_segment_align: 8
    .kernarg_segment_size: 88
    .language:       OpenCL C
    .language_version:
      - 2
      - 0
    .max_flat_workgroup_size: 256
    .name:           _ZN7rocprim17ROCPRIM_400000_NS6detail17trampoline_kernelINS0_14default_configENS1_22reduce_config_selectorIN6thrust23THRUST_200600_302600_NS5tupleIblNS6_9null_typeES8_S8_S8_S8_S8_S8_S8_EEEEZNS1_11reduce_implILb1ES3_NS6_12zip_iteratorINS7_INS6_11hip_rocprim26transform_input_iterator_tIbNSD_35transform_pair_of_input_iterators_tIbNS6_6detail15normal_iteratorINS6_10device_ptrIKsEEEESL_NS6_8equal_toIsEEEENSG_9not_fun_tINSD_8identityEEEEENSD_19counting_iterator_tIlEES8_S8_S8_S8_S8_S8_S8_S8_EEEEPS9_S9_NSD_9__find_if7functorIS9_EEEE10hipError_tPvRmT1_T2_T3_mT4_P12ihipStream_tbEUlT_E1_NS1_11comp_targetILNS1_3genE10ELNS1_11target_archE1201ELNS1_3gpuE5ELNS1_3repE0EEENS1_30default_config_static_selectorELNS0_4arch9wavefront6targetE1EEEvS14_
    .private_segment_fixed_size: 0
    .sgpr_count:     4
    .sgpr_spill_count: 0
    .symbol:         _ZN7rocprim17ROCPRIM_400000_NS6detail17trampoline_kernelINS0_14default_configENS1_22reduce_config_selectorIN6thrust23THRUST_200600_302600_NS5tupleIblNS6_9null_typeES8_S8_S8_S8_S8_S8_S8_EEEEZNS1_11reduce_implILb1ES3_NS6_12zip_iteratorINS7_INS6_11hip_rocprim26transform_input_iterator_tIbNSD_35transform_pair_of_input_iterators_tIbNS6_6detail15normal_iteratorINS6_10device_ptrIKsEEEESL_NS6_8equal_toIsEEEENSG_9not_fun_tINSD_8identityEEEEENSD_19counting_iterator_tIlEES8_S8_S8_S8_S8_S8_S8_S8_EEEEPS9_S9_NSD_9__find_if7functorIS9_EEEE10hipError_tPvRmT1_T2_T3_mT4_P12ihipStream_tbEUlT_E1_NS1_11comp_targetILNS1_3genE10ELNS1_11target_archE1201ELNS1_3gpuE5ELNS1_3repE0EEENS1_30default_config_static_selectorELNS0_4arch9wavefront6targetE1EEEvS14_.kd
    .uniform_work_group_size: 1
    .uses_dynamic_stack: false
    .vgpr_count:     0
    .vgpr_spill_count: 0
    .wavefront_size: 64
  - .agpr_count:     0
    .args:
      - .offset:         0
        .size:           88
        .value_kind:     by_value
    .group_segment_fixed_size: 0
    .kernarg_segment_align: 8
    .kernarg_segment_size: 88
    .language:       OpenCL C
    .language_version:
      - 2
      - 0
    .max_flat_workgroup_size: 256
    .name:           _ZN7rocprim17ROCPRIM_400000_NS6detail17trampoline_kernelINS0_14default_configENS1_22reduce_config_selectorIN6thrust23THRUST_200600_302600_NS5tupleIblNS6_9null_typeES8_S8_S8_S8_S8_S8_S8_EEEEZNS1_11reduce_implILb1ES3_NS6_12zip_iteratorINS7_INS6_11hip_rocprim26transform_input_iterator_tIbNSD_35transform_pair_of_input_iterators_tIbNS6_6detail15normal_iteratorINS6_10device_ptrIKsEEEESL_NS6_8equal_toIsEEEENSG_9not_fun_tINSD_8identityEEEEENSD_19counting_iterator_tIlEES8_S8_S8_S8_S8_S8_S8_S8_EEEEPS9_S9_NSD_9__find_if7functorIS9_EEEE10hipError_tPvRmT1_T2_T3_mT4_P12ihipStream_tbEUlT_E1_NS1_11comp_targetILNS1_3genE10ELNS1_11target_archE1200ELNS1_3gpuE4ELNS1_3repE0EEENS1_30default_config_static_selectorELNS0_4arch9wavefront6targetE1EEEvS14_
    .private_segment_fixed_size: 0
    .sgpr_count:     4
    .sgpr_spill_count: 0
    .symbol:         _ZN7rocprim17ROCPRIM_400000_NS6detail17trampoline_kernelINS0_14default_configENS1_22reduce_config_selectorIN6thrust23THRUST_200600_302600_NS5tupleIblNS6_9null_typeES8_S8_S8_S8_S8_S8_S8_EEEEZNS1_11reduce_implILb1ES3_NS6_12zip_iteratorINS7_INS6_11hip_rocprim26transform_input_iterator_tIbNSD_35transform_pair_of_input_iterators_tIbNS6_6detail15normal_iteratorINS6_10device_ptrIKsEEEESL_NS6_8equal_toIsEEEENSG_9not_fun_tINSD_8identityEEEEENSD_19counting_iterator_tIlEES8_S8_S8_S8_S8_S8_S8_S8_EEEEPS9_S9_NSD_9__find_if7functorIS9_EEEE10hipError_tPvRmT1_T2_T3_mT4_P12ihipStream_tbEUlT_E1_NS1_11comp_targetILNS1_3genE10ELNS1_11target_archE1200ELNS1_3gpuE4ELNS1_3repE0EEENS1_30default_config_static_selectorELNS0_4arch9wavefront6targetE1EEEvS14_.kd
    .uniform_work_group_size: 1
    .uses_dynamic_stack: false
    .vgpr_count:     0
    .vgpr_spill_count: 0
    .wavefront_size: 64
  - .agpr_count:     0
    .args:
      - .offset:         0
        .size:           88
        .value_kind:     by_value
    .group_segment_fixed_size: 0
    .kernarg_segment_align: 8
    .kernarg_segment_size: 88
    .language:       OpenCL C
    .language_version:
      - 2
      - 0
    .max_flat_workgroup_size: 256
    .name:           _ZN7rocprim17ROCPRIM_400000_NS6detail17trampoline_kernelINS0_14default_configENS1_22reduce_config_selectorIN6thrust23THRUST_200600_302600_NS5tupleIblNS6_9null_typeES8_S8_S8_S8_S8_S8_S8_EEEEZNS1_11reduce_implILb1ES3_NS6_12zip_iteratorINS7_INS6_11hip_rocprim26transform_input_iterator_tIbNSD_35transform_pair_of_input_iterators_tIbNS6_6detail15normal_iteratorINS6_10device_ptrIKsEEEESL_NS6_8equal_toIsEEEENSG_9not_fun_tINSD_8identityEEEEENSD_19counting_iterator_tIlEES8_S8_S8_S8_S8_S8_S8_S8_EEEEPS9_S9_NSD_9__find_if7functorIS9_EEEE10hipError_tPvRmT1_T2_T3_mT4_P12ihipStream_tbEUlT_E1_NS1_11comp_targetILNS1_3genE9ELNS1_11target_archE1100ELNS1_3gpuE3ELNS1_3repE0EEENS1_30default_config_static_selectorELNS0_4arch9wavefront6targetE1EEEvS14_
    .private_segment_fixed_size: 0
    .sgpr_count:     4
    .sgpr_spill_count: 0
    .symbol:         _ZN7rocprim17ROCPRIM_400000_NS6detail17trampoline_kernelINS0_14default_configENS1_22reduce_config_selectorIN6thrust23THRUST_200600_302600_NS5tupleIblNS6_9null_typeES8_S8_S8_S8_S8_S8_S8_EEEEZNS1_11reduce_implILb1ES3_NS6_12zip_iteratorINS7_INS6_11hip_rocprim26transform_input_iterator_tIbNSD_35transform_pair_of_input_iterators_tIbNS6_6detail15normal_iteratorINS6_10device_ptrIKsEEEESL_NS6_8equal_toIsEEEENSG_9not_fun_tINSD_8identityEEEEENSD_19counting_iterator_tIlEES8_S8_S8_S8_S8_S8_S8_S8_EEEEPS9_S9_NSD_9__find_if7functorIS9_EEEE10hipError_tPvRmT1_T2_T3_mT4_P12ihipStream_tbEUlT_E1_NS1_11comp_targetILNS1_3genE9ELNS1_11target_archE1100ELNS1_3gpuE3ELNS1_3repE0EEENS1_30default_config_static_selectorELNS0_4arch9wavefront6targetE1EEEvS14_.kd
    .uniform_work_group_size: 1
    .uses_dynamic_stack: false
    .vgpr_count:     0
    .vgpr_spill_count: 0
    .wavefront_size: 64
  - .agpr_count:     0
    .args:
      - .offset:         0
        .size:           88
        .value_kind:     by_value
    .group_segment_fixed_size: 0
    .kernarg_segment_align: 8
    .kernarg_segment_size: 88
    .language:       OpenCL C
    .language_version:
      - 2
      - 0
    .max_flat_workgroup_size: 256
    .name:           _ZN7rocprim17ROCPRIM_400000_NS6detail17trampoline_kernelINS0_14default_configENS1_22reduce_config_selectorIN6thrust23THRUST_200600_302600_NS5tupleIblNS6_9null_typeES8_S8_S8_S8_S8_S8_S8_EEEEZNS1_11reduce_implILb1ES3_NS6_12zip_iteratorINS7_INS6_11hip_rocprim26transform_input_iterator_tIbNSD_35transform_pair_of_input_iterators_tIbNS6_6detail15normal_iteratorINS6_10device_ptrIKsEEEESL_NS6_8equal_toIsEEEENSG_9not_fun_tINSD_8identityEEEEENSD_19counting_iterator_tIlEES8_S8_S8_S8_S8_S8_S8_S8_EEEEPS9_S9_NSD_9__find_if7functorIS9_EEEE10hipError_tPvRmT1_T2_T3_mT4_P12ihipStream_tbEUlT_E1_NS1_11comp_targetILNS1_3genE8ELNS1_11target_archE1030ELNS1_3gpuE2ELNS1_3repE0EEENS1_30default_config_static_selectorELNS0_4arch9wavefront6targetE1EEEvS14_
    .private_segment_fixed_size: 0
    .sgpr_count:     4
    .sgpr_spill_count: 0
    .symbol:         _ZN7rocprim17ROCPRIM_400000_NS6detail17trampoline_kernelINS0_14default_configENS1_22reduce_config_selectorIN6thrust23THRUST_200600_302600_NS5tupleIblNS6_9null_typeES8_S8_S8_S8_S8_S8_S8_EEEEZNS1_11reduce_implILb1ES3_NS6_12zip_iteratorINS7_INS6_11hip_rocprim26transform_input_iterator_tIbNSD_35transform_pair_of_input_iterators_tIbNS6_6detail15normal_iteratorINS6_10device_ptrIKsEEEESL_NS6_8equal_toIsEEEENSG_9not_fun_tINSD_8identityEEEEENSD_19counting_iterator_tIlEES8_S8_S8_S8_S8_S8_S8_S8_EEEEPS9_S9_NSD_9__find_if7functorIS9_EEEE10hipError_tPvRmT1_T2_T3_mT4_P12ihipStream_tbEUlT_E1_NS1_11comp_targetILNS1_3genE8ELNS1_11target_archE1030ELNS1_3gpuE2ELNS1_3repE0EEENS1_30default_config_static_selectorELNS0_4arch9wavefront6targetE1EEEvS14_.kd
    .uniform_work_group_size: 1
    .uses_dynamic_stack: false
    .vgpr_count:     0
    .vgpr_spill_count: 0
    .wavefront_size: 64
  - .agpr_count:     0
    .args:
      - .offset:         0
        .size:           16
        .value_kind:     by_value
      - .offset:         16
        .size:           8
        .value_kind:     by_value
      - .offset:         24
        .size:           8
        .value_kind:     by_value
    .group_segment_fixed_size: 0
    .kernarg_segment_align: 8
    .kernarg_segment_size: 32
    .language:       OpenCL C
    .language_version:
      - 2
      - 0
    .max_flat_workgroup_size: 256
    .name:           _ZN6thrust23THRUST_200600_302600_NS11hip_rocprim14__parallel_for6kernelILj256ENS1_20__uninitialized_fill7functorINS0_10device_ptrIiEEiEEmLj1EEEvT0_T1_SA_
    .private_segment_fixed_size: 0
    .sgpr_count:     16
    .sgpr_spill_count: 0
    .symbol:         _ZN6thrust23THRUST_200600_302600_NS11hip_rocprim14__parallel_for6kernelILj256ENS1_20__uninitialized_fill7functorINS0_10device_ptrIiEEiEEmLj1EEEvT0_T1_SA_.kd
    .uniform_work_group_size: 1
    .uses_dynamic_stack: false
    .vgpr_count:     4
    .vgpr_spill_count: 0
    .wavefront_size: 64
  - .agpr_count:     0
    .args:
      - .offset:         0
        .size:           48
        .value_kind:     by_value
    .group_segment_fixed_size: 0
    .kernarg_segment_align: 8
    .kernarg_segment_size: 48
    .language:       OpenCL C
    .language_version:
      - 2
      - 0
    .max_flat_workgroup_size: 256
    .name:           _ZN7rocprim17ROCPRIM_400000_NS6detail17trampoline_kernelINS0_14default_configENS1_21merge_config_selectorIdNS0_10empty_typeEEEZNS1_10merge_implIS3_N6thrust23THRUST_200600_302600_NS6detail15normal_iteratorINS9_10device_ptrIKdEEEESF_NS9_16discard_iteratorINS9_11use_defaultEEEPS5_SJ_SJ_NS9_4lessIdEEEE10hipError_tPvRmT0_T1_T2_T3_T4_T5_mmT6_P12ihipStream_tbEUlT_E_NS1_11comp_targetILNS1_3genE0ELNS1_11target_archE4294967295ELNS1_3gpuE0ELNS1_3repE0EEENS1_30default_config_static_selectorELNS0_4arch9wavefront6targetE1EEEvSQ_
    .private_segment_fixed_size: 0
    .sgpr_count:     4
    .sgpr_spill_count: 0
    .symbol:         _ZN7rocprim17ROCPRIM_400000_NS6detail17trampoline_kernelINS0_14default_configENS1_21merge_config_selectorIdNS0_10empty_typeEEEZNS1_10merge_implIS3_N6thrust23THRUST_200600_302600_NS6detail15normal_iteratorINS9_10device_ptrIKdEEEESF_NS9_16discard_iteratorINS9_11use_defaultEEEPS5_SJ_SJ_NS9_4lessIdEEEE10hipError_tPvRmT0_T1_T2_T3_T4_T5_mmT6_P12ihipStream_tbEUlT_E_NS1_11comp_targetILNS1_3genE0ELNS1_11target_archE4294967295ELNS1_3gpuE0ELNS1_3repE0EEENS1_30default_config_static_selectorELNS0_4arch9wavefront6targetE1EEEvSQ_.kd
    .uniform_work_group_size: 1
    .uses_dynamic_stack: false
    .vgpr_count:     0
    .vgpr_spill_count: 0
    .wavefront_size: 64
  - .agpr_count:     0
    .args:
      - .offset:         0
        .size:           48
        .value_kind:     by_value
    .group_segment_fixed_size: 0
    .kernarg_segment_align: 8
    .kernarg_segment_size: 48
    .language:       OpenCL C
    .language_version:
      - 2
      - 0
    .max_flat_workgroup_size: 256
    .name:           _ZN7rocprim17ROCPRIM_400000_NS6detail17trampoline_kernelINS0_14default_configENS1_21merge_config_selectorIdNS0_10empty_typeEEEZNS1_10merge_implIS3_N6thrust23THRUST_200600_302600_NS6detail15normal_iteratorINS9_10device_ptrIKdEEEESF_NS9_16discard_iteratorINS9_11use_defaultEEEPS5_SJ_SJ_NS9_4lessIdEEEE10hipError_tPvRmT0_T1_T2_T3_T4_T5_mmT6_P12ihipStream_tbEUlT_E_NS1_11comp_targetILNS1_3genE5ELNS1_11target_archE942ELNS1_3gpuE9ELNS1_3repE0EEENS1_30default_config_static_selectorELNS0_4arch9wavefront6targetE1EEEvSQ_
    .private_segment_fixed_size: 0
    .sgpr_count:     4
    .sgpr_spill_count: 0
    .symbol:         _ZN7rocprim17ROCPRIM_400000_NS6detail17trampoline_kernelINS0_14default_configENS1_21merge_config_selectorIdNS0_10empty_typeEEEZNS1_10merge_implIS3_N6thrust23THRUST_200600_302600_NS6detail15normal_iteratorINS9_10device_ptrIKdEEEESF_NS9_16discard_iteratorINS9_11use_defaultEEEPS5_SJ_SJ_NS9_4lessIdEEEE10hipError_tPvRmT0_T1_T2_T3_T4_T5_mmT6_P12ihipStream_tbEUlT_E_NS1_11comp_targetILNS1_3genE5ELNS1_11target_archE942ELNS1_3gpuE9ELNS1_3repE0EEENS1_30default_config_static_selectorELNS0_4arch9wavefront6targetE1EEEvSQ_.kd
    .uniform_work_group_size: 1
    .uses_dynamic_stack: false
    .vgpr_count:     0
    .vgpr_spill_count: 0
    .wavefront_size: 64
  - .agpr_count:     0
    .args:
      - .offset:         0
        .size:           48
        .value_kind:     by_value
      - .offset:         48
        .size:           4
        .value_kind:     hidden_block_count_x
      - .offset:         52
        .size:           4
        .value_kind:     hidden_block_count_y
      - .offset:         56
        .size:           4
        .value_kind:     hidden_block_count_z
      - .offset:         60
        .size:           2
        .value_kind:     hidden_group_size_x
      - .offset:         62
        .size:           2
        .value_kind:     hidden_group_size_y
      - .offset:         64
        .size:           2
        .value_kind:     hidden_group_size_z
      - .offset:         66
        .size:           2
        .value_kind:     hidden_remainder_x
      - .offset:         68
        .size:           2
        .value_kind:     hidden_remainder_y
      - .offset:         70
        .size:           2
        .value_kind:     hidden_remainder_z
      - .offset:         88
        .size:           8
        .value_kind:     hidden_global_offset_x
      - .offset:         96
        .size:           8
        .value_kind:     hidden_global_offset_y
      - .offset:         104
        .size:           8
        .value_kind:     hidden_global_offset_z
      - .offset:         112
        .size:           2
        .value_kind:     hidden_grid_dims
    .group_segment_fixed_size: 0
    .kernarg_segment_align: 8
    .kernarg_segment_size: 304
    .language:       OpenCL C
    .language_version:
      - 2
      - 0
    .max_flat_workgroup_size: 256
    .name:           _ZN7rocprim17ROCPRIM_400000_NS6detail17trampoline_kernelINS0_14default_configENS1_21merge_config_selectorIdNS0_10empty_typeEEEZNS1_10merge_implIS3_N6thrust23THRUST_200600_302600_NS6detail15normal_iteratorINS9_10device_ptrIKdEEEESF_NS9_16discard_iteratorINS9_11use_defaultEEEPS5_SJ_SJ_NS9_4lessIdEEEE10hipError_tPvRmT0_T1_T2_T3_T4_T5_mmT6_P12ihipStream_tbEUlT_E_NS1_11comp_targetILNS1_3genE4ELNS1_11target_archE910ELNS1_3gpuE8ELNS1_3repE0EEENS1_30default_config_static_selectorELNS0_4arch9wavefront6targetE1EEEvSQ_
    .private_segment_fixed_size: 0
    .sgpr_count:     18
    .sgpr_spill_count: 0
    .symbol:         _ZN7rocprim17ROCPRIM_400000_NS6detail17trampoline_kernelINS0_14default_configENS1_21merge_config_selectorIdNS0_10empty_typeEEEZNS1_10merge_implIS3_N6thrust23THRUST_200600_302600_NS6detail15normal_iteratorINS9_10device_ptrIKdEEEESF_NS9_16discard_iteratorINS9_11use_defaultEEEPS5_SJ_SJ_NS9_4lessIdEEEE10hipError_tPvRmT0_T1_T2_T3_T4_T5_mmT6_P12ihipStream_tbEUlT_E_NS1_11comp_targetILNS1_3genE4ELNS1_11target_archE910ELNS1_3gpuE8ELNS1_3repE0EEENS1_30default_config_static_selectorELNS0_4arch9wavefront6targetE1EEEvSQ_.kd
    .uniform_work_group_size: 1
    .uses_dynamic_stack: false
    .vgpr_count:     16
    .vgpr_spill_count: 0
    .wavefront_size: 64
  - .agpr_count:     0
    .args:
      - .offset:         0
        .size:           48
        .value_kind:     by_value
    .group_segment_fixed_size: 0
    .kernarg_segment_align: 8
    .kernarg_segment_size: 48
    .language:       OpenCL C
    .language_version:
      - 2
      - 0
    .max_flat_workgroup_size: 256
    .name:           _ZN7rocprim17ROCPRIM_400000_NS6detail17trampoline_kernelINS0_14default_configENS1_21merge_config_selectorIdNS0_10empty_typeEEEZNS1_10merge_implIS3_N6thrust23THRUST_200600_302600_NS6detail15normal_iteratorINS9_10device_ptrIKdEEEESF_NS9_16discard_iteratorINS9_11use_defaultEEEPS5_SJ_SJ_NS9_4lessIdEEEE10hipError_tPvRmT0_T1_T2_T3_T4_T5_mmT6_P12ihipStream_tbEUlT_E_NS1_11comp_targetILNS1_3genE3ELNS1_11target_archE908ELNS1_3gpuE7ELNS1_3repE0EEENS1_30default_config_static_selectorELNS0_4arch9wavefront6targetE1EEEvSQ_
    .private_segment_fixed_size: 0
    .sgpr_count:     4
    .sgpr_spill_count: 0
    .symbol:         _ZN7rocprim17ROCPRIM_400000_NS6detail17trampoline_kernelINS0_14default_configENS1_21merge_config_selectorIdNS0_10empty_typeEEEZNS1_10merge_implIS3_N6thrust23THRUST_200600_302600_NS6detail15normal_iteratorINS9_10device_ptrIKdEEEESF_NS9_16discard_iteratorINS9_11use_defaultEEEPS5_SJ_SJ_NS9_4lessIdEEEE10hipError_tPvRmT0_T1_T2_T3_T4_T5_mmT6_P12ihipStream_tbEUlT_E_NS1_11comp_targetILNS1_3genE3ELNS1_11target_archE908ELNS1_3gpuE7ELNS1_3repE0EEENS1_30default_config_static_selectorELNS0_4arch9wavefront6targetE1EEEvSQ_.kd
    .uniform_work_group_size: 1
    .uses_dynamic_stack: false
    .vgpr_count:     0
    .vgpr_spill_count: 0
    .wavefront_size: 64
  - .agpr_count:     0
    .args:
      - .offset:         0
        .size:           48
        .value_kind:     by_value
    .group_segment_fixed_size: 0
    .kernarg_segment_align: 8
    .kernarg_segment_size: 48
    .language:       OpenCL C
    .language_version:
      - 2
      - 0
    .max_flat_workgroup_size: 256
    .name:           _ZN7rocprim17ROCPRIM_400000_NS6detail17trampoline_kernelINS0_14default_configENS1_21merge_config_selectorIdNS0_10empty_typeEEEZNS1_10merge_implIS3_N6thrust23THRUST_200600_302600_NS6detail15normal_iteratorINS9_10device_ptrIKdEEEESF_NS9_16discard_iteratorINS9_11use_defaultEEEPS5_SJ_SJ_NS9_4lessIdEEEE10hipError_tPvRmT0_T1_T2_T3_T4_T5_mmT6_P12ihipStream_tbEUlT_E_NS1_11comp_targetILNS1_3genE2ELNS1_11target_archE906ELNS1_3gpuE6ELNS1_3repE0EEENS1_30default_config_static_selectorELNS0_4arch9wavefront6targetE1EEEvSQ_
    .private_segment_fixed_size: 0
    .sgpr_count:     4
    .sgpr_spill_count: 0
    .symbol:         _ZN7rocprim17ROCPRIM_400000_NS6detail17trampoline_kernelINS0_14default_configENS1_21merge_config_selectorIdNS0_10empty_typeEEEZNS1_10merge_implIS3_N6thrust23THRUST_200600_302600_NS6detail15normal_iteratorINS9_10device_ptrIKdEEEESF_NS9_16discard_iteratorINS9_11use_defaultEEEPS5_SJ_SJ_NS9_4lessIdEEEE10hipError_tPvRmT0_T1_T2_T3_T4_T5_mmT6_P12ihipStream_tbEUlT_E_NS1_11comp_targetILNS1_3genE2ELNS1_11target_archE906ELNS1_3gpuE6ELNS1_3repE0EEENS1_30default_config_static_selectorELNS0_4arch9wavefront6targetE1EEEvSQ_.kd
    .uniform_work_group_size: 1
    .uses_dynamic_stack: false
    .vgpr_count:     0
    .vgpr_spill_count: 0
    .wavefront_size: 64
  - .agpr_count:     0
    .args:
      - .offset:         0
        .size:           48
        .value_kind:     by_value
    .group_segment_fixed_size: 0
    .kernarg_segment_align: 8
    .kernarg_segment_size: 48
    .language:       OpenCL C
    .language_version:
      - 2
      - 0
    .max_flat_workgroup_size: 512
    .name:           _ZN7rocprim17ROCPRIM_400000_NS6detail17trampoline_kernelINS0_14default_configENS1_21merge_config_selectorIdNS0_10empty_typeEEEZNS1_10merge_implIS3_N6thrust23THRUST_200600_302600_NS6detail15normal_iteratorINS9_10device_ptrIKdEEEESF_NS9_16discard_iteratorINS9_11use_defaultEEEPS5_SJ_SJ_NS9_4lessIdEEEE10hipError_tPvRmT0_T1_T2_T3_T4_T5_mmT6_P12ihipStream_tbEUlT_E_NS1_11comp_targetILNS1_3genE10ELNS1_11target_archE1201ELNS1_3gpuE5ELNS1_3repE0EEENS1_30default_config_static_selectorELNS0_4arch9wavefront6targetE1EEEvSQ_
    .private_segment_fixed_size: 0
    .sgpr_count:     4
    .sgpr_spill_count: 0
    .symbol:         _ZN7rocprim17ROCPRIM_400000_NS6detail17trampoline_kernelINS0_14default_configENS1_21merge_config_selectorIdNS0_10empty_typeEEEZNS1_10merge_implIS3_N6thrust23THRUST_200600_302600_NS6detail15normal_iteratorINS9_10device_ptrIKdEEEESF_NS9_16discard_iteratorINS9_11use_defaultEEEPS5_SJ_SJ_NS9_4lessIdEEEE10hipError_tPvRmT0_T1_T2_T3_T4_T5_mmT6_P12ihipStream_tbEUlT_E_NS1_11comp_targetILNS1_3genE10ELNS1_11target_archE1201ELNS1_3gpuE5ELNS1_3repE0EEENS1_30default_config_static_selectorELNS0_4arch9wavefront6targetE1EEEvSQ_.kd
    .uniform_work_group_size: 1
    .uses_dynamic_stack: false
    .vgpr_count:     0
    .vgpr_spill_count: 0
    .wavefront_size: 64
  - .agpr_count:     0
    .args:
      - .offset:         0
        .size:           48
        .value_kind:     by_value
    .group_segment_fixed_size: 0
    .kernarg_segment_align: 8
    .kernarg_segment_size: 48
    .language:       OpenCL C
    .language_version:
      - 2
      - 0
    .max_flat_workgroup_size: 1024
    .name:           _ZN7rocprim17ROCPRIM_400000_NS6detail17trampoline_kernelINS0_14default_configENS1_21merge_config_selectorIdNS0_10empty_typeEEEZNS1_10merge_implIS3_N6thrust23THRUST_200600_302600_NS6detail15normal_iteratorINS9_10device_ptrIKdEEEESF_NS9_16discard_iteratorINS9_11use_defaultEEEPS5_SJ_SJ_NS9_4lessIdEEEE10hipError_tPvRmT0_T1_T2_T3_T4_T5_mmT6_P12ihipStream_tbEUlT_E_NS1_11comp_targetILNS1_3genE10ELNS1_11target_archE1200ELNS1_3gpuE4ELNS1_3repE0EEENS1_30default_config_static_selectorELNS0_4arch9wavefront6targetE1EEEvSQ_
    .private_segment_fixed_size: 0
    .sgpr_count:     4
    .sgpr_spill_count: 0
    .symbol:         _ZN7rocprim17ROCPRIM_400000_NS6detail17trampoline_kernelINS0_14default_configENS1_21merge_config_selectorIdNS0_10empty_typeEEEZNS1_10merge_implIS3_N6thrust23THRUST_200600_302600_NS6detail15normal_iteratorINS9_10device_ptrIKdEEEESF_NS9_16discard_iteratorINS9_11use_defaultEEEPS5_SJ_SJ_NS9_4lessIdEEEE10hipError_tPvRmT0_T1_T2_T3_T4_T5_mmT6_P12ihipStream_tbEUlT_E_NS1_11comp_targetILNS1_3genE10ELNS1_11target_archE1200ELNS1_3gpuE4ELNS1_3repE0EEENS1_30default_config_static_selectorELNS0_4arch9wavefront6targetE1EEEvSQ_.kd
    .uniform_work_group_size: 1
    .uses_dynamic_stack: false
    .vgpr_count:     0
    .vgpr_spill_count: 0
    .wavefront_size: 64
  - .agpr_count:     0
    .args:
      - .offset:         0
        .size:           48
        .value_kind:     by_value
    .group_segment_fixed_size: 0
    .kernarg_segment_align: 8
    .kernarg_segment_size: 48
    .language:       OpenCL C
    .language_version:
      - 2
      - 0
    .max_flat_workgroup_size: 1024
    .name:           _ZN7rocprim17ROCPRIM_400000_NS6detail17trampoline_kernelINS0_14default_configENS1_21merge_config_selectorIdNS0_10empty_typeEEEZNS1_10merge_implIS3_N6thrust23THRUST_200600_302600_NS6detail15normal_iteratorINS9_10device_ptrIKdEEEESF_NS9_16discard_iteratorINS9_11use_defaultEEEPS5_SJ_SJ_NS9_4lessIdEEEE10hipError_tPvRmT0_T1_T2_T3_T4_T5_mmT6_P12ihipStream_tbEUlT_E_NS1_11comp_targetILNS1_3genE9ELNS1_11target_archE1100ELNS1_3gpuE3ELNS1_3repE0EEENS1_30default_config_static_selectorELNS0_4arch9wavefront6targetE1EEEvSQ_
    .private_segment_fixed_size: 0
    .sgpr_count:     4
    .sgpr_spill_count: 0
    .symbol:         _ZN7rocprim17ROCPRIM_400000_NS6detail17trampoline_kernelINS0_14default_configENS1_21merge_config_selectorIdNS0_10empty_typeEEEZNS1_10merge_implIS3_N6thrust23THRUST_200600_302600_NS6detail15normal_iteratorINS9_10device_ptrIKdEEEESF_NS9_16discard_iteratorINS9_11use_defaultEEEPS5_SJ_SJ_NS9_4lessIdEEEE10hipError_tPvRmT0_T1_T2_T3_T4_T5_mmT6_P12ihipStream_tbEUlT_E_NS1_11comp_targetILNS1_3genE9ELNS1_11target_archE1100ELNS1_3gpuE3ELNS1_3repE0EEENS1_30default_config_static_selectorELNS0_4arch9wavefront6targetE1EEEvSQ_.kd
    .uniform_work_group_size: 1
    .uses_dynamic_stack: false
    .vgpr_count:     0
    .vgpr_spill_count: 0
    .wavefront_size: 64
  - .agpr_count:     0
    .args:
      - .offset:         0
        .size:           48
        .value_kind:     by_value
    .group_segment_fixed_size: 0
    .kernarg_segment_align: 8
    .kernarg_segment_size: 48
    .language:       OpenCL C
    .language_version:
      - 2
      - 0
    .max_flat_workgroup_size: 1024
    .name:           _ZN7rocprim17ROCPRIM_400000_NS6detail17trampoline_kernelINS0_14default_configENS1_21merge_config_selectorIdNS0_10empty_typeEEEZNS1_10merge_implIS3_N6thrust23THRUST_200600_302600_NS6detail15normal_iteratorINS9_10device_ptrIKdEEEESF_NS9_16discard_iteratorINS9_11use_defaultEEEPS5_SJ_SJ_NS9_4lessIdEEEE10hipError_tPvRmT0_T1_T2_T3_T4_T5_mmT6_P12ihipStream_tbEUlT_E_NS1_11comp_targetILNS1_3genE8ELNS1_11target_archE1030ELNS1_3gpuE2ELNS1_3repE0EEENS1_30default_config_static_selectorELNS0_4arch9wavefront6targetE1EEEvSQ_
    .private_segment_fixed_size: 0
    .sgpr_count:     4
    .sgpr_spill_count: 0
    .symbol:         _ZN7rocprim17ROCPRIM_400000_NS6detail17trampoline_kernelINS0_14default_configENS1_21merge_config_selectorIdNS0_10empty_typeEEEZNS1_10merge_implIS3_N6thrust23THRUST_200600_302600_NS6detail15normal_iteratorINS9_10device_ptrIKdEEEESF_NS9_16discard_iteratorINS9_11use_defaultEEEPS5_SJ_SJ_NS9_4lessIdEEEE10hipError_tPvRmT0_T1_T2_T3_T4_T5_mmT6_P12ihipStream_tbEUlT_E_NS1_11comp_targetILNS1_3genE8ELNS1_11target_archE1030ELNS1_3gpuE2ELNS1_3repE0EEENS1_30default_config_static_selectorELNS0_4arch9wavefront6targetE1EEEvSQ_.kd
    .uniform_work_group_size: 1
    .uses_dynamic_stack: false
    .vgpr_count:     0
    .vgpr_spill_count: 0
    .wavefront_size: 64
  - .agpr_count:     0
    .args:
      - .offset:         0
        .size:           96
        .value_kind:     by_value
    .group_segment_fixed_size: 0
    .kernarg_segment_align: 8
    .kernarg_segment_size: 96
    .language:       OpenCL C
    .language_version:
      - 2
      - 0
    .max_flat_workgroup_size: 256
    .name:           _ZN7rocprim17ROCPRIM_400000_NS6detail17trampoline_kernelINS0_14default_configENS1_21merge_config_selectorIdNS0_10empty_typeEEEZNS1_10merge_implIS3_N6thrust23THRUST_200600_302600_NS6detail15normal_iteratorINS9_10device_ptrIKdEEEESF_NS9_16discard_iteratorINS9_11use_defaultEEEPS5_SJ_SJ_NS9_4lessIdEEEE10hipError_tPvRmT0_T1_T2_T3_T4_T5_mmT6_P12ihipStream_tbEUlT_E0_NS1_11comp_targetILNS1_3genE0ELNS1_11target_archE4294967295ELNS1_3gpuE0ELNS1_3repE0EEENS1_30default_config_static_selectorELNS0_4arch9wavefront6targetE1EEEvSQ_
    .private_segment_fixed_size: 0
    .sgpr_count:     4
    .sgpr_spill_count: 0
    .symbol:         _ZN7rocprim17ROCPRIM_400000_NS6detail17trampoline_kernelINS0_14default_configENS1_21merge_config_selectorIdNS0_10empty_typeEEEZNS1_10merge_implIS3_N6thrust23THRUST_200600_302600_NS6detail15normal_iteratorINS9_10device_ptrIKdEEEESF_NS9_16discard_iteratorINS9_11use_defaultEEEPS5_SJ_SJ_NS9_4lessIdEEEE10hipError_tPvRmT0_T1_T2_T3_T4_T5_mmT6_P12ihipStream_tbEUlT_E0_NS1_11comp_targetILNS1_3genE0ELNS1_11target_archE4294967295ELNS1_3gpuE0ELNS1_3repE0EEENS1_30default_config_static_selectorELNS0_4arch9wavefront6targetE1EEEvSQ_.kd
    .uniform_work_group_size: 1
    .uses_dynamic_stack: false
    .vgpr_count:     0
    .vgpr_spill_count: 0
    .wavefront_size: 64
  - .agpr_count:     0
    .args:
      - .offset:         0
        .size:           96
        .value_kind:     by_value
    .group_segment_fixed_size: 0
    .kernarg_segment_align: 8
    .kernarg_segment_size: 96
    .language:       OpenCL C
    .language_version:
      - 2
      - 0
    .max_flat_workgroup_size: 256
    .name:           _ZN7rocprim17ROCPRIM_400000_NS6detail17trampoline_kernelINS0_14default_configENS1_21merge_config_selectorIdNS0_10empty_typeEEEZNS1_10merge_implIS3_N6thrust23THRUST_200600_302600_NS6detail15normal_iteratorINS9_10device_ptrIKdEEEESF_NS9_16discard_iteratorINS9_11use_defaultEEEPS5_SJ_SJ_NS9_4lessIdEEEE10hipError_tPvRmT0_T1_T2_T3_T4_T5_mmT6_P12ihipStream_tbEUlT_E0_NS1_11comp_targetILNS1_3genE5ELNS1_11target_archE942ELNS1_3gpuE9ELNS1_3repE0EEENS1_30default_config_static_selectorELNS0_4arch9wavefront6targetE1EEEvSQ_
    .private_segment_fixed_size: 0
    .sgpr_count:     4
    .sgpr_spill_count: 0
    .symbol:         _ZN7rocprim17ROCPRIM_400000_NS6detail17trampoline_kernelINS0_14default_configENS1_21merge_config_selectorIdNS0_10empty_typeEEEZNS1_10merge_implIS3_N6thrust23THRUST_200600_302600_NS6detail15normal_iteratorINS9_10device_ptrIKdEEEESF_NS9_16discard_iteratorINS9_11use_defaultEEEPS5_SJ_SJ_NS9_4lessIdEEEE10hipError_tPvRmT0_T1_T2_T3_T4_T5_mmT6_P12ihipStream_tbEUlT_E0_NS1_11comp_targetILNS1_3genE5ELNS1_11target_archE942ELNS1_3gpuE9ELNS1_3repE0EEENS1_30default_config_static_selectorELNS0_4arch9wavefront6targetE1EEEvSQ_.kd
    .uniform_work_group_size: 1
    .uses_dynamic_stack: false
    .vgpr_count:     0
    .vgpr_spill_count: 0
    .wavefront_size: 64
  - .agpr_count:     0
    .args:
      - .offset:         0
        .size:           96
        .value_kind:     by_value
    .group_segment_fixed_size: 8448
    .kernarg_segment_align: 8
    .kernarg_segment_size: 96
    .language:       OpenCL C
    .language_version:
      - 2
      - 0
    .max_flat_workgroup_size: 256
    .name:           _ZN7rocprim17ROCPRIM_400000_NS6detail17trampoline_kernelINS0_14default_configENS1_21merge_config_selectorIdNS0_10empty_typeEEEZNS1_10merge_implIS3_N6thrust23THRUST_200600_302600_NS6detail15normal_iteratorINS9_10device_ptrIKdEEEESF_NS9_16discard_iteratorINS9_11use_defaultEEEPS5_SJ_SJ_NS9_4lessIdEEEE10hipError_tPvRmT0_T1_T2_T3_T4_T5_mmT6_P12ihipStream_tbEUlT_E0_NS1_11comp_targetILNS1_3genE4ELNS1_11target_archE910ELNS1_3gpuE8ELNS1_3repE0EEENS1_30default_config_static_selectorELNS0_4arch9wavefront6targetE1EEEvSQ_
    .private_segment_fixed_size: 0
    .sgpr_count:     21
    .sgpr_spill_count: 0
    .symbol:         _ZN7rocprim17ROCPRIM_400000_NS6detail17trampoline_kernelINS0_14default_configENS1_21merge_config_selectorIdNS0_10empty_typeEEEZNS1_10merge_implIS3_N6thrust23THRUST_200600_302600_NS6detail15normal_iteratorINS9_10device_ptrIKdEEEESF_NS9_16discard_iteratorINS9_11use_defaultEEEPS5_SJ_SJ_NS9_4lessIdEEEE10hipError_tPvRmT0_T1_T2_T3_T4_T5_mmT6_P12ihipStream_tbEUlT_E0_NS1_11comp_targetILNS1_3genE4ELNS1_11target_archE910ELNS1_3gpuE8ELNS1_3repE0EEENS1_30default_config_static_selectorELNS0_4arch9wavefront6targetE1EEEvSQ_.kd
    .uniform_work_group_size: 1
    .uses_dynamic_stack: false
    .vgpr_count:     20
    .vgpr_spill_count: 0
    .wavefront_size: 64
  - .agpr_count:     0
    .args:
      - .offset:         0
        .size:           96
        .value_kind:     by_value
    .group_segment_fixed_size: 0
    .kernarg_segment_align: 8
    .kernarg_segment_size: 96
    .language:       OpenCL C
    .language_version:
      - 2
      - 0
    .max_flat_workgroup_size: 256
    .name:           _ZN7rocprim17ROCPRIM_400000_NS6detail17trampoline_kernelINS0_14default_configENS1_21merge_config_selectorIdNS0_10empty_typeEEEZNS1_10merge_implIS3_N6thrust23THRUST_200600_302600_NS6detail15normal_iteratorINS9_10device_ptrIKdEEEESF_NS9_16discard_iteratorINS9_11use_defaultEEEPS5_SJ_SJ_NS9_4lessIdEEEE10hipError_tPvRmT0_T1_T2_T3_T4_T5_mmT6_P12ihipStream_tbEUlT_E0_NS1_11comp_targetILNS1_3genE3ELNS1_11target_archE908ELNS1_3gpuE7ELNS1_3repE0EEENS1_30default_config_static_selectorELNS0_4arch9wavefront6targetE1EEEvSQ_
    .private_segment_fixed_size: 0
    .sgpr_count:     4
    .sgpr_spill_count: 0
    .symbol:         _ZN7rocprim17ROCPRIM_400000_NS6detail17trampoline_kernelINS0_14default_configENS1_21merge_config_selectorIdNS0_10empty_typeEEEZNS1_10merge_implIS3_N6thrust23THRUST_200600_302600_NS6detail15normal_iteratorINS9_10device_ptrIKdEEEESF_NS9_16discard_iteratorINS9_11use_defaultEEEPS5_SJ_SJ_NS9_4lessIdEEEE10hipError_tPvRmT0_T1_T2_T3_T4_T5_mmT6_P12ihipStream_tbEUlT_E0_NS1_11comp_targetILNS1_3genE3ELNS1_11target_archE908ELNS1_3gpuE7ELNS1_3repE0EEENS1_30default_config_static_selectorELNS0_4arch9wavefront6targetE1EEEvSQ_.kd
    .uniform_work_group_size: 1
    .uses_dynamic_stack: false
    .vgpr_count:     0
    .vgpr_spill_count: 0
    .wavefront_size: 64
  - .agpr_count:     0
    .args:
      - .offset:         0
        .size:           96
        .value_kind:     by_value
    .group_segment_fixed_size: 0
    .kernarg_segment_align: 8
    .kernarg_segment_size: 96
    .language:       OpenCL C
    .language_version:
      - 2
      - 0
    .max_flat_workgroup_size: 256
    .name:           _ZN7rocprim17ROCPRIM_400000_NS6detail17trampoline_kernelINS0_14default_configENS1_21merge_config_selectorIdNS0_10empty_typeEEEZNS1_10merge_implIS3_N6thrust23THRUST_200600_302600_NS6detail15normal_iteratorINS9_10device_ptrIKdEEEESF_NS9_16discard_iteratorINS9_11use_defaultEEEPS5_SJ_SJ_NS9_4lessIdEEEE10hipError_tPvRmT0_T1_T2_T3_T4_T5_mmT6_P12ihipStream_tbEUlT_E0_NS1_11comp_targetILNS1_3genE2ELNS1_11target_archE906ELNS1_3gpuE6ELNS1_3repE0EEENS1_30default_config_static_selectorELNS0_4arch9wavefront6targetE1EEEvSQ_
    .private_segment_fixed_size: 0
    .sgpr_count:     4
    .sgpr_spill_count: 0
    .symbol:         _ZN7rocprim17ROCPRIM_400000_NS6detail17trampoline_kernelINS0_14default_configENS1_21merge_config_selectorIdNS0_10empty_typeEEEZNS1_10merge_implIS3_N6thrust23THRUST_200600_302600_NS6detail15normal_iteratorINS9_10device_ptrIKdEEEESF_NS9_16discard_iteratorINS9_11use_defaultEEEPS5_SJ_SJ_NS9_4lessIdEEEE10hipError_tPvRmT0_T1_T2_T3_T4_T5_mmT6_P12ihipStream_tbEUlT_E0_NS1_11comp_targetILNS1_3genE2ELNS1_11target_archE906ELNS1_3gpuE6ELNS1_3repE0EEENS1_30default_config_static_selectorELNS0_4arch9wavefront6targetE1EEEvSQ_.kd
    .uniform_work_group_size: 1
    .uses_dynamic_stack: false
    .vgpr_count:     0
    .vgpr_spill_count: 0
    .wavefront_size: 64
  - .agpr_count:     0
    .args:
      - .offset:         0
        .size:           96
        .value_kind:     by_value
    .group_segment_fixed_size: 0
    .kernarg_segment_align: 8
    .kernarg_segment_size: 96
    .language:       OpenCL C
    .language_version:
      - 2
      - 0
    .max_flat_workgroup_size: 512
    .name:           _ZN7rocprim17ROCPRIM_400000_NS6detail17trampoline_kernelINS0_14default_configENS1_21merge_config_selectorIdNS0_10empty_typeEEEZNS1_10merge_implIS3_N6thrust23THRUST_200600_302600_NS6detail15normal_iteratorINS9_10device_ptrIKdEEEESF_NS9_16discard_iteratorINS9_11use_defaultEEEPS5_SJ_SJ_NS9_4lessIdEEEE10hipError_tPvRmT0_T1_T2_T3_T4_T5_mmT6_P12ihipStream_tbEUlT_E0_NS1_11comp_targetILNS1_3genE10ELNS1_11target_archE1201ELNS1_3gpuE5ELNS1_3repE0EEENS1_30default_config_static_selectorELNS0_4arch9wavefront6targetE1EEEvSQ_
    .private_segment_fixed_size: 0
    .sgpr_count:     4
    .sgpr_spill_count: 0
    .symbol:         _ZN7rocprim17ROCPRIM_400000_NS6detail17trampoline_kernelINS0_14default_configENS1_21merge_config_selectorIdNS0_10empty_typeEEEZNS1_10merge_implIS3_N6thrust23THRUST_200600_302600_NS6detail15normal_iteratorINS9_10device_ptrIKdEEEESF_NS9_16discard_iteratorINS9_11use_defaultEEEPS5_SJ_SJ_NS9_4lessIdEEEE10hipError_tPvRmT0_T1_T2_T3_T4_T5_mmT6_P12ihipStream_tbEUlT_E0_NS1_11comp_targetILNS1_3genE10ELNS1_11target_archE1201ELNS1_3gpuE5ELNS1_3repE0EEENS1_30default_config_static_selectorELNS0_4arch9wavefront6targetE1EEEvSQ_.kd
    .uniform_work_group_size: 1
    .uses_dynamic_stack: false
    .vgpr_count:     0
    .vgpr_spill_count: 0
    .wavefront_size: 64
  - .agpr_count:     0
    .args:
      - .offset:         0
        .size:           96
        .value_kind:     by_value
    .group_segment_fixed_size: 0
    .kernarg_segment_align: 8
    .kernarg_segment_size: 96
    .language:       OpenCL C
    .language_version:
      - 2
      - 0
    .max_flat_workgroup_size: 1024
    .name:           _ZN7rocprim17ROCPRIM_400000_NS6detail17trampoline_kernelINS0_14default_configENS1_21merge_config_selectorIdNS0_10empty_typeEEEZNS1_10merge_implIS3_N6thrust23THRUST_200600_302600_NS6detail15normal_iteratorINS9_10device_ptrIKdEEEESF_NS9_16discard_iteratorINS9_11use_defaultEEEPS5_SJ_SJ_NS9_4lessIdEEEE10hipError_tPvRmT0_T1_T2_T3_T4_T5_mmT6_P12ihipStream_tbEUlT_E0_NS1_11comp_targetILNS1_3genE10ELNS1_11target_archE1200ELNS1_3gpuE4ELNS1_3repE0EEENS1_30default_config_static_selectorELNS0_4arch9wavefront6targetE1EEEvSQ_
    .private_segment_fixed_size: 0
    .sgpr_count:     4
    .sgpr_spill_count: 0
    .symbol:         _ZN7rocprim17ROCPRIM_400000_NS6detail17trampoline_kernelINS0_14default_configENS1_21merge_config_selectorIdNS0_10empty_typeEEEZNS1_10merge_implIS3_N6thrust23THRUST_200600_302600_NS6detail15normal_iteratorINS9_10device_ptrIKdEEEESF_NS9_16discard_iteratorINS9_11use_defaultEEEPS5_SJ_SJ_NS9_4lessIdEEEE10hipError_tPvRmT0_T1_T2_T3_T4_T5_mmT6_P12ihipStream_tbEUlT_E0_NS1_11comp_targetILNS1_3genE10ELNS1_11target_archE1200ELNS1_3gpuE4ELNS1_3repE0EEENS1_30default_config_static_selectorELNS0_4arch9wavefront6targetE1EEEvSQ_.kd
    .uniform_work_group_size: 1
    .uses_dynamic_stack: false
    .vgpr_count:     0
    .vgpr_spill_count: 0
    .wavefront_size: 64
  - .agpr_count:     0
    .args:
      - .offset:         0
        .size:           96
        .value_kind:     by_value
    .group_segment_fixed_size: 0
    .kernarg_segment_align: 8
    .kernarg_segment_size: 96
    .language:       OpenCL C
    .language_version:
      - 2
      - 0
    .max_flat_workgroup_size: 1024
    .name:           _ZN7rocprim17ROCPRIM_400000_NS6detail17trampoline_kernelINS0_14default_configENS1_21merge_config_selectorIdNS0_10empty_typeEEEZNS1_10merge_implIS3_N6thrust23THRUST_200600_302600_NS6detail15normal_iteratorINS9_10device_ptrIKdEEEESF_NS9_16discard_iteratorINS9_11use_defaultEEEPS5_SJ_SJ_NS9_4lessIdEEEE10hipError_tPvRmT0_T1_T2_T3_T4_T5_mmT6_P12ihipStream_tbEUlT_E0_NS1_11comp_targetILNS1_3genE9ELNS1_11target_archE1100ELNS1_3gpuE3ELNS1_3repE0EEENS1_30default_config_static_selectorELNS0_4arch9wavefront6targetE1EEEvSQ_
    .private_segment_fixed_size: 0
    .sgpr_count:     4
    .sgpr_spill_count: 0
    .symbol:         _ZN7rocprim17ROCPRIM_400000_NS6detail17trampoline_kernelINS0_14default_configENS1_21merge_config_selectorIdNS0_10empty_typeEEEZNS1_10merge_implIS3_N6thrust23THRUST_200600_302600_NS6detail15normal_iteratorINS9_10device_ptrIKdEEEESF_NS9_16discard_iteratorINS9_11use_defaultEEEPS5_SJ_SJ_NS9_4lessIdEEEE10hipError_tPvRmT0_T1_T2_T3_T4_T5_mmT6_P12ihipStream_tbEUlT_E0_NS1_11comp_targetILNS1_3genE9ELNS1_11target_archE1100ELNS1_3gpuE3ELNS1_3repE0EEENS1_30default_config_static_selectorELNS0_4arch9wavefront6targetE1EEEvSQ_.kd
    .uniform_work_group_size: 1
    .uses_dynamic_stack: false
    .vgpr_count:     0
    .vgpr_spill_count: 0
    .wavefront_size: 64
  - .agpr_count:     0
    .args:
      - .offset:         0
        .size:           96
        .value_kind:     by_value
    .group_segment_fixed_size: 0
    .kernarg_segment_align: 8
    .kernarg_segment_size: 96
    .language:       OpenCL C
    .language_version:
      - 2
      - 0
    .max_flat_workgroup_size: 1024
    .name:           _ZN7rocprim17ROCPRIM_400000_NS6detail17trampoline_kernelINS0_14default_configENS1_21merge_config_selectorIdNS0_10empty_typeEEEZNS1_10merge_implIS3_N6thrust23THRUST_200600_302600_NS6detail15normal_iteratorINS9_10device_ptrIKdEEEESF_NS9_16discard_iteratorINS9_11use_defaultEEEPS5_SJ_SJ_NS9_4lessIdEEEE10hipError_tPvRmT0_T1_T2_T3_T4_T5_mmT6_P12ihipStream_tbEUlT_E0_NS1_11comp_targetILNS1_3genE8ELNS1_11target_archE1030ELNS1_3gpuE2ELNS1_3repE0EEENS1_30default_config_static_selectorELNS0_4arch9wavefront6targetE1EEEvSQ_
    .private_segment_fixed_size: 0
    .sgpr_count:     4
    .sgpr_spill_count: 0
    .symbol:         _ZN7rocprim17ROCPRIM_400000_NS6detail17trampoline_kernelINS0_14default_configENS1_21merge_config_selectorIdNS0_10empty_typeEEEZNS1_10merge_implIS3_N6thrust23THRUST_200600_302600_NS6detail15normal_iteratorINS9_10device_ptrIKdEEEESF_NS9_16discard_iteratorINS9_11use_defaultEEEPS5_SJ_SJ_NS9_4lessIdEEEE10hipError_tPvRmT0_T1_T2_T3_T4_T5_mmT6_P12ihipStream_tbEUlT_E0_NS1_11comp_targetILNS1_3genE8ELNS1_11target_archE1030ELNS1_3gpuE2ELNS1_3repE0EEENS1_30default_config_static_selectorELNS0_4arch9wavefront6targetE1EEEvSQ_.kd
    .uniform_work_group_size: 1
    .uses_dynamic_stack: false
    .vgpr_count:     0
    .vgpr_spill_count: 0
    .wavefront_size: 64
  - .agpr_count:     0
    .args:
      - .offset:         0
        .size:           48
        .value_kind:     by_value
    .group_segment_fixed_size: 0
    .kernarg_segment_align: 8
    .kernarg_segment_size: 48
    .language:       OpenCL C
    .language_version:
      - 2
      - 0
    .max_flat_workgroup_size: 512
    .name:           _ZN7rocprim17ROCPRIM_400000_NS6detail17trampoline_kernelINS0_14default_configENS1_21merge_config_selectorIfNS0_10empty_typeEEEZNS1_10merge_implIS3_N6thrust23THRUST_200600_302600_NS6detail15normal_iteratorINS9_10device_ptrIKfEEEESF_NS9_16discard_iteratorINS9_11use_defaultEEEPS5_SJ_SJ_NS9_4lessIfEEEE10hipError_tPvRmT0_T1_T2_T3_T4_T5_mmT6_P12ihipStream_tbEUlT_E_NS1_11comp_targetILNS1_3genE0ELNS1_11target_archE4294967295ELNS1_3gpuE0ELNS1_3repE0EEENS1_30default_config_static_selectorELNS0_4arch9wavefront6targetE1EEEvSQ_
    .private_segment_fixed_size: 0
    .sgpr_count:     4
    .sgpr_spill_count: 0
    .symbol:         _ZN7rocprim17ROCPRIM_400000_NS6detail17trampoline_kernelINS0_14default_configENS1_21merge_config_selectorIfNS0_10empty_typeEEEZNS1_10merge_implIS3_N6thrust23THRUST_200600_302600_NS6detail15normal_iteratorINS9_10device_ptrIKfEEEESF_NS9_16discard_iteratorINS9_11use_defaultEEEPS5_SJ_SJ_NS9_4lessIfEEEE10hipError_tPvRmT0_T1_T2_T3_T4_T5_mmT6_P12ihipStream_tbEUlT_E_NS1_11comp_targetILNS1_3genE0ELNS1_11target_archE4294967295ELNS1_3gpuE0ELNS1_3repE0EEENS1_30default_config_static_selectorELNS0_4arch9wavefront6targetE1EEEvSQ_.kd
    .uniform_work_group_size: 1
    .uses_dynamic_stack: false
    .vgpr_count:     0
    .vgpr_spill_count: 0
    .wavefront_size: 64
  - .agpr_count:     0
    .args:
      - .offset:         0
        .size:           48
        .value_kind:     by_value
    .group_segment_fixed_size: 0
    .kernarg_segment_align: 8
    .kernarg_segment_size: 48
    .language:       OpenCL C
    .language_version:
      - 2
      - 0
    .max_flat_workgroup_size: 256
    .name:           _ZN7rocprim17ROCPRIM_400000_NS6detail17trampoline_kernelINS0_14default_configENS1_21merge_config_selectorIfNS0_10empty_typeEEEZNS1_10merge_implIS3_N6thrust23THRUST_200600_302600_NS6detail15normal_iteratorINS9_10device_ptrIKfEEEESF_NS9_16discard_iteratorINS9_11use_defaultEEEPS5_SJ_SJ_NS9_4lessIfEEEE10hipError_tPvRmT0_T1_T2_T3_T4_T5_mmT6_P12ihipStream_tbEUlT_E_NS1_11comp_targetILNS1_3genE5ELNS1_11target_archE942ELNS1_3gpuE9ELNS1_3repE0EEENS1_30default_config_static_selectorELNS0_4arch9wavefront6targetE1EEEvSQ_
    .private_segment_fixed_size: 0
    .sgpr_count:     4
    .sgpr_spill_count: 0
    .symbol:         _ZN7rocprim17ROCPRIM_400000_NS6detail17trampoline_kernelINS0_14default_configENS1_21merge_config_selectorIfNS0_10empty_typeEEEZNS1_10merge_implIS3_N6thrust23THRUST_200600_302600_NS6detail15normal_iteratorINS9_10device_ptrIKfEEEESF_NS9_16discard_iteratorINS9_11use_defaultEEEPS5_SJ_SJ_NS9_4lessIfEEEE10hipError_tPvRmT0_T1_T2_T3_T4_T5_mmT6_P12ihipStream_tbEUlT_E_NS1_11comp_targetILNS1_3genE5ELNS1_11target_archE942ELNS1_3gpuE9ELNS1_3repE0EEENS1_30default_config_static_selectorELNS0_4arch9wavefront6targetE1EEEvSQ_.kd
    .uniform_work_group_size: 1
    .uses_dynamic_stack: false
    .vgpr_count:     0
    .vgpr_spill_count: 0
    .wavefront_size: 64
  - .agpr_count:     0
    .args:
      - .offset:         0
        .size:           48
        .value_kind:     by_value
      - .offset:         48
        .size:           4
        .value_kind:     hidden_block_count_x
      - .offset:         52
        .size:           4
        .value_kind:     hidden_block_count_y
      - .offset:         56
        .size:           4
        .value_kind:     hidden_block_count_z
      - .offset:         60
        .size:           2
        .value_kind:     hidden_group_size_x
      - .offset:         62
        .size:           2
        .value_kind:     hidden_group_size_y
      - .offset:         64
        .size:           2
        .value_kind:     hidden_group_size_z
      - .offset:         66
        .size:           2
        .value_kind:     hidden_remainder_x
      - .offset:         68
        .size:           2
        .value_kind:     hidden_remainder_y
      - .offset:         70
        .size:           2
        .value_kind:     hidden_remainder_z
      - .offset:         88
        .size:           8
        .value_kind:     hidden_global_offset_x
      - .offset:         96
        .size:           8
        .value_kind:     hidden_global_offset_y
      - .offset:         104
        .size:           8
        .value_kind:     hidden_global_offset_z
      - .offset:         112
        .size:           2
        .value_kind:     hidden_grid_dims
    .group_segment_fixed_size: 0
    .kernarg_segment_align: 8
    .kernarg_segment_size: 304
    .language:       OpenCL C
    .language_version:
      - 2
      - 0
    .max_flat_workgroup_size: 256
    .name:           _ZN7rocprim17ROCPRIM_400000_NS6detail17trampoline_kernelINS0_14default_configENS1_21merge_config_selectorIfNS0_10empty_typeEEEZNS1_10merge_implIS3_N6thrust23THRUST_200600_302600_NS6detail15normal_iteratorINS9_10device_ptrIKfEEEESF_NS9_16discard_iteratorINS9_11use_defaultEEEPS5_SJ_SJ_NS9_4lessIfEEEE10hipError_tPvRmT0_T1_T2_T3_T4_T5_mmT6_P12ihipStream_tbEUlT_E_NS1_11comp_targetILNS1_3genE4ELNS1_11target_archE910ELNS1_3gpuE8ELNS1_3repE0EEENS1_30default_config_static_selectorELNS0_4arch9wavefront6targetE1EEEvSQ_
    .private_segment_fixed_size: 0
    .sgpr_count:     18
    .sgpr_spill_count: 0
    .symbol:         _ZN7rocprim17ROCPRIM_400000_NS6detail17trampoline_kernelINS0_14default_configENS1_21merge_config_selectorIfNS0_10empty_typeEEEZNS1_10merge_implIS3_N6thrust23THRUST_200600_302600_NS6detail15normal_iteratorINS9_10device_ptrIKfEEEESF_NS9_16discard_iteratorINS9_11use_defaultEEEPS5_SJ_SJ_NS9_4lessIfEEEE10hipError_tPvRmT0_T1_T2_T3_T4_T5_mmT6_P12ihipStream_tbEUlT_E_NS1_11comp_targetILNS1_3genE4ELNS1_11target_archE910ELNS1_3gpuE8ELNS1_3repE0EEENS1_30default_config_static_selectorELNS0_4arch9wavefront6targetE1EEEvSQ_.kd
    .uniform_work_group_size: 1
    .uses_dynamic_stack: false
    .vgpr_count:     14
    .vgpr_spill_count: 0
    .wavefront_size: 64
  - .agpr_count:     0
    .args:
      - .offset:         0
        .size:           48
        .value_kind:     by_value
    .group_segment_fixed_size: 0
    .kernarg_segment_align: 8
    .kernarg_segment_size: 48
    .language:       OpenCL C
    .language_version:
      - 2
      - 0
    .max_flat_workgroup_size: 512
    .name:           _ZN7rocprim17ROCPRIM_400000_NS6detail17trampoline_kernelINS0_14default_configENS1_21merge_config_selectorIfNS0_10empty_typeEEEZNS1_10merge_implIS3_N6thrust23THRUST_200600_302600_NS6detail15normal_iteratorINS9_10device_ptrIKfEEEESF_NS9_16discard_iteratorINS9_11use_defaultEEEPS5_SJ_SJ_NS9_4lessIfEEEE10hipError_tPvRmT0_T1_T2_T3_T4_T5_mmT6_P12ihipStream_tbEUlT_E_NS1_11comp_targetILNS1_3genE3ELNS1_11target_archE908ELNS1_3gpuE7ELNS1_3repE0EEENS1_30default_config_static_selectorELNS0_4arch9wavefront6targetE1EEEvSQ_
    .private_segment_fixed_size: 0
    .sgpr_count:     4
    .sgpr_spill_count: 0
    .symbol:         _ZN7rocprim17ROCPRIM_400000_NS6detail17trampoline_kernelINS0_14default_configENS1_21merge_config_selectorIfNS0_10empty_typeEEEZNS1_10merge_implIS3_N6thrust23THRUST_200600_302600_NS6detail15normal_iteratorINS9_10device_ptrIKfEEEESF_NS9_16discard_iteratorINS9_11use_defaultEEEPS5_SJ_SJ_NS9_4lessIfEEEE10hipError_tPvRmT0_T1_T2_T3_T4_T5_mmT6_P12ihipStream_tbEUlT_E_NS1_11comp_targetILNS1_3genE3ELNS1_11target_archE908ELNS1_3gpuE7ELNS1_3repE0EEENS1_30default_config_static_selectorELNS0_4arch9wavefront6targetE1EEEvSQ_.kd
    .uniform_work_group_size: 1
    .uses_dynamic_stack: false
    .vgpr_count:     0
    .vgpr_spill_count: 0
    .wavefront_size: 64
  - .agpr_count:     0
    .args:
      - .offset:         0
        .size:           48
        .value_kind:     by_value
    .group_segment_fixed_size: 0
    .kernarg_segment_align: 8
    .kernarg_segment_size: 48
    .language:       OpenCL C
    .language_version:
      - 2
      - 0
    .max_flat_workgroup_size: 256
    .name:           _ZN7rocprim17ROCPRIM_400000_NS6detail17trampoline_kernelINS0_14default_configENS1_21merge_config_selectorIfNS0_10empty_typeEEEZNS1_10merge_implIS3_N6thrust23THRUST_200600_302600_NS6detail15normal_iteratorINS9_10device_ptrIKfEEEESF_NS9_16discard_iteratorINS9_11use_defaultEEEPS5_SJ_SJ_NS9_4lessIfEEEE10hipError_tPvRmT0_T1_T2_T3_T4_T5_mmT6_P12ihipStream_tbEUlT_E_NS1_11comp_targetILNS1_3genE2ELNS1_11target_archE906ELNS1_3gpuE6ELNS1_3repE0EEENS1_30default_config_static_selectorELNS0_4arch9wavefront6targetE1EEEvSQ_
    .private_segment_fixed_size: 0
    .sgpr_count:     4
    .sgpr_spill_count: 0
    .symbol:         _ZN7rocprim17ROCPRIM_400000_NS6detail17trampoline_kernelINS0_14default_configENS1_21merge_config_selectorIfNS0_10empty_typeEEEZNS1_10merge_implIS3_N6thrust23THRUST_200600_302600_NS6detail15normal_iteratorINS9_10device_ptrIKfEEEESF_NS9_16discard_iteratorINS9_11use_defaultEEEPS5_SJ_SJ_NS9_4lessIfEEEE10hipError_tPvRmT0_T1_T2_T3_T4_T5_mmT6_P12ihipStream_tbEUlT_E_NS1_11comp_targetILNS1_3genE2ELNS1_11target_archE906ELNS1_3gpuE6ELNS1_3repE0EEENS1_30default_config_static_selectorELNS0_4arch9wavefront6targetE1EEEvSQ_.kd
    .uniform_work_group_size: 1
    .uses_dynamic_stack: false
    .vgpr_count:     0
    .vgpr_spill_count: 0
    .wavefront_size: 64
  - .agpr_count:     0
    .args:
      - .offset:         0
        .size:           48
        .value_kind:     by_value
    .group_segment_fixed_size: 0
    .kernarg_segment_align: 8
    .kernarg_segment_size: 48
    .language:       OpenCL C
    .language_version:
      - 2
      - 0
    .max_flat_workgroup_size: 1024
    .name:           _ZN7rocprim17ROCPRIM_400000_NS6detail17trampoline_kernelINS0_14default_configENS1_21merge_config_selectorIfNS0_10empty_typeEEEZNS1_10merge_implIS3_N6thrust23THRUST_200600_302600_NS6detail15normal_iteratorINS9_10device_ptrIKfEEEESF_NS9_16discard_iteratorINS9_11use_defaultEEEPS5_SJ_SJ_NS9_4lessIfEEEE10hipError_tPvRmT0_T1_T2_T3_T4_T5_mmT6_P12ihipStream_tbEUlT_E_NS1_11comp_targetILNS1_3genE10ELNS1_11target_archE1201ELNS1_3gpuE5ELNS1_3repE0EEENS1_30default_config_static_selectorELNS0_4arch9wavefront6targetE1EEEvSQ_
    .private_segment_fixed_size: 0
    .sgpr_count:     4
    .sgpr_spill_count: 0
    .symbol:         _ZN7rocprim17ROCPRIM_400000_NS6detail17trampoline_kernelINS0_14default_configENS1_21merge_config_selectorIfNS0_10empty_typeEEEZNS1_10merge_implIS3_N6thrust23THRUST_200600_302600_NS6detail15normal_iteratorINS9_10device_ptrIKfEEEESF_NS9_16discard_iteratorINS9_11use_defaultEEEPS5_SJ_SJ_NS9_4lessIfEEEE10hipError_tPvRmT0_T1_T2_T3_T4_T5_mmT6_P12ihipStream_tbEUlT_E_NS1_11comp_targetILNS1_3genE10ELNS1_11target_archE1201ELNS1_3gpuE5ELNS1_3repE0EEENS1_30default_config_static_selectorELNS0_4arch9wavefront6targetE1EEEvSQ_.kd
    .uniform_work_group_size: 1
    .uses_dynamic_stack: false
    .vgpr_count:     0
    .vgpr_spill_count: 0
    .wavefront_size: 64
  - .agpr_count:     0
    .args:
      - .offset:         0
        .size:           48
        .value_kind:     by_value
    .group_segment_fixed_size: 0
    .kernarg_segment_align: 8
    .kernarg_segment_size: 48
    .language:       OpenCL C
    .language_version:
      - 2
      - 0
    .max_flat_workgroup_size: 1024
    .name:           _ZN7rocprim17ROCPRIM_400000_NS6detail17trampoline_kernelINS0_14default_configENS1_21merge_config_selectorIfNS0_10empty_typeEEEZNS1_10merge_implIS3_N6thrust23THRUST_200600_302600_NS6detail15normal_iteratorINS9_10device_ptrIKfEEEESF_NS9_16discard_iteratorINS9_11use_defaultEEEPS5_SJ_SJ_NS9_4lessIfEEEE10hipError_tPvRmT0_T1_T2_T3_T4_T5_mmT6_P12ihipStream_tbEUlT_E_NS1_11comp_targetILNS1_3genE10ELNS1_11target_archE1200ELNS1_3gpuE4ELNS1_3repE0EEENS1_30default_config_static_selectorELNS0_4arch9wavefront6targetE1EEEvSQ_
    .private_segment_fixed_size: 0
    .sgpr_count:     4
    .sgpr_spill_count: 0
    .symbol:         _ZN7rocprim17ROCPRIM_400000_NS6detail17trampoline_kernelINS0_14default_configENS1_21merge_config_selectorIfNS0_10empty_typeEEEZNS1_10merge_implIS3_N6thrust23THRUST_200600_302600_NS6detail15normal_iteratorINS9_10device_ptrIKfEEEESF_NS9_16discard_iteratorINS9_11use_defaultEEEPS5_SJ_SJ_NS9_4lessIfEEEE10hipError_tPvRmT0_T1_T2_T3_T4_T5_mmT6_P12ihipStream_tbEUlT_E_NS1_11comp_targetILNS1_3genE10ELNS1_11target_archE1200ELNS1_3gpuE4ELNS1_3repE0EEENS1_30default_config_static_selectorELNS0_4arch9wavefront6targetE1EEEvSQ_.kd
    .uniform_work_group_size: 1
    .uses_dynamic_stack: false
    .vgpr_count:     0
    .vgpr_spill_count: 0
    .wavefront_size: 64
  - .agpr_count:     0
    .args:
      - .offset:         0
        .size:           48
        .value_kind:     by_value
    .group_segment_fixed_size: 0
    .kernarg_segment_align: 8
    .kernarg_segment_size: 48
    .language:       OpenCL C
    .language_version:
      - 2
      - 0
    .max_flat_workgroup_size: 1024
    .name:           _ZN7rocprim17ROCPRIM_400000_NS6detail17trampoline_kernelINS0_14default_configENS1_21merge_config_selectorIfNS0_10empty_typeEEEZNS1_10merge_implIS3_N6thrust23THRUST_200600_302600_NS6detail15normal_iteratorINS9_10device_ptrIKfEEEESF_NS9_16discard_iteratorINS9_11use_defaultEEEPS5_SJ_SJ_NS9_4lessIfEEEE10hipError_tPvRmT0_T1_T2_T3_T4_T5_mmT6_P12ihipStream_tbEUlT_E_NS1_11comp_targetILNS1_3genE9ELNS1_11target_archE1100ELNS1_3gpuE3ELNS1_3repE0EEENS1_30default_config_static_selectorELNS0_4arch9wavefront6targetE1EEEvSQ_
    .private_segment_fixed_size: 0
    .sgpr_count:     4
    .sgpr_spill_count: 0
    .symbol:         _ZN7rocprim17ROCPRIM_400000_NS6detail17trampoline_kernelINS0_14default_configENS1_21merge_config_selectorIfNS0_10empty_typeEEEZNS1_10merge_implIS3_N6thrust23THRUST_200600_302600_NS6detail15normal_iteratorINS9_10device_ptrIKfEEEESF_NS9_16discard_iteratorINS9_11use_defaultEEEPS5_SJ_SJ_NS9_4lessIfEEEE10hipError_tPvRmT0_T1_T2_T3_T4_T5_mmT6_P12ihipStream_tbEUlT_E_NS1_11comp_targetILNS1_3genE9ELNS1_11target_archE1100ELNS1_3gpuE3ELNS1_3repE0EEENS1_30default_config_static_selectorELNS0_4arch9wavefront6targetE1EEEvSQ_.kd
    .uniform_work_group_size: 1
    .uses_dynamic_stack: false
    .vgpr_count:     0
    .vgpr_spill_count: 0
    .wavefront_size: 64
  - .agpr_count:     0
    .args:
      - .offset:         0
        .size:           48
        .value_kind:     by_value
    .group_segment_fixed_size: 0
    .kernarg_segment_align: 8
    .kernarg_segment_size: 48
    .language:       OpenCL C
    .language_version:
      - 2
      - 0
    .max_flat_workgroup_size: 1024
    .name:           _ZN7rocprim17ROCPRIM_400000_NS6detail17trampoline_kernelINS0_14default_configENS1_21merge_config_selectorIfNS0_10empty_typeEEEZNS1_10merge_implIS3_N6thrust23THRUST_200600_302600_NS6detail15normal_iteratorINS9_10device_ptrIKfEEEESF_NS9_16discard_iteratorINS9_11use_defaultEEEPS5_SJ_SJ_NS9_4lessIfEEEE10hipError_tPvRmT0_T1_T2_T3_T4_T5_mmT6_P12ihipStream_tbEUlT_E_NS1_11comp_targetILNS1_3genE8ELNS1_11target_archE1030ELNS1_3gpuE2ELNS1_3repE0EEENS1_30default_config_static_selectorELNS0_4arch9wavefront6targetE1EEEvSQ_
    .private_segment_fixed_size: 0
    .sgpr_count:     4
    .sgpr_spill_count: 0
    .symbol:         _ZN7rocprim17ROCPRIM_400000_NS6detail17trampoline_kernelINS0_14default_configENS1_21merge_config_selectorIfNS0_10empty_typeEEEZNS1_10merge_implIS3_N6thrust23THRUST_200600_302600_NS6detail15normal_iteratorINS9_10device_ptrIKfEEEESF_NS9_16discard_iteratorINS9_11use_defaultEEEPS5_SJ_SJ_NS9_4lessIfEEEE10hipError_tPvRmT0_T1_T2_T3_T4_T5_mmT6_P12ihipStream_tbEUlT_E_NS1_11comp_targetILNS1_3genE8ELNS1_11target_archE1030ELNS1_3gpuE2ELNS1_3repE0EEENS1_30default_config_static_selectorELNS0_4arch9wavefront6targetE1EEEvSQ_.kd
    .uniform_work_group_size: 1
    .uses_dynamic_stack: false
    .vgpr_count:     0
    .vgpr_spill_count: 0
    .wavefront_size: 64
  - .agpr_count:     0
    .args:
      - .offset:         0
        .size:           96
        .value_kind:     by_value
    .group_segment_fixed_size: 0
    .kernarg_segment_align: 8
    .kernarg_segment_size: 96
    .language:       OpenCL C
    .language_version:
      - 2
      - 0
    .max_flat_workgroup_size: 512
    .name:           _ZN7rocprim17ROCPRIM_400000_NS6detail17trampoline_kernelINS0_14default_configENS1_21merge_config_selectorIfNS0_10empty_typeEEEZNS1_10merge_implIS3_N6thrust23THRUST_200600_302600_NS6detail15normal_iteratorINS9_10device_ptrIKfEEEESF_NS9_16discard_iteratorINS9_11use_defaultEEEPS5_SJ_SJ_NS9_4lessIfEEEE10hipError_tPvRmT0_T1_T2_T3_T4_T5_mmT6_P12ihipStream_tbEUlT_E0_NS1_11comp_targetILNS1_3genE0ELNS1_11target_archE4294967295ELNS1_3gpuE0ELNS1_3repE0EEENS1_30default_config_static_selectorELNS0_4arch9wavefront6targetE1EEEvSQ_
    .private_segment_fixed_size: 0
    .sgpr_count:     4
    .sgpr_spill_count: 0
    .symbol:         _ZN7rocprim17ROCPRIM_400000_NS6detail17trampoline_kernelINS0_14default_configENS1_21merge_config_selectorIfNS0_10empty_typeEEEZNS1_10merge_implIS3_N6thrust23THRUST_200600_302600_NS6detail15normal_iteratorINS9_10device_ptrIKfEEEESF_NS9_16discard_iteratorINS9_11use_defaultEEEPS5_SJ_SJ_NS9_4lessIfEEEE10hipError_tPvRmT0_T1_T2_T3_T4_T5_mmT6_P12ihipStream_tbEUlT_E0_NS1_11comp_targetILNS1_3genE0ELNS1_11target_archE4294967295ELNS1_3gpuE0ELNS1_3repE0EEENS1_30default_config_static_selectorELNS0_4arch9wavefront6targetE1EEEvSQ_.kd
    .uniform_work_group_size: 1
    .uses_dynamic_stack: false
    .vgpr_count:     0
    .vgpr_spill_count: 0
    .wavefront_size: 64
  - .agpr_count:     0
    .args:
      - .offset:         0
        .size:           96
        .value_kind:     by_value
    .group_segment_fixed_size: 0
    .kernarg_segment_align: 8
    .kernarg_segment_size: 96
    .language:       OpenCL C
    .language_version:
      - 2
      - 0
    .max_flat_workgroup_size: 256
    .name:           _ZN7rocprim17ROCPRIM_400000_NS6detail17trampoline_kernelINS0_14default_configENS1_21merge_config_selectorIfNS0_10empty_typeEEEZNS1_10merge_implIS3_N6thrust23THRUST_200600_302600_NS6detail15normal_iteratorINS9_10device_ptrIKfEEEESF_NS9_16discard_iteratorINS9_11use_defaultEEEPS5_SJ_SJ_NS9_4lessIfEEEE10hipError_tPvRmT0_T1_T2_T3_T4_T5_mmT6_P12ihipStream_tbEUlT_E0_NS1_11comp_targetILNS1_3genE5ELNS1_11target_archE942ELNS1_3gpuE9ELNS1_3repE0EEENS1_30default_config_static_selectorELNS0_4arch9wavefront6targetE1EEEvSQ_
    .private_segment_fixed_size: 0
    .sgpr_count:     4
    .sgpr_spill_count: 0
    .symbol:         _ZN7rocprim17ROCPRIM_400000_NS6detail17trampoline_kernelINS0_14default_configENS1_21merge_config_selectorIfNS0_10empty_typeEEEZNS1_10merge_implIS3_N6thrust23THRUST_200600_302600_NS6detail15normal_iteratorINS9_10device_ptrIKfEEEESF_NS9_16discard_iteratorINS9_11use_defaultEEEPS5_SJ_SJ_NS9_4lessIfEEEE10hipError_tPvRmT0_T1_T2_T3_T4_T5_mmT6_P12ihipStream_tbEUlT_E0_NS1_11comp_targetILNS1_3genE5ELNS1_11target_archE942ELNS1_3gpuE9ELNS1_3repE0EEENS1_30default_config_static_selectorELNS0_4arch9wavefront6targetE1EEEvSQ_.kd
    .uniform_work_group_size: 1
    .uses_dynamic_stack: false
    .vgpr_count:     0
    .vgpr_spill_count: 0
    .wavefront_size: 64
  - .agpr_count:     0
    .args:
      - .offset:         0
        .size:           96
        .value_kind:     by_value
    .group_segment_fixed_size: 10256
    .kernarg_segment_align: 8
    .kernarg_segment_size: 96
    .language:       OpenCL C
    .language_version:
      - 2
      - 0
    .max_flat_workgroup_size: 256
    .name:           _ZN7rocprim17ROCPRIM_400000_NS6detail17trampoline_kernelINS0_14default_configENS1_21merge_config_selectorIfNS0_10empty_typeEEEZNS1_10merge_implIS3_N6thrust23THRUST_200600_302600_NS6detail15normal_iteratorINS9_10device_ptrIKfEEEESF_NS9_16discard_iteratorINS9_11use_defaultEEEPS5_SJ_SJ_NS9_4lessIfEEEE10hipError_tPvRmT0_T1_T2_T3_T4_T5_mmT6_P12ihipStream_tbEUlT_E0_NS1_11comp_targetILNS1_3genE4ELNS1_11target_archE910ELNS1_3gpuE8ELNS1_3repE0EEENS1_30default_config_static_selectorELNS0_4arch9wavefront6targetE1EEEvSQ_
    .private_segment_fixed_size: 0
    .sgpr_count:     26
    .sgpr_spill_count: 0
    .symbol:         _ZN7rocprim17ROCPRIM_400000_NS6detail17trampoline_kernelINS0_14default_configENS1_21merge_config_selectorIfNS0_10empty_typeEEEZNS1_10merge_implIS3_N6thrust23THRUST_200600_302600_NS6detail15normal_iteratorINS9_10device_ptrIKfEEEESF_NS9_16discard_iteratorINS9_11use_defaultEEEPS5_SJ_SJ_NS9_4lessIfEEEE10hipError_tPvRmT0_T1_T2_T3_T4_T5_mmT6_P12ihipStream_tbEUlT_E0_NS1_11comp_targetILNS1_3genE4ELNS1_11target_archE910ELNS1_3gpuE8ELNS1_3repE0EEENS1_30default_config_static_selectorELNS0_4arch9wavefront6targetE1EEEvSQ_.kd
    .uniform_work_group_size: 1
    .uses_dynamic_stack: false
    .vgpr_count:     24
    .vgpr_spill_count: 0
    .wavefront_size: 64
  - .agpr_count:     0
    .args:
      - .offset:         0
        .size:           96
        .value_kind:     by_value
    .group_segment_fixed_size: 0
    .kernarg_segment_align: 8
    .kernarg_segment_size: 96
    .language:       OpenCL C
    .language_version:
      - 2
      - 0
    .max_flat_workgroup_size: 512
    .name:           _ZN7rocprim17ROCPRIM_400000_NS6detail17trampoline_kernelINS0_14default_configENS1_21merge_config_selectorIfNS0_10empty_typeEEEZNS1_10merge_implIS3_N6thrust23THRUST_200600_302600_NS6detail15normal_iteratorINS9_10device_ptrIKfEEEESF_NS9_16discard_iteratorINS9_11use_defaultEEEPS5_SJ_SJ_NS9_4lessIfEEEE10hipError_tPvRmT0_T1_T2_T3_T4_T5_mmT6_P12ihipStream_tbEUlT_E0_NS1_11comp_targetILNS1_3genE3ELNS1_11target_archE908ELNS1_3gpuE7ELNS1_3repE0EEENS1_30default_config_static_selectorELNS0_4arch9wavefront6targetE1EEEvSQ_
    .private_segment_fixed_size: 0
    .sgpr_count:     4
    .sgpr_spill_count: 0
    .symbol:         _ZN7rocprim17ROCPRIM_400000_NS6detail17trampoline_kernelINS0_14default_configENS1_21merge_config_selectorIfNS0_10empty_typeEEEZNS1_10merge_implIS3_N6thrust23THRUST_200600_302600_NS6detail15normal_iteratorINS9_10device_ptrIKfEEEESF_NS9_16discard_iteratorINS9_11use_defaultEEEPS5_SJ_SJ_NS9_4lessIfEEEE10hipError_tPvRmT0_T1_T2_T3_T4_T5_mmT6_P12ihipStream_tbEUlT_E0_NS1_11comp_targetILNS1_3genE3ELNS1_11target_archE908ELNS1_3gpuE7ELNS1_3repE0EEENS1_30default_config_static_selectorELNS0_4arch9wavefront6targetE1EEEvSQ_.kd
    .uniform_work_group_size: 1
    .uses_dynamic_stack: false
    .vgpr_count:     0
    .vgpr_spill_count: 0
    .wavefront_size: 64
  - .agpr_count:     0
    .args:
      - .offset:         0
        .size:           96
        .value_kind:     by_value
    .group_segment_fixed_size: 0
    .kernarg_segment_align: 8
    .kernarg_segment_size: 96
    .language:       OpenCL C
    .language_version:
      - 2
      - 0
    .max_flat_workgroup_size: 256
    .name:           _ZN7rocprim17ROCPRIM_400000_NS6detail17trampoline_kernelINS0_14default_configENS1_21merge_config_selectorIfNS0_10empty_typeEEEZNS1_10merge_implIS3_N6thrust23THRUST_200600_302600_NS6detail15normal_iteratorINS9_10device_ptrIKfEEEESF_NS9_16discard_iteratorINS9_11use_defaultEEEPS5_SJ_SJ_NS9_4lessIfEEEE10hipError_tPvRmT0_T1_T2_T3_T4_T5_mmT6_P12ihipStream_tbEUlT_E0_NS1_11comp_targetILNS1_3genE2ELNS1_11target_archE906ELNS1_3gpuE6ELNS1_3repE0EEENS1_30default_config_static_selectorELNS0_4arch9wavefront6targetE1EEEvSQ_
    .private_segment_fixed_size: 0
    .sgpr_count:     4
    .sgpr_spill_count: 0
    .symbol:         _ZN7rocprim17ROCPRIM_400000_NS6detail17trampoline_kernelINS0_14default_configENS1_21merge_config_selectorIfNS0_10empty_typeEEEZNS1_10merge_implIS3_N6thrust23THRUST_200600_302600_NS6detail15normal_iteratorINS9_10device_ptrIKfEEEESF_NS9_16discard_iteratorINS9_11use_defaultEEEPS5_SJ_SJ_NS9_4lessIfEEEE10hipError_tPvRmT0_T1_T2_T3_T4_T5_mmT6_P12ihipStream_tbEUlT_E0_NS1_11comp_targetILNS1_3genE2ELNS1_11target_archE906ELNS1_3gpuE6ELNS1_3repE0EEENS1_30default_config_static_selectorELNS0_4arch9wavefront6targetE1EEEvSQ_.kd
    .uniform_work_group_size: 1
    .uses_dynamic_stack: false
    .vgpr_count:     0
    .vgpr_spill_count: 0
    .wavefront_size: 64
  - .agpr_count:     0
    .args:
      - .offset:         0
        .size:           96
        .value_kind:     by_value
    .group_segment_fixed_size: 0
    .kernarg_segment_align: 8
    .kernarg_segment_size: 96
    .language:       OpenCL C
    .language_version:
      - 2
      - 0
    .max_flat_workgroup_size: 1024
    .name:           _ZN7rocprim17ROCPRIM_400000_NS6detail17trampoline_kernelINS0_14default_configENS1_21merge_config_selectorIfNS0_10empty_typeEEEZNS1_10merge_implIS3_N6thrust23THRUST_200600_302600_NS6detail15normal_iteratorINS9_10device_ptrIKfEEEESF_NS9_16discard_iteratorINS9_11use_defaultEEEPS5_SJ_SJ_NS9_4lessIfEEEE10hipError_tPvRmT0_T1_T2_T3_T4_T5_mmT6_P12ihipStream_tbEUlT_E0_NS1_11comp_targetILNS1_3genE10ELNS1_11target_archE1201ELNS1_3gpuE5ELNS1_3repE0EEENS1_30default_config_static_selectorELNS0_4arch9wavefront6targetE1EEEvSQ_
    .private_segment_fixed_size: 0
    .sgpr_count:     4
    .sgpr_spill_count: 0
    .symbol:         _ZN7rocprim17ROCPRIM_400000_NS6detail17trampoline_kernelINS0_14default_configENS1_21merge_config_selectorIfNS0_10empty_typeEEEZNS1_10merge_implIS3_N6thrust23THRUST_200600_302600_NS6detail15normal_iteratorINS9_10device_ptrIKfEEEESF_NS9_16discard_iteratorINS9_11use_defaultEEEPS5_SJ_SJ_NS9_4lessIfEEEE10hipError_tPvRmT0_T1_T2_T3_T4_T5_mmT6_P12ihipStream_tbEUlT_E0_NS1_11comp_targetILNS1_3genE10ELNS1_11target_archE1201ELNS1_3gpuE5ELNS1_3repE0EEENS1_30default_config_static_selectorELNS0_4arch9wavefront6targetE1EEEvSQ_.kd
    .uniform_work_group_size: 1
    .uses_dynamic_stack: false
    .vgpr_count:     0
    .vgpr_spill_count: 0
    .wavefront_size: 64
  - .agpr_count:     0
    .args:
      - .offset:         0
        .size:           96
        .value_kind:     by_value
    .group_segment_fixed_size: 0
    .kernarg_segment_align: 8
    .kernarg_segment_size: 96
    .language:       OpenCL C
    .language_version:
      - 2
      - 0
    .max_flat_workgroup_size: 1024
    .name:           _ZN7rocprim17ROCPRIM_400000_NS6detail17trampoline_kernelINS0_14default_configENS1_21merge_config_selectorIfNS0_10empty_typeEEEZNS1_10merge_implIS3_N6thrust23THRUST_200600_302600_NS6detail15normal_iteratorINS9_10device_ptrIKfEEEESF_NS9_16discard_iteratorINS9_11use_defaultEEEPS5_SJ_SJ_NS9_4lessIfEEEE10hipError_tPvRmT0_T1_T2_T3_T4_T5_mmT6_P12ihipStream_tbEUlT_E0_NS1_11comp_targetILNS1_3genE10ELNS1_11target_archE1200ELNS1_3gpuE4ELNS1_3repE0EEENS1_30default_config_static_selectorELNS0_4arch9wavefront6targetE1EEEvSQ_
    .private_segment_fixed_size: 0
    .sgpr_count:     4
    .sgpr_spill_count: 0
    .symbol:         _ZN7rocprim17ROCPRIM_400000_NS6detail17trampoline_kernelINS0_14default_configENS1_21merge_config_selectorIfNS0_10empty_typeEEEZNS1_10merge_implIS3_N6thrust23THRUST_200600_302600_NS6detail15normal_iteratorINS9_10device_ptrIKfEEEESF_NS9_16discard_iteratorINS9_11use_defaultEEEPS5_SJ_SJ_NS9_4lessIfEEEE10hipError_tPvRmT0_T1_T2_T3_T4_T5_mmT6_P12ihipStream_tbEUlT_E0_NS1_11comp_targetILNS1_3genE10ELNS1_11target_archE1200ELNS1_3gpuE4ELNS1_3repE0EEENS1_30default_config_static_selectorELNS0_4arch9wavefront6targetE1EEEvSQ_.kd
    .uniform_work_group_size: 1
    .uses_dynamic_stack: false
    .vgpr_count:     0
    .vgpr_spill_count: 0
    .wavefront_size: 64
  - .agpr_count:     0
    .args:
      - .offset:         0
        .size:           96
        .value_kind:     by_value
    .group_segment_fixed_size: 0
    .kernarg_segment_align: 8
    .kernarg_segment_size: 96
    .language:       OpenCL C
    .language_version:
      - 2
      - 0
    .max_flat_workgroup_size: 1024
    .name:           _ZN7rocprim17ROCPRIM_400000_NS6detail17trampoline_kernelINS0_14default_configENS1_21merge_config_selectorIfNS0_10empty_typeEEEZNS1_10merge_implIS3_N6thrust23THRUST_200600_302600_NS6detail15normal_iteratorINS9_10device_ptrIKfEEEESF_NS9_16discard_iteratorINS9_11use_defaultEEEPS5_SJ_SJ_NS9_4lessIfEEEE10hipError_tPvRmT0_T1_T2_T3_T4_T5_mmT6_P12ihipStream_tbEUlT_E0_NS1_11comp_targetILNS1_3genE9ELNS1_11target_archE1100ELNS1_3gpuE3ELNS1_3repE0EEENS1_30default_config_static_selectorELNS0_4arch9wavefront6targetE1EEEvSQ_
    .private_segment_fixed_size: 0
    .sgpr_count:     4
    .sgpr_spill_count: 0
    .symbol:         _ZN7rocprim17ROCPRIM_400000_NS6detail17trampoline_kernelINS0_14default_configENS1_21merge_config_selectorIfNS0_10empty_typeEEEZNS1_10merge_implIS3_N6thrust23THRUST_200600_302600_NS6detail15normal_iteratorINS9_10device_ptrIKfEEEESF_NS9_16discard_iteratorINS9_11use_defaultEEEPS5_SJ_SJ_NS9_4lessIfEEEE10hipError_tPvRmT0_T1_T2_T3_T4_T5_mmT6_P12ihipStream_tbEUlT_E0_NS1_11comp_targetILNS1_3genE9ELNS1_11target_archE1100ELNS1_3gpuE3ELNS1_3repE0EEENS1_30default_config_static_selectorELNS0_4arch9wavefront6targetE1EEEvSQ_.kd
    .uniform_work_group_size: 1
    .uses_dynamic_stack: false
    .vgpr_count:     0
    .vgpr_spill_count: 0
    .wavefront_size: 64
  - .agpr_count:     0
    .args:
      - .offset:         0
        .size:           96
        .value_kind:     by_value
    .group_segment_fixed_size: 0
    .kernarg_segment_align: 8
    .kernarg_segment_size: 96
    .language:       OpenCL C
    .language_version:
      - 2
      - 0
    .max_flat_workgroup_size: 1024
    .name:           _ZN7rocprim17ROCPRIM_400000_NS6detail17trampoline_kernelINS0_14default_configENS1_21merge_config_selectorIfNS0_10empty_typeEEEZNS1_10merge_implIS3_N6thrust23THRUST_200600_302600_NS6detail15normal_iteratorINS9_10device_ptrIKfEEEESF_NS9_16discard_iteratorINS9_11use_defaultEEEPS5_SJ_SJ_NS9_4lessIfEEEE10hipError_tPvRmT0_T1_T2_T3_T4_T5_mmT6_P12ihipStream_tbEUlT_E0_NS1_11comp_targetILNS1_3genE8ELNS1_11target_archE1030ELNS1_3gpuE2ELNS1_3repE0EEENS1_30default_config_static_selectorELNS0_4arch9wavefront6targetE1EEEvSQ_
    .private_segment_fixed_size: 0
    .sgpr_count:     4
    .sgpr_spill_count: 0
    .symbol:         _ZN7rocprim17ROCPRIM_400000_NS6detail17trampoline_kernelINS0_14default_configENS1_21merge_config_selectorIfNS0_10empty_typeEEEZNS1_10merge_implIS3_N6thrust23THRUST_200600_302600_NS6detail15normal_iteratorINS9_10device_ptrIKfEEEESF_NS9_16discard_iteratorINS9_11use_defaultEEEPS5_SJ_SJ_NS9_4lessIfEEEE10hipError_tPvRmT0_T1_T2_T3_T4_T5_mmT6_P12ihipStream_tbEUlT_E0_NS1_11comp_targetILNS1_3genE8ELNS1_11target_archE1030ELNS1_3gpuE2ELNS1_3repE0EEENS1_30default_config_static_selectorELNS0_4arch9wavefront6targetE1EEEvSQ_.kd
    .uniform_work_group_size: 1
    .uses_dynamic_stack: false
    .vgpr_count:     0
    .vgpr_spill_count: 0
    .wavefront_size: 64
  - .agpr_count:     0
    .args:
      - .offset:         0
        .size:           48
        .value_kind:     by_value
    .group_segment_fixed_size: 0
    .kernarg_segment_align: 8
    .kernarg_segment_size: 48
    .language:       OpenCL C
    .language_version:
      - 2
      - 0
    .max_flat_workgroup_size: 256
    .name:           _ZN7rocprim17ROCPRIM_400000_NS6detail17trampoline_kernelINS0_14default_configENS1_21merge_config_selectorIyNS0_10empty_typeEEEZNS1_10merge_implIS3_N6thrust23THRUST_200600_302600_NS6detail15normal_iteratorINS9_10device_ptrIKyEEEESF_NS9_16discard_iteratorINS9_11use_defaultEEEPS5_SJ_SJ_NS9_4lessIyEEEE10hipError_tPvRmT0_T1_T2_T3_T4_T5_mmT6_P12ihipStream_tbEUlT_E_NS1_11comp_targetILNS1_3genE0ELNS1_11target_archE4294967295ELNS1_3gpuE0ELNS1_3repE0EEENS1_30default_config_static_selectorELNS0_4arch9wavefront6targetE1EEEvSQ_
    .private_segment_fixed_size: 0
    .sgpr_count:     4
    .sgpr_spill_count: 0
    .symbol:         _ZN7rocprim17ROCPRIM_400000_NS6detail17trampoline_kernelINS0_14default_configENS1_21merge_config_selectorIyNS0_10empty_typeEEEZNS1_10merge_implIS3_N6thrust23THRUST_200600_302600_NS6detail15normal_iteratorINS9_10device_ptrIKyEEEESF_NS9_16discard_iteratorINS9_11use_defaultEEEPS5_SJ_SJ_NS9_4lessIyEEEE10hipError_tPvRmT0_T1_T2_T3_T4_T5_mmT6_P12ihipStream_tbEUlT_E_NS1_11comp_targetILNS1_3genE0ELNS1_11target_archE4294967295ELNS1_3gpuE0ELNS1_3repE0EEENS1_30default_config_static_selectorELNS0_4arch9wavefront6targetE1EEEvSQ_.kd
    .uniform_work_group_size: 1
    .uses_dynamic_stack: false
    .vgpr_count:     0
    .vgpr_spill_count: 0
    .wavefront_size: 64
  - .agpr_count:     0
    .args:
      - .offset:         0
        .size:           48
        .value_kind:     by_value
    .group_segment_fixed_size: 0
    .kernarg_segment_align: 8
    .kernarg_segment_size: 48
    .language:       OpenCL C
    .language_version:
      - 2
      - 0
    .max_flat_workgroup_size: 256
    .name:           _ZN7rocprim17ROCPRIM_400000_NS6detail17trampoline_kernelINS0_14default_configENS1_21merge_config_selectorIyNS0_10empty_typeEEEZNS1_10merge_implIS3_N6thrust23THRUST_200600_302600_NS6detail15normal_iteratorINS9_10device_ptrIKyEEEESF_NS9_16discard_iteratorINS9_11use_defaultEEEPS5_SJ_SJ_NS9_4lessIyEEEE10hipError_tPvRmT0_T1_T2_T3_T4_T5_mmT6_P12ihipStream_tbEUlT_E_NS1_11comp_targetILNS1_3genE5ELNS1_11target_archE942ELNS1_3gpuE9ELNS1_3repE0EEENS1_30default_config_static_selectorELNS0_4arch9wavefront6targetE1EEEvSQ_
    .private_segment_fixed_size: 0
    .sgpr_count:     4
    .sgpr_spill_count: 0
    .symbol:         _ZN7rocprim17ROCPRIM_400000_NS6detail17trampoline_kernelINS0_14default_configENS1_21merge_config_selectorIyNS0_10empty_typeEEEZNS1_10merge_implIS3_N6thrust23THRUST_200600_302600_NS6detail15normal_iteratorINS9_10device_ptrIKyEEEESF_NS9_16discard_iteratorINS9_11use_defaultEEEPS5_SJ_SJ_NS9_4lessIyEEEE10hipError_tPvRmT0_T1_T2_T3_T4_T5_mmT6_P12ihipStream_tbEUlT_E_NS1_11comp_targetILNS1_3genE5ELNS1_11target_archE942ELNS1_3gpuE9ELNS1_3repE0EEENS1_30default_config_static_selectorELNS0_4arch9wavefront6targetE1EEEvSQ_.kd
    .uniform_work_group_size: 1
    .uses_dynamic_stack: false
    .vgpr_count:     0
    .vgpr_spill_count: 0
    .wavefront_size: 64
  - .agpr_count:     0
    .args:
      - .offset:         0
        .size:           48
        .value_kind:     by_value
      - .offset:         48
        .size:           4
        .value_kind:     hidden_block_count_x
      - .offset:         52
        .size:           4
        .value_kind:     hidden_block_count_y
      - .offset:         56
        .size:           4
        .value_kind:     hidden_block_count_z
      - .offset:         60
        .size:           2
        .value_kind:     hidden_group_size_x
      - .offset:         62
        .size:           2
        .value_kind:     hidden_group_size_y
      - .offset:         64
        .size:           2
        .value_kind:     hidden_group_size_z
      - .offset:         66
        .size:           2
        .value_kind:     hidden_remainder_x
      - .offset:         68
        .size:           2
        .value_kind:     hidden_remainder_y
      - .offset:         70
        .size:           2
        .value_kind:     hidden_remainder_z
      - .offset:         88
        .size:           8
        .value_kind:     hidden_global_offset_x
      - .offset:         96
        .size:           8
        .value_kind:     hidden_global_offset_y
      - .offset:         104
        .size:           8
        .value_kind:     hidden_global_offset_z
      - .offset:         112
        .size:           2
        .value_kind:     hidden_grid_dims
    .group_segment_fixed_size: 0
    .kernarg_segment_align: 8
    .kernarg_segment_size: 304
    .language:       OpenCL C
    .language_version:
      - 2
      - 0
    .max_flat_workgroup_size: 256
    .name:           _ZN7rocprim17ROCPRIM_400000_NS6detail17trampoline_kernelINS0_14default_configENS1_21merge_config_selectorIyNS0_10empty_typeEEEZNS1_10merge_implIS3_N6thrust23THRUST_200600_302600_NS6detail15normal_iteratorINS9_10device_ptrIKyEEEESF_NS9_16discard_iteratorINS9_11use_defaultEEEPS5_SJ_SJ_NS9_4lessIyEEEE10hipError_tPvRmT0_T1_T2_T3_T4_T5_mmT6_P12ihipStream_tbEUlT_E_NS1_11comp_targetILNS1_3genE4ELNS1_11target_archE910ELNS1_3gpuE8ELNS1_3repE0EEENS1_30default_config_static_selectorELNS0_4arch9wavefront6targetE1EEEvSQ_
    .private_segment_fixed_size: 0
    .sgpr_count:     18
    .sgpr_spill_count: 0
    .symbol:         _ZN7rocprim17ROCPRIM_400000_NS6detail17trampoline_kernelINS0_14default_configENS1_21merge_config_selectorIyNS0_10empty_typeEEEZNS1_10merge_implIS3_N6thrust23THRUST_200600_302600_NS6detail15normal_iteratorINS9_10device_ptrIKyEEEESF_NS9_16discard_iteratorINS9_11use_defaultEEEPS5_SJ_SJ_NS9_4lessIyEEEE10hipError_tPvRmT0_T1_T2_T3_T4_T5_mmT6_P12ihipStream_tbEUlT_E_NS1_11comp_targetILNS1_3genE4ELNS1_11target_archE910ELNS1_3gpuE8ELNS1_3repE0EEENS1_30default_config_static_selectorELNS0_4arch9wavefront6targetE1EEEvSQ_.kd
    .uniform_work_group_size: 1
    .uses_dynamic_stack: false
    .vgpr_count:     16
    .vgpr_spill_count: 0
    .wavefront_size: 64
  - .agpr_count:     0
    .args:
      - .offset:         0
        .size:           48
        .value_kind:     by_value
    .group_segment_fixed_size: 0
    .kernarg_segment_align: 8
    .kernarg_segment_size: 48
    .language:       OpenCL C
    .language_version:
      - 2
      - 0
    .max_flat_workgroup_size: 256
    .name:           _ZN7rocprim17ROCPRIM_400000_NS6detail17trampoline_kernelINS0_14default_configENS1_21merge_config_selectorIyNS0_10empty_typeEEEZNS1_10merge_implIS3_N6thrust23THRUST_200600_302600_NS6detail15normal_iteratorINS9_10device_ptrIKyEEEESF_NS9_16discard_iteratorINS9_11use_defaultEEEPS5_SJ_SJ_NS9_4lessIyEEEE10hipError_tPvRmT0_T1_T2_T3_T4_T5_mmT6_P12ihipStream_tbEUlT_E_NS1_11comp_targetILNS1_3genE3ELNS1_11target_archE908ELNS1_3gpuE7ELNS1_3repE0EEENS1_30default_config_static_selectorELNS0_4arch9wavefront6targetE1EEEvSQ_
    .private_segment_fixed_size: 0
    .sgpr_count:     4
    .sgpr_spill_count: 0
    .symbol:         _ZN7rocprim17ROCPRIM_400000_NS6detail17trampoline_kernelINS0_14default_configENS1_21merge_config_selectorIyNS0_10empty_typeEEEZNS1_10merge_implIS3_N6thrust23THRUST_200600_302600_NS6detail15normal_iteratorINS9_10device_ptrIKyEEEESF_NS9_16discard_iteratorINS9_11use_defaultEEEPS5_SJ_SJ_NS9_4lessIyEEEE10hipError_tPvRmT0_T1_T2_T3_T4_T5_mmT6_P12ihipStream_tbEUlT_E_NS1_11comp_targetILNS1_3genE3ELNS1_11target_archE908ELNS1_3gpuE7ELNS1_3repE0EEENS1_30default_config_static_selectorELNS0_4arch9wavefront6targetE1EEEvSQ_.kd
    .uniform_work_group_size: 1
    .uses_dynamic_stack: false
    .vgpr_count:     0
    .vgpr_spill_count: 0
    .wavefront_size: 64
  - .agpr_count:     0
    .args:
      - .offset:         0
        .size:           48
        .value_kind:     by_value
    .group_segment_fixed_size: 0
    .kernarg_segment_align: 8
    .kernarg_segment_size: 48
    .language:       OpenCL C
    .language_version:
      - 2
      - 0
    .max_flat_workgroup_size: 256
    .name:           _ZN7rocprim17ROCPRIM_400000_NS6detail17trampoline_kernelINS0_14default_configENS1_21merge_config_selectorIyNS0_10empty_typeEEEZNS1_10merge_implIS3_N6thrust23THRUST_200600_302600_NS6detail15normal_iteratorINS9_10device_ptrIKyEEEESF_NS9_16discard_iteratorINS9_11use_defaultEEEPS5_SJ_SJ_NS9_4lessIyEEEE10hipError_tPvRmT0_T1_T2_T3_T4_T5_mmT6_P12ihipStream_tbEUlT_E_NS1_11comp_targetILNS1_3genE2ELNS1_11target_archE906ELNS1_3gpuE6ELNS1_3repE0EEENS1_30default_config_static_selectorELNS0_4arch9wavefront6targetE1EEEvSQ_
    .private_segment_fixed_size: 0
    .sgpr_count:     4
    .sgpr_spill_count: 0
    .symbol:         _ZN7rocprim17ROCPRIM_400000_NS6detail17trampoline_kernelINS0_14default_configENS1_21merge_config_selectorIyNS0_10empty_typeEEEZNS1_10merge_implIS3_N6thrust23THRUST_200600_302600_NS6detail15normal_iteratorINS9_10device_ptrIKyEEEESF_NS9_16discard_iteratorINS9_11use_defaultEEEPS5_SJ_SJ_NS9_4lessIyEEEE10hipError_tPvRmT0_T1_T2_T3_T4_T5_mmT6_P12ihipStream_tbEUlT_E_NS1_11comp_targetILNS1_3genE2ELNS1_11target_archE906ELNS1_3gpuE6ELNS1_3repE0EEENS1_30default_config_static_selectorELNS0_4arch9wavefront6targetE1EEEvSQ_.kd
    .uniform_work_group_size: 1
    .uses_dynamic_stack: false
    .vgpr_count:     0
    .vgpr_spill_count: 0
    .wavefront_size: 64
  - .agpr_count:     0
    .args:
      - .offset:         0
        .size:           48
        .value_kind:     by_value
    .group_segment_fixed_size: 0
    .kernarg_segment_align: 8
    .kernarg_segment_size: 48
    .language:       OpenCL C
    .language_version:
      - 2
      - 0
    .max_flat_workgroup_size: 512
    .name:           _ZN7rocprim17ROCPRIM_400000_NS6detail17trampoline_kernelINS0_14default_configENS1_21merge_config_selectorIyNS0_10empty_typeEEEZNS1_10merge_implIS3_N6thrust23THRUST_200600_302600_NS6detail15normal_iteratorINS9_10device_ptrIKyEEEESF_NS9_16discard_iteratorINS9_11use_defaultEEEPS5_SJ_SJ_NS9_4lessIyEEEE10hipError_tPvRmT0_T1_T2_T3_T4_T5_mmT6_P12ihipStream_tbEUlT_E_NS1_11comp_targetILNS1_3genE10ELNS1_11target_archE1201ELNS1_3gpuE5ELNS1_3repE0EEENS1_30default_config_static_selectorELNS0_4arch9wavefront6targetE1EEEvSQ_
    .private_segment_fixed_size: 0
    .sgpr_count:     4
    .sgpr_spill_count: 0
    .symbol:         _ZN7rocprim17ROCPRIM_400000_NS6detail17trampoline_kernelINS0_14default_configENS1_21merge_config_selectorIyNS0_10empty_typeEEEZNS1_10merge_implIS3_N6thrust23THRUST_200600_302600_NS6detail15normal_iteratorINS9_10device_ptrIKyEEEESF_NS9_16discard_iteratorINS9_11use_defaultEEEPS5_SJ_SJ_NS9_4lessIyEEEE10hipError_tPvRmT0_T1_T2_T3_T4_T5_mmT6_P12ihipStream_tbEUlT_E_NS1_11comp_targetILNS1_3genE10ELNS1_11target_archE1201ELNS1_3gpuE5ELNS1_3repE0EEENS1_30default_config_static_selectorELNS0_4arch9wavefront6targetE1EEEvSQ_.kd
    .uniform_work_group_size: 1
    .uses_dynamic_stack: false
    .vgpr_count:     0
    .vgpr_spill_count: 0
    .wavefront_size: 64
  - .agpr_count:     0
    .args:
      - .offset:         0
        .size:           48
        .value_kind:     by_value
    .group_segment_fixed_size: 0
    .kernarg_segment_align: 8
    .kernarg_segment_size: 48
    .language:       OpenCL C
    .language_version:
      - 2
      - 0
    .max_flat_workgroup_size: 1024
    .name:           _ZN7rocprim17ROCPRIM_400000_NS6detail17trampoline_kernelINS0_14default_configENS1_21merge_config_selectorIyNS0_10empty_typeEEEZNS1_10merge_implIS3_N6thrust23THRUST_200600_302600_NS6detail15normal_iteratorINS9_10device_ptrIKyEEEESF_NS9_16discard_iteratorINS9_11use_defaultEEEPS5_SJ_SJ_NS9_4lessIyEEEE10hipError_tPvRmT0_T1_T2_T3_T4_T5_mmT6_P12ihipStream_tbEUlT_E_NS1_11comp_targetILNS1_3genE10ELNS1_11target_archE1200ELNS1_3gpuE4ELNS1_3repE0EEENS1_30default_config_static_selectorELNS0_4arch9wavefront6targetE1EEEvSQ_
    .private_segment_fixed_size: 0
    .sgpr_count:     4
    .sgpr_spill_count: 0
    .symbol:         _ZN7rocprim17ROCPRIM_400000_NS6detail17trampoline_kernelINS0_14default_configENS1_21merge_config_selectorIyNS0_10empty_typeEEEZNS1_10merge_implIS3_N6thrust23THRUST_200600_302600_NS6detail15normal_iteratorINS9_10device_ptrIKyEEEESF_NS9_16discard_iteratorINS9_11use_defaultEEEPS5_SJ_SJ_NS9_4lessIyEEEE10hipError_tPvRmT0_T1_T2_T3_T4_T5_mmT6_P12ihipStream_tbEUlT_E_NS1_11comp_targetILNS1_3genE10ELNS1_11target_archE1200ELNS1_3gpuE4ELNS1_3repE0EEENS1_30default_config_static_selectorELNS0_4arch9wavefront6targetE1EEEvSQ_.kd
    .uniform_work_group_size: 1
    .uses_dynamic_stack: false
    .vgpr_count:     0
    .vgpr_spill_count: 0
    .wavefront_size: 64
  - .agpr_count:     0
    .args:
      - .offset:         0
        .size:           48
        .value_kind:     by_value
    .group_segment_fixed_size: 0
    .kernarg_segment_align: 8
    .kernarg_segment_size: 48
    .language:       OpenCL C
    .language_version:
      - 2
      - 0
    .max_flat_workgroup_size: 1024
    .name:           _ZN7rocprim17ROCPRIM_400000_NS6detail17trampoline_kernelINS0_14default_configENS1_21merge_config_selectorIyNS0_10empty_typeEEEZNS1_10merge_implIS3_N6thrust23THRUST_200600_302600_NS6detail15normal_iteratorINS9_10device_ptrIKyEEEESF_NS9_16discard_iteratorINS9_11use_defaultEEEPS5_SJ_SJ_NS9_4lessIyEEEE10hipError_tPvRmT0_T1_T2_T3_T4_T5_mmT6_P12ihipStream_tbEUlT_E_NS1_11comp_targetILNS1_3genE9ELNS1_11target_archE1100ELNS1_3gpuE3ELNS1_3repE0EEENS1_30default_config_static_selectorELNS0_4arch9wavefront6targetE1EEEvSQ_
    .private_segment_fixed_size: 0
    .sgpr_count:     4
    .sgpr_spill_count: 0
    .symbol:         _ZN7rocprim17ROCPRIM_400000_NS6detail17trampoline_kernelINS0_14default_configENS1_21merge_config_selectorIyNS0_10empty_typeEEEZNS1_10merge_implIS3_N6thrust23THRUST_200600_302600_NS6detail15normal_iteratorINS9_10device_ptrIKyEEEESF_NS9_16discard_iteratorINS9_11use_defaultEEEPS5_SJ_SJ_NS9_4lessIyEEEE10hipError_tPvRmT0_T1_T2_T3_T4_T5_mmT6_P12ihipStream_tbEUlT_E_NS1_11comp_targetILNS1_3genE9ELNS1_11target_archE1100ELNS1_3gpuE3ELNS1_3repE0EEENS1_30default_config_static_selectorELNS0_4arch9wavefront6targetE1EEEvSQ_.kd
    .uniform_work_group_size: 1
    .uses_dynamic_stack: false
    .vgpr_count:     0
    .vgpr_spill_count: 0
    .wavefront_size: 64
  - .agpr_count:     0
    .args:
      - .offset:         0
        .size:           48
        .value_kind:     by_value
    .group_segment_fixed_size: 0
    .kernarg_segment_align: 8
    .kernarg_segment_size: 48
    .language:       OpenCL C
    .language_version:
      - 2
      - 0
    .max_flat_workgroup_size: 256
    .name:           _ZN7rocprim17ROCPRIM_400000_NS6detail17trampoline_kernelINS0_14default_configENS1_21merge_config_selectorIyNS0_10empty_typeEEEZNS1_10merge_implIS3_N6thrust23THRUST_200600_302600_NS6detail15normal_iteratorINS9_10device_ptrIKyEEEESF_NS9_16discard_iteratorINS9_11use_defaultEEEPS5_SJ_SJ_NS9_4lessIyEEEE10hipError_tPvRmT0_T1_T2_T3_T4_T5_mmT6_P12ihipStream_tbEUlT_E_NS1_11comp_targetILNS1_3genE8ELNS1_11target_archE1030ELNS1_3gpuE2ELNS1_3repE0EEENS1_30default_config_static_selectorELNS0_4arch9wavefront6targetE1EEEvSQ_
    .private_segment_fixed_size: 0
    .sgpr_count:     4
    .sgpr_spill_count: 0
    .symbol:         _ZN7rocprim17ROCPRIM_400000_NS6detail17trampoline_kernelINS0_14default_configENS1_21merge_config_selectorIyNS0_10empty_typeEEEZNS1_10merge_implIS3_N6thrust23THRUST_200600_302600_NS6detail15normal_iteratorINS9_10device_ptrIKyEEEESF_NS9_16discard_iteratorINS9_11use_defaultEEEPS5_SJ_SJ_NS9_4lessIyEEEE10hipError_tPvRmT0_T1_T2_T3_T4_T5_mmT6_P12ihipStream_tbEUlT_E_NS1_11comp_targetILNS1_3genE8ELNS1_11target_archE1030ELNS1_3gpuE2ELNS1_3repE0EEENS1_30default_config_static_selectorELNS0_4arch9wavefront6targetE1EEEvSQ_.kd
    .uniform_work_group_size: 1
    .uses_dynamic_stack: false
    .vgpr_count:     0
    .vgpr_spill_count: 0
    .wavefront_size: 64
  - .agpr_count:     0
    .args:
      - .offset:         0
        .size:           96
        .value_kind:     by_value
    .group_segment_fixed_size: 0
    .kernarg_segment_align: 8
    .kernarg_segment_size: 96
    .language:       OpenCL C
    .language_version:
      - 2
      - 0
    .max_flat_workgroup_size: 256
    .name:           _ZN7rocprim17ROCPRIM_400000_NS6detail17trampoline_kernelINS0_14default_configENS1_21merge_config_selectorIyNS0_10empty_typeEEEZNS1_10merge_implIS3_N6thrust23THRUST_200600_302600_NS6detail15normal_iteratorINS9_10device_ptrIKyEEEESF_NS9_16discard_iteratorINS9_11use_defaultEEEPS5_SJ_SJ_NS9_4lessIyEEEE10hipError_tPvRmT0_T1_T2_T3_T4_T5_mmT6_P12ihipStream_tbEUlT_E0_NS1_11comp_targetILNS1_3genE0ELNS1_11target_archE4294967295ELNS1_3gpuE0ELNS1_3repE0EEENS1_30default_config_static_selectorELNS0_4arch9wavefront6targetE1EEEvSQ_
    .private_segment_fixed_size: 0
    .sgpr_count:     4
    .sgpr_spill_count: 0
    .symbol:         _ZN7rocprim17ROCPRIM_400000_NS6detail17trampoline_kernelINS0_14default_configENS1_21merge_config_selectorIyNS0_10empty_typeEEEZNS1_10merge_implIS3_N6thrust23THRUST_200600_302600_NS6detail15normal_iteratorINS9_10device_ptrIKyEEEESF_NS9_16discard_iteratorINS9_11use_defaultEEEPS5_SJ_SJ_NS9_4lessIyEEEE10hipError_tPvRmT0_T1_T2_T3_T4_T5_mmT6_P12ihipStream_tbEUlT_E0_NS1_11comp_targetILNS1_3genE0ELNS1_11target_archE4294967295ELNS1_3gpuE0ELNS1_3repE0EEENS1_30default_config_static_selectorELNS0_4arch9wavefront6targetE1EEEvSQ_.kd
    .uniform_work_group_size: 1
    .uses_dynamic_stack: false
    .vgpr_count:     0
    .vgpr_spill_count: 0
    .wavefront_size: 64
  - .agpr_count:     0
    .args:
      - .offset:         0
        .size:           96
        .value_kind:     by_value
    .group_segment_fixed_size: 0
    .kernarg_segment_align: 8
    .kernarg_segment_size: 96
    .language:       OpenCL C
    .language_version:
      - 2
      - 0
    .max_flat_workgroup_size: 256
    .name:           _ZN7rocprim17ROCPRIM_400000_NS6detail17trampoline_kernelINS0_14default_configENS1_21merge_config_selectorIyNS0_10empty_typeEEEZNS1_10merge_implIS3_N6thrust23THRUST_200600_302600_NS6detail15normal_iteratorINS9_10device_ptrIKyEEEESF_NS9_16discard_iteratorINS9_11use_defaultEEEPS5_SJ_SJ_NS9_4lessIyEEEE10hipError_tPvRmT0_T1_T2_T3_T4_T5_mmT6_P12ihipStream_tbEUlT_E0_NS1_11comp_targetILNS1_3genE5ELNS1_11target_archE942ELNS1_3gpuE9ELNS1_3repE0EEENS1_30default_config_static_selectorELNS0_4arch9wavefront6targetE1EEEvSQ_
    .private_segment_fixed_size: 0
    .sgpr_count:     4
    .sgpr_spill_count: 0
    .symbol:         _ZN7rocprim17ROCPRIM_400000_NS6detail17trampoline_kernelINS0_14default_configENS1_21merge_config_selectorIyNS0_10empty_typeEEEZNS1_10merge_implIS3_N6thrust23THRUST_200600_302600_NS6detail15normal_iteratorINS9_10device_ptrIKyEEEESF_NS9_16discard_iteratorINS9_11use_defaultEEEPS5_SJ_SJ_NS9_4lessIyEEEE10hipError_tPvRmT0_T1_T2_T3_T4_T5_mmT6_P12ihipStream_tbEUlT_E0_NS1_11comp_targetILNS1_3genE5ELNS1_11target_archE942ELNS1_3gpuE9ELNS1_3repE0EEENS1_30default_config_static_selectorELNS0_4arch9wavefront6targetE1EEEvSQ_.kd
    .uniform_work_group_size: 1
    .uses_dynamic_stack: false
    .vgpr_count:     0
    .vgpr_spill_count: 0
    .wavefront_size: 64
  - .agpr_count:     0
    .args:
      - .offset:         0
        .size:           96
        .value_kind:     by_value
    .group_segment_fixed_size: 8448
    .kernarg_segment_align: 8
    .kernarg_segment_size: 96
    .language:       OpenCL C
    .language_version:
      - 2
      - 0
    .max_flat_workgroup_size: 256
    .name:           _ZN7rocprim17ROCPRIM_400000_NS6detail17trampoline_kernelINS0_14default_configENS1_21merge_config_selectorIyNS0_10empty_typeEEEZNS1_10merge_implIS3_N6thrust23THRUST_200600_302600_NS6detail15normal_iteratorINS9_10device_ptrIKyEEEESF_NS9_16discard_iteratorINS9_11use_defaultEEEPS5_SJ_SJ_NS9_4lessIyEEEE10hipError_tPvRmT0_T1_T2_T3_T4_T5_mmT6_P12ihipStream_tbEUlT_E0_NS1_11comp_targetILNS1_3genE4ELNS1_11target_archE910ELNS1_3gpuE8ELNS1_3repE0EEENS1_30default_config_static_selectorELNS0_4arch9wavefront6targetE1EEEvSQ_
    .private_segment_fixed_size: 0
    .sgpr_count:     21
    .sgpr_spill_count: 0
    .symbol:         _ZN7rocprim17ROCPRIM_400000_NS6detail17trampoline_kernelINS0_14default_configENS1_21merge_config_selectorIyNS0_10empty_typeEEEZNS1_10merge_implIS3_N6thrust23THRUST_200600_302600_NS6detail15normal_iteratorINS9_10device_ptrIKyEEEESF_NS9_16discard_iteratorINS9_11use_defaultEEEPS5_SJ_SJ_NS9_4lessIyEEEE10hipError_tPvRmT0_T1_T2_T3_T4_T5_mmT6_P12ihipStream_tbEUlT_E0_NS1_11comp_targetILNS1_3genE4ELNS1_11target_archE910ELNS1_3gpuE8ELNS1_3repE0EEENS1_30default_config_static_selectorELNS0_4arch9wavefront6targetE1EEEvSQ_.kd
    .uniform_work_group_size: 1
    .uses_dynamic_stack: false
    .vgpr_count:     20
    .vgpr_spill_count: 0
    .wavefront_size: 64
  - .agpr_count:     0
    .args:
      - .offset:         0
        .size:           96
        .value_kind:     by_value
    .group_segment_fixed_size: 0
    .kernarg_segment_align: 8
    .kernarg_segment_size: 96
    .language:       OpenCL C
    .language_version:
      - 2
      - 0
    .max_flat_workgroup_size: 256
    .name:           _ZN7rocprim17ROCPRIM_400000_NS6detail17trampoline_kernelINS0_14default_configENS1_21merge_config_selectorIyNS0_10empty_typeEEEZNS1_10merge_implIS3_N6thrust23THRUST_200600_302600_NS6detail15normal_iteratorINS9_10device_ptrIKyEEEESF_NS9_16discard_iteratorINS9_11use_defaultEEEPS5_SJ_SJ_NS9_4lessIyEEEE10hipError_tPvRmT0_T1_T2_T3_T4_T5_mmT6_P12ihipStream_tbEUlT_E0_NS1_11comp_targetILNS1_3genE3ELNS1_11target_archE908ELNS1_3gpuE7ELNS1_3repE0EEENS1_30default_config_static_selectorELNS0_4arch9wavefront6targetE1EEEvSQ_
    .private_segment_fixed_size: 0
    .sgpr_count:     4
    .sgpr_spill_count: 0
    .symbol:         _ZN7rocprim17ROCPRIM_400000_NS6detail17trampoline_kernelINS0_14default_configENS1_21merge_config_selectorIyNS0_10empty_typeEEEZNS1_10merge_implIS3_N6thrust23THRUST_200600_302600_NS6detail15normal_iteratorINS9_10device_ptrIKyEEEESF_NS9_16discard_iteratorINS9_11use_defaultEEEPS5_SJ_SJ_NS9_4lessIyEEEE10hipError_tPvRmT0_T1_T2_T3_T4_T5_mmT6_P12ihipStream_tbEUlT_E0_NS1_11comp_targetILNS1_3genE3ELNS1_11target_archE908ELNS1_3gpuE7ELNS1_3repE0EEENS1_30default_config_static_selectorELNS0_4arch9wavefront6targetE1EEEvSQ_.kd
    .uniform_work_group_size: 1
    .uses_dynamic_stack: false
    .vgpr_count:     0
    .vgpr_spill_count: 0
    .wavefront_size: 64
  - .agpr_count:     0
    .args:
      - .offset:         0
        .size:           96
        .value_kind:     by_value
    .group_segment_fixed_size: 0
    .kernarg_segment_align: 8
    .kernarg_segment_size: 96
    .language:       OpenCL C
    .language_version:
      - 2
      - 0
    .max_flat_workgroup_size: 256
    .name:           _ZN7rocprim17ROCPRIM_400000_NS6detail17trampoline_kernelINS0_14default_configENS1_21merge_config_selectorIyNS0_10empty_typeEEEZNS1_10merge_implIS3_N6thrust23THRUST_200600_302600_NS6detail15normal_iteratorINS9_10device_ptrIKyEEEESF_NS9_16discard_iteratorINS9_11use_defaultEEEPS5_SJ_SJ_NS9_4lessIyEEEE10hipError_tPvRmT0_T1_T2_T3_T4_T5_mmT6_P12ihipStream_tbEUlT_E0_NS1_11comp_targetILNS1_3genE2ELNS1_11target_archE906ELNS1_3gpuE6ELNS1_3repE0EEENS1_30default_config_static_selectorELNS0_4arch9wavefront6targetE1EEEvSQ_
    .private_segment_fixed_size: 0
    .sgpr_count:     4
    .sgpr_spill_count: 0
    .symbol:         _ZN7rocprim17ROCPRIM_400000_NS6detail17trampoline_kernelINS0_14default_configENS1_21merge_config_selectorIyNS0_10empty_typeEEEZNS1_10merge_implIS3_N6thrust23THRUST_200600_302600_NS6detail15normal_iteratorINS9_10device_ptrIKyEEEESF_NS9_16discard_iteratorINS9_11use_defaultEEEPS5_SJ_SJ_NS9_4lessIyEEEE10hipError_tPvRmT0_T1_T2_T3_T4_T5_mmT6_P12ihipStream_tbEUlT_E0_NS1_11comp_targetILNS1_3genE2ELNS1_11target_archE906ELNS1_3gpuE6ELNS1_3repE0EEENS1_30default_config_static_selectorELNS0_4arch9wavefront6targetE1EEEvSQ_.kd
    .uniform_work_group_size: 1
    .uses_dynamic_stack: false
    .vgpr_count:     0
    .vgpr_spill_count: 0
    .wavefront_size: 64
  - .agpr_count:     0
    .args:
      - .offset:         0
        .size:           96
        .value_kind:     by_value
    .group_segment_fixed_size: 0
    .kernarg_segment_align: 8
    .kernarg_segment_size: 96
    .language:       OpenCL C
    .language_version:
      - 2
      - 0
    .max_flat_workgroup_size: 512
    .name:           _ZN7rocprim17ROCPRIM_400000_NS6detail17trampoline_kernelINS0_14default_configENS1_21merge_config_selectorIyNS0_10empty_typeEEEZNS1_10merge_implIS3_N6thrust23THRUST_200600_302600_NS6detail15normal_iteratorINS9_10device_ptrIKyEEEESF_NS9_16discard_iteratorINS9_11use_defaultEEEPS5_SJ_SJ_NS9_4lessIyEEEE10hipError_tPvRmT0_T1_T2_T3_T4_T5_mmT6_P12ihipStream_tbEUlT_E0_NS1_11comp_targetILNS1_3genE10ELNS1_11target_archE1201ELNS1_3gpuE5ELNS1_3repE0EEENS1_30default_config_static_selectorELNS0_4arch9wavefront6targetE1EEEvSQ_
    .private_segment_fixed_size: 0
    .sgpr_count:     4
    .sgpr_spill_count: 0
    .symbol:         _ZN7rocprim17ROCPRIM_400000_NS6detail17trampoline_kernelINS0_14default_configENS1_21merge_config_selectorIyNS0_10empty_typeEEEZNS1_10merge_implIS3_N6thrust23THRUST_200600_302600_NS6detail15normal_iteratorINS9_10device_ptrIKyEEEESF_NS9_16discard_iteratorINS9_11use_defaultEEEPS5_SJ_SJ_NS9_4lessIyEEEE10hipError_tPvRmT0_T1_T2_T3_T4_T5_mmT6_P12ihipStream_tbEUlT_E0_NS1_11comp_targetILNS1_3genE10ELNS1_11target_archE1201ELNS1_3gpuE5ELNS1_3repE0EEENS1_30default_config_static_selectorELNS0_4arch9wavefront6targetE1EEEvSQ_.kd
    .uniform_work_group_size: 1
    .uses_dynamic_stack: false
    .vgpr_count:     0
    .vgpr_spill_count: 0
    .wavefront_size: 64
  - .agpr_count:     0
    .args:
      - .offset:         0
        .size:           96
        .value_kind:     by_value
    .group_segment_fixed_size: 0
    .kernarg_segment_align: 8
    .kernarg_segment_size: 96
    .language:       OpenCL C
    .language_version:
      - 2
      - 0
    .max_flat_workgroup_size: 1024
    .name:           _ZN7rocprim17ROCPRIM_400000_NS6detail17trampoline_kernelINS0_14default_configENS1_21merge_config_selectorIyNS0_10empty_typeEEEZNS1_10merge_implIS3_N6thrust23THRUST_200600_302600_NS6detail15normal_iteratorINS9_10device_ptrIKyEEEESF_NS9_16discard_iteratorINS9_11use_defaultEEEPS5_SJ_SJ_NS9_4lessIyEEEE10hipError_tPvRmT0_T1_T2_T3_T4_T5_mmT6_P12ihipStream_tbEUlT_E0_NS1_11comp_targetILNS1_3genE10ELNS1_11target_archE1200ELNS1_3gpuE4ELNS1_3repE0EEENS1_30default_config_static_selectorELNS0_4arch9wavefront6targetE1EEEvSQ_
    .private_segment_fixed_size: 0
    .sgpr_count:     4
    .sgpr_spill_count: 0
    .symbol:         _ZN7rocprim17ROCPRIM_400000_NS6detail17trampoline_kernelINS0_14default_configENS1_21merge_config_selectorIyNS0_10empty_typeEEEZNS1_10merge_implIS3_N6thrust23THRUST_200600_302600_NS6detail15normal_iteratorINS9_10device_ptrIKyEEEESF_NS9_16discard_iteratorINS9_11use_defaultEEEPS5_SJ_SJ_NS9_4lessIyEEEE10hipError_tPvRmT0_T1_T2_T3_T4_T5_mmT6_P12ihipStream_tbEUlT_E0_NS1_11comp_targetILNS1_3genE10ELNS1_11target_archE1200ELNS1_3gpuE4ELNS1_3repE0EEENS1_30default_config_static_selectorELNS0_4arch9wavefront6targetE1EEEvSQ_.kd
    .uniform_work_group_size: 1
    .uses_dynamic_stack: false
    .vgpr_count:     0
    .vgpr_spill_count: 0
    .wavefront_size: 64
  - .agpr_count:     0
    .args:
      - .offset:         0
        .size:           96
        .value_kind:     by_value
    .group_segment_fixed_size: 0
    .kernarg_segment_align: 8
    .kernarg_segment_size: 96
    .language:       OpenCL C
    .language_version:
      - 2
      - 0
    .max_flat_workgroup_size: 1024
    .name:           _ZN7rocprim17ROCPRIM_400000_NS6detail17trampoline_kernelINS0_14default_configENS1_21merge_config_selectorIyNS0_10empty_typeEEEZNS1_10merge_implIS3_N6thrust23THRUST_200600_302600_NS6detail15normal_iteratorINS9_10device_ptrIKyEEEESF_NS9_16discard_iteratorINS9_11use_defaultEEEPS5_SJ_SJ_NS9_4lessIyEEEE10hipError_tPvRmT0_T1_T2_T3_T4_T5_mmT6_P12ihipStream_tbEUlT_E0_NS1_11comp_targetILNS1_3genE9ELNS1_11target_archE1100ELNS1_3gpuE3ELNS1_3repE0EEENS1_30default_config_static_selectorELNS0_4arch9wavefront6targetE1EEEvSQ_
    .private_segment_fixed_size: 0
    .sgpr_count:     4
    .sgpr_spill_count: 0
    .symbol:         _ZN7rocprim17ROCPRIM_400000_NS6detail17trampoline_kernelINS0_14default_configENS1_21merge_config_selectorIyNS0_10empty_typeEEEZNS1_10merge_implIS3_N6thrust23THRUST_200600_302600_NS6detail15normal_iteratorINS9_10device_ptrIKyEEEESF_NS9_16discard_iteratorINS9_11use_defaultEEEPS5_SJ_SJ_NS9_4lessIyEEEE10hipError_tPvRmT0_T1_T2_T3_T4_T5_mmT6_P12ihipStream_tbEUlT_E0_NS1_11comp_targetILNS1_3genE9ELNS1_11target_archE1100ELNS1_3gpuE3ELNS1_3repE0EEENS1_30default_config_static_selectorELNS0_4arch9wavefront6targetE1EEEvSQ_.kd
    .uniform_work_group_size: 1
    .uses_dynamic_stack: false
    .vgpr_count:     0
    .vgpr_spill_count: 0
    .wavefront_size: 64
  - .agpr_count:     0
    .args:
      - .offset:         0
        .size:           96
        .value_kind:     by_value
    .group_segment_fixed_size: 0
    .kernarg_segment_align: 8
    .kernarg_segment_size: 96
    .language:       OpenCL C
    .language_version:
      - 2
      - 0
    .max_flat_workgroup_size: 256
    .name:           _ZN7rocprim17ROCPRIM_400000_NS6detail17trampoline_kernelINS0_14default_configENS1_21merge_config_selectorIyNS0_10empty_typeEEEZNS1_10merge_implIS3_N6thrust23THRUST_200600_302600_NS6detail15normal_iteratorINS9_10device_ptrIKyEEEESF_NS9_16discard_iteratorINS9_11use_defaultEEEPS5_SJ_SJ_NS9_4lessIyEEEE10hipError_tPvRmT0_T1_T2_T3_T4_T5_mmT6_P12ihipStream_tbEUlT_E0_NS1_11comp_targetILNS1_3genE8ELNS1_11target_archE1030ELNS1_3gpuE2ELNS1_3repE0EEENS1_30default_config_static_selectorELNS0_4arch9wavefront6targetE1EEEvSQ_
    .private_segment_fixed_size: 0
    .sgpr_count:     4
    .sgpr_spill_count: 0
    .symbol:         _ZN7rocprim17ROCPRIM_400000_NS6detail17trampoline_kernelINS0_14default_configENS1_21merge_config_selectorIyNS0_10empty_typeEEEZNS1_10merge_implIS3_N6thrust23THRUST_200600_302600_NS6detail15normal_iteratorINS9_10device_ptrIKyEEEESF_NS9_16discard_iteratorINS9_11use_defaultEEEPS5_SJ_SJ_NS9_4lessIyEEEE10hipError_tPvRmT0_T1_T2_T3_T4_T5_mmT6_P12ihipStream_tbEUlT_E0_NS1_11comp_targetILNS1_3genE8ELNS1_11target_archE1030ELNS1_3gpuE2ELNS1_3repE0EEENS1_30default_config_static_selectorELNS0_4arch9wavefront6targetE1EEEvSQ_.kd
    .uniform_work_group_size: 1
    .uses_dynamic_stack: false
    .vgpr_count:     0
    .vgpr_spill_count: 0
    .wavefront_size: 64
  - .agpr_count:     0
    .args:
      - .offset:         0
        .size:           48
        .value_kind:     by_value
    .group_segment_fixed_size: 0
    .kernarg_segment_align: 8
    .kernarg_segment_size: 48
    .language:       OpenCL C
    .language_version:
      - 2
      - 0
    .max_flat_workgroup_size: 256
    .name:           _ZN7rocprim17ROCPRIM_400000_NS6detail17trampoline_kernelINS0_14default_configENS1_21merge_config_selectorIjNS0_10empty_typeEEEZNS1_10merge_implIS3_N6thrust23THRUST_200600_302600_NS6detail15normal_iteratorINS9_10device_ptrIKjEEEESF_NS9_16discard_iteratorINS9_11use_defaultEEEPS5_SJ_SJ_NS9_4lessIjEEEE10hipError_tPvRmT0_T1_T2_T3_T4_T5_mmT6_P12ihipStream_tbEUlT_E_NS1_11comp_targetILNS1_3genE0ELNS1_11target_archE4294967295ELNS1_3gpuE0ELNS1_3repE0EEENS1_30default_config_static_selectorELNS0_4arch9wavefront6targetE1EEEvSQ_
    .private_segment_fixed_size: 0
    .sgpr_count:     4
    .sgpr_spill_count: 0
    .symbol:         _ZN7rocprim17ROCPRIM_400000_NS6detail17trampoline_kernelINS0_14default_configENS1_21merge_config_selectorIjNS0_10empty_typeEEEZNS1_10merge_implIS3_N6thrust23THRUST_200600_302600_NS6detail15normal_iteratorINS9_10device_ptrIKjEEEESF_NS9_16discard_iteratorINS9_11use_defaultEEEPS5_SJ_SJ_NS9_4lessIjEEEE10hipError_tPvRmT0_T1_T2_T3_T4_T5_mmT6_P12ihipStream_tbEUlT_E_NS1_11comp_targetILNS1_3genE0ELNS1_11target_archE4294967295ELNS1_3gpuE0ELNS1_3repE0EEENS1_30default_config_static_selectorELNS0_4arch9wavefront6targetE1EEEvSQ_.kd
    .uniform_work_group_size: 1
    .uses_dynamic_stack: false
    .vgpr_count:     0
    .vgpr_spill_count: 0
    .wavefront_size: 64
  - .agpr_count:     0
    .args:
      - .offset:         0
        .size:           48
        .value_kind:     by_value
    .group_segment_fixed_size: 0
    .kernarg_segment_align: 8
    .kernarg_segment_size: 48
    .language:       OpenCL C
    .language_version:
      - 2
      - 0
    .max_flat_workgroup_size: 256
    .name:           _ZN7rocprim17ROCPRIM_400000_NS6detail17trampoline_kernelINS0_14default_configENS1_21merge_config_selectorIjNS0_10empty_typeEEEZNS1_10merge_implIS3_N6thrust23THRUST_200600_302600_NS6detail15normal_iteratorINS9_10device_ptrIKjEEEESF_NS9_16discard_iteratorINS9_11use_defaultEEEPS5_SJ_SJ_NS9_4lessIjEEEE10hipError_tPvRmT0_T1_T2_T3_T4_T5_mmT6_P12ihipStream_tbEUlT_E_NS1_11comp_targetILNS1_3genE5ELNS1_11target_archE942ELNS1_3gpuE9ELNS1_3repE0EEENS1_30default_config_static_selectorELNS0_4arch9wavefront6targetE1EEEvSQ_
    .private_segment_fixed_size: 0
    .sgpr_count:     4
    .sgpr_spill_count: 0
    .symbol:         _ZN7rocprim17ROCPRIM_400000_NS6detail17trampoline_kernelINS0_14default_configENS1_21merge_config_selectorIjNS0_10empty_typeEEEZNS1_10merge_implIS3_N6thrust23THRUST_200600_302600_NS6detail15normal_iteratorINS9_10device_ptrIKjEEEESF_NS9_16discard_iteratorINS9_11use_defaultEEEPS5_SJ_SJ_NS9_4lessIjEEEE10hipError_tPvRmT0_T1_T2_T3_T4_T5_mmT6_P12ihipStream_tbEUlT_E_NS1_11comp_targetILNS1_3genE5ELNS1_11target_archE942ELNS1_3gpuE9ELNS1_3repE0EEENS1_30default_config_static_selectorELNS0_4arch9wavefront6targetE1EEEvSQ_.kd
    .uniform_work_group_size: 1
    .uses_dynamic_stack: false
    .vgpr_count:     0
    .vgpr_spill_count: 0
    .wavefront_size: 64
  - .agpr_count:     0
    .args:
      - .offset:         0
        .size:           48
        .value_kind:     by_value
      - .offset:         48
        .size:           4
        .value_kind:     hidden_block_count_x
      - .offset:         52
        .size:           4
        .value_kind:     hidden_block_count_y
      - .offset:         56
        .size:           4
        .value_kind:     hidden_block_count_z
      - .offset:         60
        .size:           2
        .value_kind:     hidden_group_size_x
      - .offset:         62
        .size:           2
        .value_kind:     hidden_group_size_y
      - .offset:         64
        .size:           2
        .value_kind:     hidden_group_size_z
      - .offset:         66
        .size:           2
        .value_kind:     hidden_remainder_x
      - .offset:         68
        .size:           2
        .value_kind:     hidden_remainder_y
      - .offset:         70
        .size:           2
        .value_kind:     hidden_remainder_z
      - .offset:         88
        .size:           8
        .value_kind:     hidden_global_offset_x
      - .offset:         96
        .size:           8
        .value_kind:     hidden_global_offset_y
      - .offset:         104
        .size:           8
        .value_kind:     hidden_global_offset_z
      - .offset:         112
        .size:           2
        .value_kind:     hidden_grid_dims
    .group_segment_fixed_size: 0
    .kernarg_segment_align: 8
    .kernarg_segment_size: 304
    .language:       OpenCL C
    .language_version:
      - 2
      - 0
    .max_flat_workgroup_size: 256
    .name:           _ZN7rocprim17ROCPRIM_400000_NS6detail17trampoline_kernelINS0_14default_configENS1_21merge_config_selectorIjNS0_10empty_typeEEEZNS1_10merge_implIS3_N6thrust23THRUST_200600_302600_NS6detail15normal_iteratorINS9_10device_ptrIKjEEEESF_NS9_16discard_iteratorINS9_11use_defaultEEEPS5_SJ_SJ_NS9_4lessIjEEEE10hipError_tPvRmT0_T1_T2_T3_T4_T5_mmT6_P12ihipStream_tbEUlT_E_NS1_11comp_targetILNS1_3genE4ELNS1_11target_archE910ELNS1_3gpuE8ELNS1_3repE0EEENS1_30default_config_static_selectorELNS0_4arch9wavefront6targetE1EEEvSQ_
    .private_segment_fixed_size: 0
    .sgpr_count:     18
    .sgpr_spill_count: 0
    .symbol:         _ZN7rocprim17ROCPRIM_400000_NS6detail17trampoline_kernelINS0_14default_configENS1_21merge_config_selectorIjNS0_10empty_typeEEEZNS1_10merge_implIS3_N6thrust23THRUST_200600_302600_NS6detail15normal_iteratorINS9_10device_ptrIKjEEEESF_NS9_16discard_iteratorINS9_11use_defaultEEEPS5_SJ_SJ_NS9_4lessIjEEEE10hipError_tPvRmT0_T1_T2_T3_T4_T5_mmT6_P12ihipStream_tbEUlT_E_NS1_11comp_targetILNS1_3genE4ELNS1_11target_archE910ELNS1_3gpuE8ELNS1_3repE0EEENS1_30default_config_static_selectorELNS0_4arch9wavefront6targetE1EEEvSQ_.kd
    .uniform_work_group_size: 1
    .uses_dynamic_stack: false
    .vgpr_count:     14
    .vgpr_spill_count: 0
    .wavefront_size: 64
  - .agpr_count:     0
    .args:
      - .offset:         0
        .size:           48
        .value_kind:     by_value
    .group_segment_fixed_size: 0
    .kernarg_segment_align: 8
    .kernarg_segment_size: 48
    .language:       OpenCL C
    .language_version:
      - 2
      - 0
    .max_flat_workgroup_size: 256
    .name:           _ZN7rocprim17ROCPRIM_400000_NS6detail17trampoline_kernelINS0_14default_configENS1_21merge_config_selectorIjNS0_10empty_typeEEEZNS1_10merge_implIS3_N6thrust23THRUST_200600_302600_NS6detail15normal_iteratorINS9_10device_ptrIKjEEEESF_NS9_16discard_iteratorINS9_11use_defaultEEEPS5_SJ_SJ_NS9_4lessIjEEEE10hipError_tPvRmT0_T1_T2_T3_T4_T5_mmT6_P12ihipStream_tbEUlT_E_NS1_11comp_targetILNS1_3genE3ELNS1_11target_archE908ELNS1_3gpuE7ELNS1_3repE0EEENS1_30default_config_static_selectorELNS0_4arch9wavefront6targetE1EEEvSQ_
    .private_segment_fixed_size: 0
    .sgpr_count:     4
    .sgpr_spill_count: 0
    .symbol:         _ZN7rocprim17ROCPRIM_400000_NS6detail17trampoline_kernelINS0_14default_configENS1_21merge_config_selectorIjNS0_10empty_typeEEEZNS1_10merge_implIS3_N6thrust23THRUST_200600_302600_NS6detail15normal_iteratorINS9_10device_ptrIKjEEEESF_NS9_16discard_iteratorINS9_11use_defaultEEEPS5_SJ_SJ_NS9_4lessIjEEEE10hipError_tPvRmT0_T1_T2_T3_T4_T5_mmT6_P12ihipStream_tbEUlT_E_NS1_11comp_targetILNS1_3genE3ELNS1_11target_archE908ELNS1_3gpuE7ELNS1_3repE0EEENS1_30default_config_static_selectorELNS0_4arch9wavefront6targetE1EEEvSQ_.kd
    .uniform_work_group_size: 1
    .uses_dynamic_stack: false
    .vgpr_count:     0
    .vgpr_spill_count: 0
    .wavefront_size: 64
  - .agpr_count:     0
    .args:
      - .offset:         0
        .size:           48
        .value_kind:     by_value
    .group_segment_fixed_size: 0
    .kernarg_segment_align: 8
    .kernarg_segment_size: 48
    .language:       OpenCL C
    .language_version:
      - 2
      - 0
    .max_flat_workgroup_size: 256
    .name:           _ZN7rocprim17ROCPRIM_400000_NS6detail17trampoline_kernelINS0_14default_configENS1_21merge_config_selectorIjNS0_10empty_typeEEEZNS1_10merge_implIS3_N6thrust23THRUST_200600_302600_NS6detail15normal_iteratorINS9_10device_ptrIKjEEEESF_NS9_16discard_iteratorINS9_11use_defaultEEEPS5_SJ_SJ_NS9_4lessIjEEEE10hipError_tPvRmT0_T1_T2_T3_T4_T5_mmT6_P12ihipStream_tbEUlT_E_NS1_11comp_targetILNS1_3genE2ELNS1_11target_archE906ELNS1_3gpuE6ELNS1_3repE0EEENS1_30default_config_static_selectorELNS0_4arch9wavefront6targetE1EEEvSQ_
    .private_segment_fixed_size: 0
    .sgpr_count:     4
    .sgpr_spill_count: 0
    .symbol:         _ZN7rocprim17ROCPRIM_400000_NS6detail17trampoline_kernelINS0_14default_configENS1_21merge_config_selectorIjNS0_10empty_typeEEEZNS1_10merge_implIS3_N6thrust23THRUST_200600_302600_NS6detail15normal_iteratorINS9_10device_ptrIKjEEEESF_NS9_16discard_iteratorINS9_11use_defaultEEEPS5_SJ_SJ_NS9_4lessIjEEEE10hipError_tPvRmT0_T1_T2_T3_T4_T5_mmT6_P12ihipStream_tbEUlT_E_NS1_11comp_targetILNS1_3genE2ELNS1_11target_archE906ELNS1_3gpuE6ELNS1_3repE0EEENS1_30default_config_static_selectorELNS0_4arch9wavefront6targetE1EEEvSQ_.kd
    .uniform_work_group_size: 1
    .uses_dynamic_stack: false
    .vgpr_count:     0
    .vgpr_spill_count: 0
    .wavefront_size: 64
  - .agpr_count:     0
    .args:
      - .offset:         0
        .size:           48
        .value_kind:     by_value
    .group_segment_fixed_size: 0
    .kernarg_segment_align: 8
    .kernarg_segment_size: 48
    .language:       OpenCL C
    .language_version:
      - 2
      - 0
    .max_flat_workgroup_size: 1024
    .name:           _ZN7rocprim17ROCPRIM_400000_NS6detail17trampoline_kernelINS0_14default_configENS1_21merge_config_selectorIjNS0_10empty_typeEEEZNS1_10merge_implIS3_N6thrust23THRUST_200600_302600_NS6detail15normal_iteratorINS9_10device_ptrIKjEEEESF_NS9_16discard_iteratorINS9_11use_defaultEEEPS5_SJ_SJ_NS9_4lessIjEEEE10hipError_tPvRmT0_T1_T2_T3_T4_T5_mmT6_P12ihipStream_tbEUlT_E_NS1_11comp_targetILNS1_3genE10ELNS1_11target_archE1201ELNS1_3gpuE5ELNS1_3repE0EEENS1_30default_config_static_selectorELNS0_4arch9wavefront6targetE1EEEvSQ_
    .private_segment_fixed_size: 0
    .sgpr_count:     4
    .sgpr_spill_count: 0
    .symbol:         _ZN7rocprim17ROCPRIM_400000_NS6detail17trampoline_kernelINS0_14default_configENS1_21merge_config_selectorIjNS0_10empty_typeEEEZNS1_10merge_implIS3_N6thrust23THRUST_200600_302600_NS6detail15normal_iteratorINS9_10device_ptrIKjEEEESF_NS9_16discard_iteratorINS9_11use_defaultEEEPS5_SJ_SJ_NS9_4lessIjEEEE10hipError_tPvRmT0_T1_T2_T3_T4_T5_mmT6_P12ihipStream_tbEUlT_E_NS1_11comp_targetILNS1_3genE10ELNS1_11target_archE1201ELNS1_3gpuE5ELNS1_3repE0EEENS1_30default_config_static_selectorELNS0_4arch9wavefront6targetE1EEEvSQ_.kd
    .uniform_work_group_size: 1
    .uses_dynamic_stack: false
    .vgpr_count:     0
    .vgpr_spill_count: 0
    .wavefront_size: 64
  - .agpr_count:     0
    .args:
      - .offset:         0
        .size:           48
        .value_kind:     by_value
    .group_segment_fixed_size: 0
    .kernarg_segment_align: 8
    .kernarg_segment_size: 48
    .language:       OpenCL C
    .language_version:
      - 2
      - 0
    .max_flat_workgroup_size: 1024
    .name:           _ZN7rocprim17ROCPRIM_400000_NS6detail17trampoline_kernelINS0_14default_configENS1_21merge_config_selectorIjNS0_10empty_typeEEEZNS1_10merge_implIS3_N6thrust23THRUST_200600_302600_NS6detail15normal_iteratorINS9_10device_ptrIKjEEEESF_NS9_16discard_iteratorINS9_11use_defaultEEEPS5_SJ_SJ_NS9_4lessIjEEEE10hipError_tPvRmT0_T1_T2_T3_T4_T5_mmT6_P12ihipStream_tbEUlT_E_NS1_11comp_targetILNS1_3genE10ELNS1_11target_archE1200ELNS1_3gpuE4ELNS1_3repE0EEENS1_30default_config_static_selectorELNS0_4arch9wavefront6targetE1EEEvSQ_
    .private_segment_fixed_size: 0
    .sgpr_count:     4
    .sgpr_spill_count: 0
    .symbol:         _ZN7rocprim17ROCPRIM_400000_NS6detail17trampoline_kernelINS0_14default_configENS1_21merge_config_selectorIjNS0_10empty_typeEEEZNS1_10merge_implIS3_N6thrust23THRUST_200600_302600_NS6detail15normal_iteratorINS9_10device_ptrIKjEEEESF_NS9_16discard_iteratorINS9_11use_defaultEEEPS5_SJ_SJ_NS9_4lessIjEEEE10hipError_tPvRmT0_T1_T2_T3_T4_T5_mmT6_P12ihipStream_tbEUlT_E_NS1_11comp_targetILNS1_3genE10ELNS1_11target_archE1200ELNS1_3gpuE4ELNS1_3repE0EEENS1_30default_config_static_selectorELNS0_4arch9wavefront6targetE1EEEvSQ_.kd
    .uniform_work_group_size: 1
    .uses_dynamic_stack: false
    .vgpr_count:     0
    .vgpr_spill_count: 0
    .wavefront_size: 64
  - .agpr_count:     0
    .args:
      - .offset:         0
        .size:           48
        .value_kind:     by_value
    .group_segment_fixed_size: 0
    .kernarg_segment_align: 8
    .kernarg_segment_size: 48
    .language:       OpenCL C
    .language_version:
      - 2
      - 0
    .max_flat_workgroup_size: 1024
    .name:           _ZN7rocprim17ROCPRIM_400000_NS6detail17trampoline_kernelINS0_14default_configENS1_21merge_config_selectorIjNS0_10empty_typeEEEZNS1_10merge_implIS3_N6thrust23THRUST_200600_302600_NS6detail15normal_iteratorINS9_10device_ptrIKjEEEESF_NS9_16discard_iteratorINS9_11use_defaultEEEPS5_SJ_SJ_NS9_4lessIjEEEE10hipError_tPvRmT0_T1_T2_T3_T4_T5_mmT6_P12ihipStream_tbEUlT_E_NS1_11comp_targetILNS1_3genE9ELNS1_11target_archE1100ELNS1_3gpuE3ELNS1_3repE0EEENS1_30default_config_static_selectorELNS0_4arch9wavefront6targetE1EEEvSQ_
    .private_segment_fixed_size: 0
    .sgpr_count:     4
    .sgpr_spill_count: 0
    .symbol:         _ZN7rocprim17ROCPRIM_400000_NS6detail17trampoline_kernelINS0_14default_configENS1_21merge_config_selectorIjNS0_10empty_typeEEEZNS1_10merge_implIS3_N6thrust23THRUST_200600_302600_NS6detail15normal_iteratorINS9_10device_ptrIKjEEEESF_NS9_16discard_iteratorINS9_11use_defaultEEEPS5_SJ_SJ_NS9_4lessIjEEEE10hipError_tPvRmT0_T1_T2_T3_T4_T5_mmT6_P12ihipStream_tbEUlT_E_NS1_11comp_targetILNS1_3genE9ELNS1_11target_archE1100ELNS1_3gpuE3ELNS1_3repE0EEENS1_30default_config_static_selectorELNS0_4arch9wavefront6targetE1EEEvSQ_.kd
    .uniform_work_group_size: 1
    .uses_dynamic_stack: false
    .vgpr_count:     0
    .vgpr_spill_count: 0
    .wavefront_size: 64
  - .agpr_count:     0
    .args:
      - .offset:         0
        .size:           48
        .value_kind:     by_value
    .group_segment_fixed_size: 0
    .kernarg_segment_align: 8
    .kernarg_segment_size: 48
    .language:       OpenCL C
    .language_version:
      - 2
      - 0
    .max_flat_workgroup_size: 1024
    .name:           _ZN7rocprim17ROCPRIM_400000_NS6detail17trampoline_kernelINS0_14default_configENS1_21merge_config_selectorIjNS0_10empty_typeEEEZNS1_10merge_implIS3_N6thrust23THRUST_200600_302600_NS6detail15normal_iteratorINS9_10device_ptrIKjEEEESF_NS9_16discard_iteratorINS9_11use_defaultEEEPS5_SJ_SJ_NS9_4lessIjEEEE10hipError_tPvRmT0_T1_T2_T3_T4_T5_mmT6_P12ihipStream_tbEUlT_E_NS1_11comp_targetILNS1_3genE8ELNS1_11target_archE1030ELNS1_3gpuE2ELNS1_3repE0EEENS1_30default_config_static_selectorELNS0_4arch9wavefront6targetE1EEEvSQ_
    .private_segment_fixed_size: 0
    .sgpr_count:     4
    .sgpr_spill_count: 0
    .symbol:         _ZN7rocprim17ROCPRIM_400000_NS6detail17trampoline_kernelINS0_14default_configENS1_21merge_config_selectorIjNS0_10empty_typeEEEZNS1_10merge_implIS3_N6thrust23THRUST_200600_302600_NS6detail15normal_iteratorINS9_10device_ptrIKjEEEESF_NS9_16discard_iteratorINS9_11use_defaultEEEPS5_SJ_SJ_NS9_4lessIjEEEE10hipError_tPvRmT0_T1_T2_T3_T4_T5_mmT6_P12ihipStream_tbEUlT_E_NS1_11comp_targetILNS1_3genE8ELNS1_11target_archE1030ELNS1_3gpuE2ELNS1_3repE0EEENS1_30default_config_static_selectorELNS0_4arch9wavefront6targetE1EEEvSQ_.kd
    .uniform_work_group_size: 1
    .uses_dynamic_stack: false
    .vgpr_count:     0
    .vgpr_spill_count: 0
    .wavefront_size: 64
  - .agpr_count:     0
    .args:
      - .offset:         0
        .size:           96
        .value_kind:     by_value
    .group_segment_fixed_size: 0
    .kernarg_segment_align: 8
    .kernarg_segment_size: 96
    .language:       OpenCL C
    .language_version:
      - 2
      - 0
    .max_flat_workgroup_size: 256
    .name:           _ZN7rocprim17ROCPRIM_400000_NS6detail17trampoline_kernelINS0_14default_configENS1_21merge_config_selectorIjNS0_10empty_typeEEEZNS1_10merge_implIS3_N6thrust23THRUST_200600_302600_NS6detail15normal_iteratorINS9_10device_ptrIKjEEEESF_NS9_16discard_iteratorINS9_11use_defaultEEEPS5_SJ_SJ_NS9_4lessIjEEEE10hipError_tPvRmT0_T1_T2_T3_T4_T5_mmT6_P12ihipStream_tbEUlT_E0_NS1_11comp_targetILNS1_3genE0ELNS1_11target_archE4294967295ELNS1_3gpuE0ELNS1_3repE0EEENS1_30default_config_static_selectorELNS0_4arch9wavefront6targetE1EEEvSQ_
    .private_segment_fixed_size: 0
    .sgpr_count:     4
    .sgpr_spill_count: 0
    .symbol:         _ZN7rocprim17ROCPRIM_400000_NS6detail17trampoline_kernelINS0_14default_configENS1_21merge_config_selectorIjNS0_10empty_typeEEEZNS1_10merge_implIS3_N6thrust23THRUST_200600_302600_NS6detail15normal_iteratorINS9_10device_ptrIKjEEEESF_NS9_16discard_iteratorINS9_11use_defaultEEEPS5_SJ_SJ_NS9_4lessIjEEEE10hipError_tPvRmT0_T1_T2_T3_T4_T5_mmT6_P12ihipStream_tbEUlT_E0_NS1_11comp_targetILNS1_3genE0ELNS1_11target_archE4294967295ELNS1_3gpuE0ELNS1_3repE0EEENS1_30default_config_static_selectorELNS0_4arch9wavefront6targetE1EEEvSQ_.kd
    .uniform_work_group_size: 1
    .uses_dynamic_stack: false
    .vgpr_count:     0
    .vgpr_spill_count: 0
    .wavefront_size: 64
  - .agpr_count:     0
    .args:
      - .offset:         0
        .size:           96
        .value_kind:     by_value
    .group_segment_fixed_size: 0
    .kernarg_segment_align: 8
    .kernarg_segment_size: 96
    .language:       OpenCL C
    .language_version:
      - 2
      - 0
    .max_flat_workgroup_size: 256
    .name:           _ZN7rocprim17ROCPRIM_400000_NS6detail17trampoline_kernelINS0_14default_configENS1_21merge_config_selectorIjNS0_10empty_typeEEEZNS1_10merge_implIS3_N6thrust23THRUST_200600_302600_NS6detail15normal_iteratorINS9_10device_ptrIKjEEEESF_NS9_16discard_iteratorINS9_11use_defaultEEEPS5_SJ_SJ_NS9_4lessIjEEEE10hipError_tPvRmT0_T1_T2_T3_T4_T5_mmT6_P12ihipStream_tbEUlT_E0_NS1_11comp_targetILNS1_3genE5ELNS1_11target_archE942ELNS1_3gpuE9ELNS1_3repE0EEENS1_30default_config_static_selectorELNS0_4arch9wavefront6targetE1EEEvSQ_
    .private_segment_fixed_size: 0
    .sgpr_count:     4
    .sgpr_spill_count: 0
    .symbol:         _ZN7rocprim17ROCPRIM_400000_NS6detail17trampoline_kernelINS0_14default_configENS1_21merge_config_selectorIjNS0_10empty_typeEEEZNS1_10merge_implIS3_N6thrust23THRUST_200600_302600_NS6detail15normal_iteratorINS9_10device_ptrIKjEEEESF_NS9_16discard_iteratorINS9_11use_defaultEEEPS5_SJ_SJ_NS9_4lessIjEEEE10hipError_tPvRmT0_T1_T2_T3_T4_T5_mmT6_P12ihipStream_tbEUlT_E0_NS1_11comp_targetILNS1_3genE5ELNS1_11target_archE942ELNS1_3gpuE9ELNS1_3repE0EEENS1_30default_config_static_selectorELNS0_4arch9wavefront6targetE1EEEvSQ_.kd
    .uniform_work_group_size: 1
    .uses_dynamic_stack: false
    .vgpr_count:     0
    .vgpr_spill_count: 0
    .wavefront_size: 64
  - .agpr_count:     0
    .args:
      - .offset:         0
        .size:           96
        .value_kind:     by_value
    .group_segment_fixed_size: 10256
    .kernarg_segment_align: 8
    .kernarg_segment_size: 96
    .language:       OpenCL C
    .language_version:
      - 2
      - 0
    .max_flat_workgroup_size: 256
    .name:           _ZN7rocprim17ROCPRIM_400000_NS6detail17trampoline_kernelINS0_14default_configENS1_21merge_config_selectorIjNS0_10empty_typeEEEZNS1_10merge_implIS3_N6thrust23THRUST_200600_302600_NS6detail15normal_iteratorINS9_10device_ptrIKjEEEESF_NS9_16discard_iteratorINS9_11use_defaultEEEPS5_SJ_SJ_NS9_4lessIjEEEE10hipError_tPvRmT0_T1_T2_T3_T4_T5_mmT6_P12ihipStream_tbEUlT_E0_NS1_11comp_targetILNS1_3genE4ELNS1_11target_archE910ELNS1_3gpuE8ELNS1_3repE0EEENS1_30default_config_static_selectorELNS0_4arch9wavefront6targetE1EEEvSQ_
    .private_segment_fixed_size: 0
    .sgpr_count:     26
    .sgpr_spill_count: 0
    .symbol:         _ZN7rocprim17ROCPRIM_400000_NS6detail17trampoline_kernelINS0_14default_configENS1_21merge_config_selectorIjNS0_10empty_typeEEEZNS1_10merge_implIS3_N6thrust23THRUST_200600_302600_NS6detail15normal_iteratorINS9_10device_ptrIKjEEEESF_NS9_16discard_iteratorINS9_11use_defaultEEEPS5_SJ_SJ_NS9_4lessIjEEEE10hipError_tPvRmT0_T1_T2_T3_T4_T5_mmT6_P12ihipStream_tbEUlT_E0_NS1_11comp_targetILNS1_3genE4ELNS1_11target_archE910ELNS1_3gpuE8ELNS1_3repE0EEENS1_30default_config_static_selectorELNS0_4arch9wavefront6targetE1EEEvSQ_.kd
    .uniform_work_group_size: 1
    .uses_dynamic_stack: false
    .vgpr_count:     24
    .vgpr_spill_count: 0
    .wavefront_size: 64
  - .agpr_count:     0
    .args:
      - .offset:         0
        .size:           96
        .value_kind:     by_value
    .group_segment_fixed_size: 0
    .kernarg_segment_align: 8
    .kernarg_segment_size: 96
    .language:       OpenCL C
    .language_version:
      - 2
      - 0
    .max_flat_workgroup_size: 256
    .name:           _ZN7rocprim17ROCPRIM_400000_NS6detail17trampoline_kernelINS0_14default_configENS1_21merge_config_selectorIjNS0_10empty_typeEEEZNS1_10merge_implIS3_N6thrust23THRUST_200600_302600_NS6detail15normal_iteratorINS9_10device_ptrIKjEEEESF_NS9_16discard_iteratorINS9_11use_defaultEEEPS5_SJ_SJ_NS9_4lessIjEEEE10hipError_tPvRmT0_T1_T2_T3_T4_T5_mmT6_P12ihipStream_tbEUlT_E0_NS1_11comp_targetILNS1_3genE3ELNS1_11target_archE908ELNS1_3gpuE7ELNS1_3repE0EEENS1_30default_config_static_selectorELNS0_4arch9wavefront6targetE1EEEvSQ_
    .private_segment_fixed_size: 0
    .sgpr_count:     4
    .sgpr_spill_count: 0
    .symbol:         _ZN7rocprim17ROCPRIM_400000_NS6detail17trampoline_kernelINS0_14default_configENS1_21merge_config_selectorIjNS0_10empty_typeEEEZNS1_10merge_implIS3_N6thrust23THRUST_200600_302600_NS6detail15normal_iteratorINS9_10device_ptrIKjEEEESF_NS9_16discard_iteratorINS9_11use_defaultEEEPS5_SJ_SJ_NS9_4lessIjEEEE10hipError_tPvRmT0_T1_T2_T3_T4_T5_mmT6_P12ihipStream_tbEUlT_E0_NS1_11comp_targetILNS1_3genE3ELNS1_11target_archE908ELNS1_3gpuE7ELNS1_3repE0EEENS1_30default_config_static_selectorELNS0_4arch9wavefront6targetE1EEEvSQ_.kd
    .uniform_work_group_size: 1
    .uses_dynamic_stack: false
    .vgpr_count:     0
    .vgpr_spill_count: 0
    .wavefront_size: 64
  - .agpr_count:     0
    .args:
      - .offset:         0
        .size:           96
        .value_kind:     by_value
    .group_segment_fixed_size: 0
    .kernarg_segment_align: 8
    .kernarg_segment_size: 96
    .language:       OpenCL C
    .language_version:
      - 2
      - 0
    .max_flat_workgroup_size: 256
    .name:           _ZN7rocprim17ROCPRIM_400000_NS6detail17trampoline_kernelINS0_14default_configENS1_21merge_config_selectorIjNS0_10empty_typeEEEZNS1_10merge_implIS3_N6thrust23THRUST_200600_302600_NS6detail15normal_iteratorINS9_10device_ptrIKjEEEESF_NS9_16discard_iteratorINS9_11use_defaultEEEPS5_SJ_SJ_NS9_4lessIjEEEE10hipError_tPvRmT0_T1_T2_T3_T4_T5_mmT6_P12ihipStream_tbEUlT_E0_NS1_11comp_targetILNS1_3genE2ELNS1_11target_archE906ELNS1_3gpuE6ELNS1_3repE0EEENS1_30default_config_static_selectorELNS0_4arch9wavefront6targetE1EEEvSQ_
    .private_segment_fixed_size: 0
    .sgpr_count:     4
    .sgpr_spill_count: 0
    .symbol:         _ZN7rocprim17ROCPRIM_400000_NS6detail17trampoline_kernelINS0_14default_configENS1_21merge_config_selectorIjNS0_10empty_typeEEEZNS1_10merge_implIS3_N6thrust23THRUST_200600_302600_NS6detail15normal_iteratorINS9_10device_ptrIKjEEEESF_NS9_16discard_iteratorINS9_11use_defaultEEEPS5_SJ_SJ_NS9_4lessIjEEEE10hipError_tPvRmT0_T1_T2_T3_T4_T5_mmT6_P12ihipStream_tbEUlT_E0_NS1_11comp_targetILNS1_3genE2ELNS1_11target_archE906ELNS1_3gpuE6ELNS1_3repE0EEENS1_30default_config_static_selectorELNS0_4arch9wavefront6targetE1EEEvSQ_.kd
    .uniform_work_group_size: 1
    .uses_dynamic_stack: false
    .vgpr_count:     0
    .vgpr_spill_count: 0
    .wavefront_size: 64
  - .agpr_count:     0
    .args:
      - .offset:         0
        .size:           96
        .value_kind:     by_value
    .group_segment_fixed_size: 0
    .kernarg_segment_align: 8
    .kernarg_segment_size: 96
    .language:       OpenCL C
    .language_version:
      - 2
      - 0
    .max_flat_workgroup_size: 1024
    .name:           _ZN7rocprim17ROCPRIM_400000_NS6detail17trampoline_kernelINS0_14default_configENS1_21merge_config_selectorIjNS0_10empty_typeEEEZNS1_10merge_implIS3_N6thrust23THRUST_200600_302600_NS6detail15normal_iteratorINS9_10device_ptrIKjEEEESF_NS9_16discard_iteratorINS9_11use_defaultEEEPS5_SJ_SJ_NS9_4lessIjEEEE10hipError_tPvRmT0_T1_T2_T3_T4_T5_mmT6_P12ihipStream_tbEUlT_E0_NS1_11comp_targetILNS1_3genE10ELNS1_11target_archE1201ELNS1_3gpuE5ELNS1_3repE0EEENS1_30default_config_static_selectorELNS0_4arch9wavefront6targetE1EEEvSQ_
    .private_segment_fixed_size: 0
    .sgpr_count:     4
    .sgpr_spill_count: 0
    .symbol:         _ZN7rocprim17ROCPRIM_400000_NS6detail17trampoline_kernelINS0_14default_configENS1_21merge_config_selectorIjNS0_10empty_typeEEEZNS1_10merge_implIS3_N6thrust23THRUST_200600_302600_NS6detail15normal_iteratorINS9_10device_ptrIKjEEEESF_NS9_16discard_iteratorINS9_11use_defaultEEEPS5_SJ_SJ_NS9_4lessIjEEEE10hipError_tPvRmT0_T1_T2_T3_T4_T5_mmT6_P12ihipStream_tbEUlT_E0_NS1_11comp_targetILNS1_3genE10ELNS1_11target_archE1201ELNS1_3gpuE5ELNS1_3repE0EEENS1_30default_config_static_selectorELNS0_4arch9wavefront6targetE1EEEvSQ_.kd
    .uniform_work_group_size: 1
    .uses_dynamic_stack: false
    .vgpr_count:     0
    .vgpr_spill_count: 0
    .wavefront_size: 64
  - .agpr_count:     0
    .args:
      - .offset:         0
        .size:           96
        .value_kind:     by_value
    .group_segment_fixed_size: 0
    .kernarg_segment_align: 8
    .kernarg_segment_size: 96
    .language:       OpenCL C
    .language_version:
      - 2
      - 0
    .max_flat_workgroup_size: 1024
    .name:           _ZN7rocprim17ROCPRIM_400000_NS6detail17trampoline_kernelINS0_14default_configENS1_21merge_config_selectorIjNS0_10empty_typeEEEZNS1_10merge_implIS3_N6thrust23THRUST_200600_302600_NS6detail15normal_iteratorINS9_10device_ptrIKjEEEESF_NS9_16discard_iteratorINS9_11use_defaultEEEPS5_SJ_SJ_NS9_4lessIjEEEE10hipError_tPvRmT0_T1_T2_T3_T4_T5_mmT6_P12ihipStream_tbEUlT_E0_NS1_11comp_targetILNS1_3genE10ELNS1_11target_archE1200ELNS1_3gpuE4ELNS1_3repE0EEENS1_30default_config_static_selectorELNS0_4arch9wavefront6targetE1EEEvSQ_
    .private_segment_fixed_size: 0
    .sgpr_count:     4
    .sgpr_spill_count: 0
    .symbol:         _ZN7rocprim17ROCPRIM_400000_NS6detail17trampoline_kernelINS0_14default_configENS1_21merge_config_selectorIjNS0_10empty_typeEEEZNS1_10merge_implIS3_N6thrust23THRUST_200600_302600_NS6detail15normal_iteratorINS9_10device_ptrIKjEEEESF_NS9_16discard_iteratorINS9_11use_defaultEEEPS5_SJ_SJ_NS9_4lessIjEEEE10hipError_tPvRmT0_T1_T2_T3_T4_T5_mmT6_P12ihipStream_tbEUlT_E0_NS1_11comp_targetILNS1_3genE10ELNS1_11target_archE1200ELNS1_3gpuE4ELNS1_3repE0EEENS1_30default_config_static_selectorELNS0_4arch9wavefront6targetE1EEEvSQ_.kd
    .uniform_work_group_size: 1
    .uses_dynamic_stack: false
    .vgpr_count:     0
    .vgpr_spill_count: 0
    .wavefront_size: 64
  - .agpr_count:     0
    .args:
      - .offset:         0
        .size:           96
        .value_kind:     by_value
    .group_segment_fixed_size: 0
    .kernarg_segment_align: 8
    .kernarg_segment_size: 96
    .language:       OpenCL C
    .language_version:
      - 2
      - 0
    .max_flat_workgroup_size: 1024
    .name:           _ZN7rocprim17ROCPRIM_400000_NS6detail17trampoline_kernelINS0_14default_configENS1_21merge_config_selectorIjNS0_10empty_typeEEEZNS1_10merge_implIS3_N6thrust23THRUST_200600_302600_NS6detail15normal_iteratorINS9_10device_ptrIKjEEEESF_NS9_16discard_iteratorINS9_11use_defaultEEEPS5_SJ_SJ_NS9_4lessIjEEEE10hipError_tPvRmT0_T1_T2_T3_T4_T5_mmT6_P12ihipStream_tbEUlT_E0_NS1_11comp_targetILNS1_3genE9ELNS1_11target_archE1100ELNS1_3gpuE3ELNS1_3repE0EEENS1_30default_config_static_selectorELNS0_4arch9wavefront6targetE1EEEvSQ_
    .private_segment_fixed_size: 0
    .sgpr_count:     4
    .sgpr_spill_count: 0
    .symbol:         _ZN7rocprim17ROCPRIM_400000_NS6detail17trampoline_kernelINS0_14default_configENS1_21merge_config_selectorIjNS0_10empty_typeEEEZNS1_10merge_implIS3_N6thrust23THRUST_200600_302600_NS6detail15normal_iteratorINS9_10device_ptrIKjEEEESF_NS9_16discard_iteratorINS9_11use_defaultEEEPS5_SJ_SJ_NS9_4lessIjEEEE10hipError_tPvRmT0_T1_T2_T3_T4_T5_mmT6_P12ihipStream_tbEUlT_E0_NS1_11comp_targetILNS1_3genE9ELNS1_11target_archE1100ELNS1_3gpuE3ELNS1_3repE0EEENS1_30default_config_static_selectorELNS0_4arch9wavefront6targetE1EEEvSQ_.kd
    .uniform_work_group_size: 1
    .uses_dynamic_stack: false
    .vgpr_count:     0
    .vgpr_spill_count: 0
    .wavefront_size: 64
  - .agpr_count:     0
    .args:
      - .offset:         0
        .size:           96
        .value_kind:     by_value
    .group_segment_fixed_size: 0
    .kernarg_segment_align: 8
    .kernarg_segment_size: 96
    .language:       OpenCL C
    .language_version:
      - 2
      - 0
    .max_flat_workgroup_size: 1024
    .name:           _ZN7rocprim17ROCPRIM_400000_NS6detail17trampoline_kernelINS0_14default_configENS1_21merge_config_selectorIjNS0_10empty_typeEEEZNS1_10merge_implIS3_N6thrust23THRUST_200600_302600_NS6detail15normal_iteratorINS9_10device_ptrIKjEEEESF_NS9_16discard_iteratorINS9_11use_defaultEEEPS5_SJ_SJ_NS9_4lessIjEEEE10hipError_tPvRmT0_T1_T2_T3_T4_T5_mmT6_P12ihipStream_tbEUlT_E0_NS1_11comp_targetILNS1_3genE8ELNS1_11target_archE1030ELNS1_3gpuE2ELNS1_3repE0EEENS1_30default_config_static_selectorELNS0_4arch9wavefront6targetE1EEEvSQ_
    .private_segment_fixed_size: 0
    .sgpr_count:     4
    .sgpr_spill_count: 0
    .symbol:         _ZN7rocprim17ROCPRIM_400000_NS6detail17trampoline_kernelINS0_14default_configENS1_21merge_config_selectorIjNS0_10empty_typeEEEZNS1_10merge_implIS3_N6thrust23THRUST_200600_302600_NS6detail15normal_iteratorINS9_10device_ptrIKjEEEESF_NS9_16discard_iteratorINS9_11use_defaultEEEPS5_SJ_SJ_NS9_4lessIjEEEE10hipError_tPvRmT0_T1_T2_T3_T4_T5_mmT6_P12ihipStream_tbEUlT_E0_NS1_11comp_targetILNS1_3genE8ELNS1_11target_archE1030ELNS1_3gpuE2ELNS1_3repE0EEENS1_30default_config_static_selectorELNS0_4arch9wavefront6targetE1EEEvSQ_.kd
    .uniform_work_group_size: 1
    .uses_dynamic_stack: false
    .vgpr_count:     0
    .vgpr_spill_count: 0
    .wavefront_size: 64
  - .agpr_count:     0
    .args:
      - .offset:         0
        .size:           48
        .value_kind:     by_value
    .group_segment_fixed_size: 0
    .kernarg_segment_align: 8
    .kernarg_segment_size: 48
    .language:       OpenCL C
    .language_version:
      - 2
      - 0
    .max_flat_workgroup_size: 512
    .name:           _ZN7rocprim17ROCPRIM_400000_NS6detail17trampoline_kernelINS0_14default_configENS1_21merge_config_selectorItNS0_10empty_typeEEEZNS1_10merge_implIS3_N6thrust23THRUST_200600_302600_NS6detail15normal_iteratorINS9_10device_ptrIKtEEEESF_NS9_16discard_iteratorINS9_11use_defaultEEEPS5_SJ_SJ_NS9_4lessItEEEE10hipError_tPvRmT0_T1_T2_T3_T4_T5_mmT6_P12ihipStream_tbEUlT_E_NS1_11comp_targetILNS1_3genE0ELNS1_11target_archE4294967295ELNS1_3gpuE0ELNS1_3repE0EEENS1_30default_config_static_selectorELNS0_4arch9wavefront6targetE1EEEvSQ_
    .private_segment_fixed_size: 0
    .sgpr_count:     4
    .sgpr_spill_count: 0
    .symbol:         _ZN7rocprim17ROCPRIM_400000_NS6detail17trampoline_kernelINS0_14default_configENS1_21merge_config_selectorItNS0_10empty_typeEEEZNS1_10merge_implIS3_N6thrust23THRUST_200600_302600_NS6detail15normal_iteratorINS9_10device_ptrIKtEEEESF_NS9_16discard_iteratorINS9_11use_defaultEEEPS5_SJ_SJ_NS9_4lessItEEEE10hipError_tPvRmT0_T1_T2_T3_T4_T5_mmT6_P12ihipStream_tbEUlT_E_NS1_11comp_targetILNS1_3genE0ELNS1_11target_archE4294967295ELNS1_3gpuE0ELNS1_3repE0EEENS1_30default_config_static_selectorELNS0_4arch9wavefront6targetE1EEEvSQ_.kd
    .uniform_work_group_size: 1
    .uses_dynamic_stack: false
    .vgpr_count:     0
    .vgpr_spill_count: 0
    .wavefront_size: 64
  - .agpr_count:     0
    .args:
      - .offset:         0
        .size:           48
        .value_kind:     by_value
    .group_segment_fixed_size: 0
    .kernarg_segment_align: 8
    .kernarg_segment_size: 48
    .language:       OpenCL C
    .language_version:
      - 2
      - 0
    .max_flat_workgroup_size: 256
    .name:           _ZN7rocprim17ROCPRIM_400000_NS6detail17trampoline_kernelINS0_14default_configENS1_21merge_config_selectorItNS0_10empty_typeEEEZNS1_10merge_implIS3_N6thrust23THRUST_200600_302600_NS6detail15normal_iteratorINS9_10device_ptrIKtEEEESF_NS9_16discard_iteratorINS9_11use_defaultEEEPS5_SJ_SJ_NS9_4lessItEEEE10hipError_tPvRmT0_T1_T2_T3_T4_T5_mmT6_P12ihipStream_tbEUlT_E_NS1_11comp_targetILNS1_3genE5ELNS1_11target_archE942ELNS1_3gpuE9ELNS1_3repE0EEENS1_30default_config_static_selectorELNS0_4arch9wavefront6targetE1EEEvSQ_
    .private_segment_fixed_size: 0
    .sgpr_count:     4
    .sgpr_spill_count: 0
    .symbol:         _ZN7rocprim17ROCPRIM_400000_NS6detail17trampoline_kernelINS0_14default_configENS1_21merge_config_selectorItNS0_10empty_typeEEEZNS1_10merge_implIS3_N6thrust23THRUST_200600_302600_NS6detail15normal_iteratorINS9_10device_ptrIKtEEEESF_NS9_16discard_iteratorINS9_11use_defaultEEEPS5_SJ_SJ_NS9_4lessItEEEE10hipError_tPvRmT0_T1_T2_T3_T4_T5_mmT6_P12ihipStream_tbEUlT_E_NS1_11comp_targetILNS1_3genE5ELNS1_11target_archE942ELNS1_3gpuE9ELNS1_3repE0EEENS1_30default_config_static_selectorELNS0_4arch9wavefront6targetE1EEEvSQ_.kd
    .uniform_work_group_size: 1
    .uses_dynamic_stack: false
    .vgpr_count:     0
    .vgpr_spill_count: 0
    .wavefront_size: 64
  - .agpr_count:     0
    .args:
      - .offset:         0
        .size:           48
        .value_kind:     by_value
      - .offset:         48
        .size:           4
        .value_kind:     hidden_block_count_x
      - .offset:         52
        .size:           4
        .value_kind:     hidden_block_count_y
      - .offset:         56
        .size:           4
        .value_kind:     hidden_block_count_z
      - .offset:         60
        .size:           2
        .value_kind:     hidden_group_size_x
      - .offset:         62
        .size:           2
        .value_kind:     hidden_group_size_y
      - .offset:         64
        .size:           2
        .value_kind:     hidden_group_size_z
      - .offset:         66
        .size:           2
        .value_kind:     hidden_remainder_x
      - .offset:         68
        .size:           2
        .value_kind:     hidden_remainder_y
      - .offset:         70
        .size:           2
        .value_kind:     hidden_remainder_z
      - .offset:         88
        .size:           8
        .value_kind:     hidden_global_offset_x
      - .offset:         96
        .size:           8
        .value_kind:     hidden_global_offset_y
      - .offset:         104
        .size:           8
        .value_kind:     hidden_global_offset_z
      - .offset:         112
        .size:           2
        .value_kind:     hidden_grid_dims
    .group_segment_fixed_size: 0
    .kernarg_segment_align: 8
    .kernarg_segment_size: 304
    .language:       OpenCL C
    .language_version:
      - 2
      - 0
    .max_flat_workgroup_size: 256
    .name:           _ZN7rocprim17ROCPRIM_400000_NS6detail17trampoline_kernelINS0_14default_configENS1_21merge_config_selectorItNS0_10empty_typeEEEZNS1_10merge_implIS3_N6thrust23THRUST_200600_302600_NS6detail15normal_iteratorINS9_10device_ptrIKtEEEESF_NS9_16discard_iteratorINS9_11use_defaultEEEPS5_SJ_SJ_NS9_4lessItEEEE10hipError_tPvRmT0_T1_T2_T3_T4_T5_mmT6_P12ihipStream_tbEUlT_E_NS1_11comp_targetILNS1_3genE4ELNS1_11target_archE910ELNS1_3gpuE8ELNS1_3repE0EEENS1_30default_config_static_selectorELNS0_4arch9wavefront6targetE1EEEvSQ_
    .private_segment_fixed_size: 0
    .sgpr_count:     18
    .sgpr_spill_count: 0
    .symbol:         _ZN7rocprim17ROCPRIM_400000_NS6detail17trampoline_kernelINS0_14default_configENS1_21merge_config_selectorItNS0_10empty_typeEEEZNS1_10merge_implIS3_N6thrust23THRUST_200600_302600_NS6detail15normal_iteratorINS9_10device_ptrIKtEEEESF_NS9_16discard_iteratorINS9_11use_defaultEEEPS5_SJ_SJ_NS9_4lessItEEEE10hipError_tPvRmT0_T1_T2_T3_T4_T5_mmT6_P12ihipStream_tbEUlT_E_NS1_11comp_targetILNS1_3genE4ELNS1_11target_archE910ELNS1_3gpuE8ELNS1_3repE0EEENS1_30default_config_static_selectorELNS0_4arch9wavefront6targetE1EEEvSQ_.kd
    .uniform_work_group_size: 1
    .uses_dynamic_stack: false
    .vgpr_count:     15
    .vgpr_spill_count: 0
    .wavefront_size: 64
  - .agpr_count:     0
    .args:
      - .offset:         0
        .size:           48
        .value_kind:     by_value
    .group_segment_fixed_size: 0
    .kernarg_segment_align: 8
    .kernarg_segment_size: 48
    .language:       OpenCL C
    .language_version:
      - 2
      - 0
    .max_flat_workgroup_size: 512
    .name:           _ZN7rocprim17ROCPRIM_400000_NS6detail17trampoline_kernelINS0_14default_configENS1_21merge_config_selectorItNS0_10empty_typeEEEZNS1_10merge_implIS3_N6thrust23THRUST_200600_302600_NS6detail15normal_iteratorINS9_10device_ptrIKtEEEESF_NS9_16discard_iteratorINS9_11use_defaultEEEPS5_SJ_SJ_NS9_4lessItEEEE10hipError_tPvRmT0_T1_T2_T3_T4_T5_mmT6_P12ihipStream_tbEUlT_E_NS1_11comp_targetILNS1_3genE3ELNS1_11target_archE908ELNS1_3gpuE7ELNS1_3repE0EEENS1_30default_config_static_selectorELNS0_4arch9wavefront6targetE1EEEvSQ_
    .private_segment_fixed_size: 0
    .sgpr_count:     4
    .sgpr_spill_count: 0
    .symbol:         _ZN7rocprim17ROCPRIM_400000_NS6detail17trampoline_kernelINS0_14default_configENS1_21merge_config_selectorItNS0_10empty_typeEEEZNS1_10merge_implIS3_N6thrust23THRUST_200600_302600_NS6detail15normal_iteratorINS9_10device_ptrIKtEEEESF_NS9_16discard_iteratorINS9_11use_defaultEEEPS5_SJ_SJ_NS9_4lessItEEEE10hipError_tPvRmT0_T1_T2_T3_T4_T5_mmT6_P12ihipStream_tbEUlT_E_NS1_11comp_targetILNS1_3genE3ELNS1_11target_archE908ELNS1_3gpuE7ELNS1_3repE0EEENS1_30default_config_static_selectorELNS0_4arch9wavefront6targetE1EEEvSQ_.kd
    .uniform_work_group_size: 1
    .uses_dynamic_stack: false
    .vgpr_count:     0
    .vgpr_spill_count: 0
    .wavefront_size: 64
  - .agpr_count:     0
    .args:
      - .offset:         0
        .size:           48
        .value_kind:     by_value
    .group_segment_fixed_size: 0
    .kernarg_segment_align: 8
    .kernarg_segment_size: 48
    .language:       OpenCL C
    .language_version:
      - 2
      - 0
    .max_flat_workgroup_size: 256
    .name:           _ZN7rocprim17ROCPRIM_400000_NS6detail17trampoline_kernelINS0_14default_configENS1_21merge_config_selectorItNS0_10empty_typeEEEZNS1_10merge_implIS3_N6thrust23THRUST_200600_302600_NS6detail15normal_iteratorINS9_10device_ptrIKtEEEESF_NS9_16discard_iteratorINS9_11use_defaultEEEPS5_SJ_SJ_NS9_4lessItEEEE10hipError_tPvRmT0_T1_T2_T3_T4_T5_mmT6_P12ihipStream_tbEUlT_E_NS1_11comp_targetILNS1_3genE2ELNS1_11target_archE906ELNS1_3gpuE6ELNS1_3repE0EEENS1_30default_config_static_selectorELNS0_4arch9wavefront6targetE1EEEvSQ_
    .private_segment_fixed_size: 0
    .sgpr_count:     4
    .sgpr_spill_count: 0
    .symbol:         _ZN7rocprim17ROCPRIM_400000_NS6detail17trampoline_kernelINS0_14default_configENS1_21merge_config_selectorItNS0_10empty_typeEEEZNS1_10merge_implIS3_N6thrust23THRUST_200600_302600_NS6detail15normal_iteratorINS9_10device_ptrIKtEEEESF_NS9_16discard_iteratorINS9_11use_defaultEEEPS5_SJ_SJ_NS9_4lessItEEEE10hipError_tPvRmT0_T1_T2_T3_T4_T5_mmT6_P12ihipStream_tbEUlT_E_NS1_11comp_targetILNS1_3genE2ELNS1_11target_archE906ELNS1_3gpuE6ELNS1_3repE0EEENS1_30default_config_static_selectorELNS0_4arch9wavefront6targetE1EEEvSQ_.kd
    .uniform_work_group_size: 1
    .uses_dynamic_stack: false
    .vgpr_count:     0
    .vgpr_spill_count: 0
    .wavefront_size: 64
  - .agpr_count:     0
    .args:
      - .offset:         0
        .size:           48
        .value_kind:     by_value
    .group_segment_fixed_size: 0
    .kernarg_segment_align: 8
    .kernarg_segment_size: 48
    .language:       OpenCL C
    .language_version:
      - 2
      - 0
    .max_flat_workgroup_size: 512
    .name:           _ZN7rocprim17ROCPRIM_400000_NS6detail17trampoline_kernelINS0_14default_configENS1_21merge_config_selectorItNS0_10empty_typeEEEZNS1_10merge_implIS3_N6thrust23THRUST_200600_302600_NS6detail15normal_iteratorINS9_10device_ptrIKtEEEESF_NS9_16discard_iteratorINS9_11use_defaultEEEPS5_SJ_SJ_NS9_4lessItEEEE10hipError_tPvRmT0_T1_T2_T3_T4_T5_mmT6_P12ihipStream_tbEUlT_E_NS1_11comp_targetILNS1_3genE10ELNS1_11target_archE1201ELNS1_3gpuE5ELNS1_3repE0EEENS1_30default_config_static_selectorELNS0_4arch9wavefront6targetE1EEEvSQ_
    .private_segment_fixed_size: 0
    .sgpr_count:     4
    .sgpr_spill_count: 0
    .symbol:         _ZN7rocprim17ROCPRIM_400000_NS6detail17trampoline_kernelINS0_14default_configENS1_21merge_config_selectorItNS0_10empty_typeEEEZNS1_10merge_implIS3_N6thrust23THRUST_200600_302600_NS6detail15normal_iteratorINS9_10device_ptrIKtEEEESF_NS9_16discard_iteratorINS9_11use_defaultEEEPS5_SJ_SJ_NS9_4lessItEEEE10hipError_tPvRmT0_T1_T2_T3_T4_T5_mmT6_P12ihipStream_tbEUlT_E_NS1_11comp_targetILNS1_3genE10ELNS1_11target_archE1201ELNS1_3gpuE5ELNS1_3repE0EEENS1_30default_config_static_selectorELNS0_4arch9wavefront6targetE1EEEvSQ_.kd
    .uniform_work_group_size: 1
    .uses_dynamic_stack: false
    .vgpr_count:     0
    .vgpr_spill_count: 0
    .wavefront_size: 64
  - .agpr_count:     0
    .args:
      - .offset:         0
        .size:           48
        .value_kind:     by_value
    .group_segment_fixed_size: 0
    .kernarg_segment_align: 8
    .kernarg_segment_size: 48
    .language:       OpenCL C
    .language_version:
      - 2
      - 0
    .max_flat_workgroup_size: 512
    .name:           _ZN7rocprim17ROCPRIM_400000_NS6detail17trampoline_kernelINS0_14default_configENS1_21merge_config_selectorItNS0_10empty_typeEEEZNS1_10merge_implIS3_N6thrust23THRUST_200600_302600_NS6detail15normal_iteratorINS9_10device_ptrIKtEEEESF_NS9_16discard_iteratorINS9_11use_defaultEEEPS5_SJ_SJ_NS9_4lessItEEEE10hipError_tPvRmT0_T1_T2_T3_T4_T5_mmT6_P12ihipStream_tbEUlT_E_NS1_11comp_targetILNS1_3genE10ELNS1_11target_archE1200ELNS1_3gpuE4ELNS1_3repE0EEENS1_30default_config_static_selectorELNS0_4arch9wavefront6targetE1EEEvSQ_
    .private_segment_fixed_size: 0
    .sgpr_count:     4
    .sgpr_spill_count: 0
    .symbol:         _ZN7rocprim17ROCPRIM_400000_NS6detail17trampoline_kernelINS0_14default_configENS1_21merge_config_selectorItNS0_10empty_typeEEEZNS1_10merge_implIS3_N6thrust23THRUST_200600_302600_NS6detail15normal_iteratorINS9_10device_ptrIKtEEEESF_NS9_16discard_iteratorINS9_11use_defaultEEEPS5_SJ_SJ_NS9_4lessItEEEE10hipError_tPvRmT0_T1_T2_T3_T4_T5_mmT6_P12ihipStream_tbEUlT_E_NS1_11comp_targetILNS1_3genE10ELNS1_11target_archE1200ELNS1_3gpuE4ELNS1_3repE0EEENS1_30default_config_static_selectorELNS0_4arch9wavefront6targetE1EEEvSQ_.kd
    .uniform_work_group_size: 1
    .uses_dynamic_stack: false
    .vgpr_count:     0
    .vgpr_spill_count: 0
    .wavefront_size: 64
  - .agpr_count:     0
    .args:
      - .offset:         0
        .size:           48
        .value_kind:     by_value
    .group_segment_fixed_size: 0
    .kernarg_segment_align: 8
    .kernarg_segment_size: 48
    .language:       OpenCL C
    .language_version:
      - 2
      - 0
    .max_flat_workgroup_size: 512
    .name:           _ZN7rocprim17ROCPRIM_400000_NS6detail17trampoline_kernelINS0_14default_configENS1_21merge_config_selectorItNS0_10empty_typeEEEZNS1_10merge_implIS3_N6thrust23THRUST_200600_302600_NS6detail15normal_iteratorINS9_10device_ptrIKtEEEESF_NS9_16discard_iteratorINS9_11use_defaultEEEPS5_SJ_SJ_NS9_4lessItEEEE10hipError_tPvRmT0_T1_T2_T3_T4_T5_mmT6_P12ihipStream_tbEUlT_E_NS1_11comp_targetILNS1_3genE9ELNS1_11target_archE1100ELNS1_3gpuE3ELNS1_3repE0EEENS1_30default_config_static_selectorELNS0_4arch9wavefront6targetE1EEEvSQ_
    .private_segment_fixed_size: 0
    .sgpr_count:     4
    .sgpr_spill_count: 0
    .symbol:         _ZN7rocprim17ROCPRIM_400000_NS6detail17trampoline_kernelINS0_14default_configENS1_21merge_config_selectorItNS0_10empty_typeEEEZNS1_10merge_implIS3_N6thrust23THRUST_200600_302600_NS6detail15normal_iteratorINS9_10device_ptrIKtEEEESF_NS9_16discard_iteratorINS9_11use_defaultEEEPS5_SJ_SJ_NS9_4lessItEEEE10hipError_tPvRmT0_T1_T2_T3_T4_T5_mmT6_P12ihipStream_tbEUlT_E_NS1_11comp_targetILNS1_3genE9ELNS1_11target_archE1100ELNS1_3gpuE3ELNS1_3repE0EEENS1_30default_config_static_selectorELNS0_4arch9wavefront6targetE1EEEvSQ_.kd
    .uniform_work_group_size: 1
    .uses_dynamic_stack: false
    .vgpr_count:     0
    .vgpr_spill_count: 0
    .wavefront_size: 64
  - .agpr_count:     0
    .args:
      - .offset:         0
        .size:           48
        .value_kind:     by_value
    .group_segment_fixed_size: 0
    .kernarg_segment_align: 8
    .kernarg_segment_size: 48
    .language:       OpenCL C
    .language_version:
      - 2
      - 0
    .max_flat_workgroup_size: 256
    .name:           _ZN7rocprim17ROCPRIM_400000_NS6detail17trampoline_kernelINS0_14default_configENS1_21merge_config_selectorItNS0_10empty_typeEEEZNS1_10merge_implIS3_N6thrust23THRUST_200600_302600_NS6detail15normal_iteratorINS9_10device_ptrIKtEEEESF_NS9_16discard_iteratorINS9_11use_defaultEEEPS5_SJ_SJ_NS9_4lessItEEEE10hipError_tPvRmT0_T1_T2_T3_T4_T5_mmT6_P12ihipStream_tbEUlT_E_NS1_11comp_targetILNS1_3genE8ELNS1_11target_archE1030ELNS1_3gpuE2ELNS1_3repE0EEENS1_30default_config_static_selectorELNS0_4arch9wavefront6targetE1EEEvSQ_
    .private_segment_fixed_size: 0
    .sgpr_count:     4
    .sgpr_spill_count: 0
    .symbol:         _ZN7rocprim17ROCPRIM_400000_NS6detail17trampoline_kernelINS0_14default_configENS1_21merge_config_selectorItNS0_10empty_typeEEEZNS1_10merge_implIS3_N6thrust23THRUST_200600_302600_NS6detail15normal_iteratorINS9_10device_ptrIKtEEEESF_NS9_16discard_iteratorINS9_11use_defaultEEEPS5_SJ_SJ_NS9_4lessItEEEE10hipError_tPvRmT0_T1_T2_T3_T4_T5_mmT6_P12ihipStream_tbEUlT_E_NS1_11comp_targetILNS1_3genE8ELNS1_11target_archE1030ELNS1_3gpuE2ELNS1_3repE0EEENS1_30default_config_static_selectorELNS0_4arch9wavefront6targetE1EEEvSQ_.kd
    .uniform_work_group_size: 1
    .uses_dynamic_stack: false
    .vgpr_count:     0
    .vgpr_spill_count: 0
    .wavefront_size: 64
  - .agpr_count:     0
    .args:
      - .offset:         0
        .size:           96
        .value_kind:     by_value
    .group_segment_fixed_size: 0
    .kernarg_segment_align: 8
    .kernarg_segment_size: 96
    .language:       OpenCL C
    .language_version:
      - 2
      - 0
    .max_flat_workgroup_size: 512
    .name:           _ZN7rocprim17ROCPRIM_400000_NS6detail17trampoline_kernelINS0_14default_configENS1_21merge_config_selectorItNS0_10empty_typeEEEZNS1_10merge_implIS3_N6thrust23THRUST_200600_302600_NS6detail15normal_iteratorINS9_10device_ptrIKtEEEESF_NS9_16discard_iteratorINS9_11use_defaultEEEPS5_SJ_SJ_NS9_4lessItEEEE10hipError_tPvRmT0_T1_T2_T3_T4_T5_mmT6_P12ihipStream_tbEUlT_E0_NS1_11comp_targetILNS1_3genE0ELNS1_11target_archE4294967295ELNS1_3gpuE0ELNS1_3repE0EEENS1_30default_config_static_selectorELNS0_4arch9wavefront6targetE1EEEvSQ_
    .private_segment_fixed_size: 0
    .sgpr_count:     4
    .sgpr_spill_count: 0
    .symbol:         _ZN7rocprim17ROCPRIM_400000_NS6detail17trampoline_kernelINS0_14default_configENS1_21merge_config_selectorItNS0_10empty_typeEEEZNS1_10merge_implIS3_N6thrust23THRUST_200600_302600_NS6detail15normal_iteratorINS9_10device_ptrIKtEEEESF_NS9_16discard_iteratorINS9_11use_defaultEEEPS5_SJ_SJ_NS9_4lessItEEEE10hipError_tPvRmT0_T1_T2_T3_T4_T5_mmT6_P12ihipStream_tbEUlT_E0_NS1_11comp_targetILNS1_3genE0ELNS1_11target_archE4294967295ELNS1_3gpuE0ELNS1_3repE0EEENS1_30default_config_static_selectorELNS0_4arch9wavefront6targetE1EEEvSQ_.kd
    .uniform_work_group_size: 1
    .uses_dynamic_stack: false
    .vgpr_count:     0
    .vgpr_spill_count: 0
    .wavefront_size: 64
  - .agpr_count:     0
    .args:
      - .offset:         0
        .size:           96
        .value_kind:     by_value
    .group_segment_fixed_size: 0
    .kernarg_segment_align: 8
    .kernarg_segment_size: 96
    .language:       OpenCL C
    .language_version:
      - 2
      - 0
    .max_flat_workgroup_size: 256
    .name:           _ZN7rocprim17ROCPRIM_400000_NS6detail17trampoline_kernelINS0_14default_configENS1_21merge_config_selectorItNS0_10empty_typeEEEZNS1_10merge_implIS3_N6thrust23THRUST_200600_302600_NS6detail15normal_iteratorINS9_10device_ptrIKtEEEESF_NS9_16discard_iteratorINS9_11use_defaultEEEPS5_SJ_SJ_NS9_4lessItEEEE10hipError_tPvRmT0_T1_T2_T3_T4_T5_mmT6_P12ihipStream_tbEUlT_E0_NS1_11comp_targetILNS1_3genE5ELNS1_11target_archE942ELNS1_3gpuE9ELNS1_3repE0EEENS1_30default_config_static_selectorELNS0_4arch9wavefront6targetE1EEEvSQ_
    .private_segment_fixed_size: 0
    .sgpr_count:     4
    .sgpr_spill_count: 0
    .symbol:         _ZN7rocprim17ROCPRIM_400000_NS6detail17trampoline_kernelINS0_14default_configENS1_21merge_config_selectorItNS0_10empty_typeEEEZNS1_10merge_implIS3_N6thrust23THRUST_200600_302600_NS6detail15normal_iteratorINS9_10device_ptrIKtEEEESF_NS9_16discard_iteratorINS9_11use_defaultEEEPS5_SJ_SJ_NS9_4lessItEEEE10hipError_tPvRmT0_T1_T2_T3_T4_T5_mmT6_P12ihipStream_tbEUlT_E0_NS1_11comp_targetILNS1_3genE5ELNS1_11target_archE942ELNS1_3gpuE9ELNS1_3repE0EEENS1_30default_config_static_selectorELNS0_4arch9wavefront6targetE1EEEvSQ_.kd
    .uniform_work_group_size: 1
    .uses_dynamic_stack: false
    .vgpr_count:     0
    .vgpr_spill_count: 0
    .wavefront_size: 64
  - .agpr_count:     0
    .args:
      - .offset:         0
        .size:           96
        .value_kind:     by_value
    .group_segment_fixed_size: 8448
    .kernarg_segment_align: 8
    .kernarg_segment_size: 96
    .language:       OpenCL C
    .language_version:
      - 2
      - 0
    .max_flat_workgroup_size: 256
    .name:           _ZN7rocprim17ROCPRIM_400000_NS6detail17trampoline_kernelINS0_14default_configENS1_21merge_config_selectorItNS0_10empty_typeEEEZNS1_10merge_implIS3_N6thrust23THRUST_200600_302600_NS6detail15normal_iteratorINS9_10device_ptrIKtEEEESF_NS9_16discard_iteratorINS9_11use_defaultEEEPS5_SJ_SJ_NS9_4lessItEEEE10hipError_tPvRmT0_T1_T2_T3_T4_T5_mmT6_P12ihipStream_tbEUlT_E0_NS1_11comp_targetILNS1_3genE4ELNS1_11target_archE910ELNS1_3gpuE8ELNS1_3repE0EEENS1_30default_config_static_selectorELNS0_4arch9wavefront6targetE1EEEvSQ_
    .private_segment_fixed_size: 0
    .sgpr_count:     36
    .sgpr_spill_count: 0
    .symbol:         _ZN7rocprim17ROCPRIM_400000_NS6detail17trampoline_kernelINS0_14default_configENS1_21merge_config_selectorItNS0_10empty_typeEEEZNS1_10merge_implIS3_N6thrust23THRUST_200600_302600_NS6detail15normal_iteratorINS9_10device_ptrIKtEEEESF_NS9_16discard_iteratorINS9_11use_defaultEEEPS5_SJ_SJ_NS9_4lessItEEEE10hipError_tPvRmT0_T1_T2_T3_T4_T5_mmT6_P12ihipStream_tbEUlT_E0_NS1_11comp_targetILNS1_3genE4ELNS1_11target_archE910ELNS1_3gpuE8ELNS1_3repE0EEENS1_30default_config_static_selectorELNS0_4arch9wavefront6targetE1EEEvSQ_.kd
    .uniform_work_group_size: 1
    .uses_dynamic_stack: false
    .vgpr_count:     32
    .vgpr_spill_count: 0
    .wavefront_size: 64
  - .agpr_count:     0
    .args:
      - .offset:         0
        .size:           96
        .value_kind:     by_value
    .group_segment_fixed_size: 0
    .kernarg_segment_align: 8
    .kernarg_segment_size: 96
    .language:       OpenCL C
    .language_version:
      - 2
      - 0
    .max_flat_workgroup_size: 512
    .name:           _ZN7rocprim17ROCPRIM_400000_NS6detail17trampoline_kernelINS0_14default_configENS1_21merge_config_selectorItNS0_10empty_typeEEEZNS1_10merge_implIS3_N6thrust23THRUST_200600_302600_NS6detail15normal_iteratorINS9_10device_ptrIKtEEEESF_NS9_16discard_iteratorINS9_11use_defaultEEEPS5_SJ_SJ_NS9_4lessItEEEE10hipError_tPvRmT0_T1_T2_T3_T4_T5_mmT6_P12ihipStream_tbEUlT_E0_NS1_11comp_targetILNS1_3genE3ELNS1_11target_archE908ELNS1_3gpuE7ELNS1_3repE0EEENS1_30default_config_static_selectorELNS0_4arch9wavefront6targetE1EEEvSQ_
    .private_segment_fixed_size: 0
    .sgpr_count:     4
    .sgpr_spill_count: 0
    .symbol:         _ZN7rocprim17ROCPRIM_400000_NS6detail17trampoline_kernelINS0_14default_configENS1_21merge_config_selectorItNS0_10empty_typeEEEZNS1_10merge_implIS3_N6thrust23THRUST_200600_302600_NS6detail15normal_iteratorINS9_10device_ptrIKtEEEESF_NS9_16discard_iteratorINS9_11use_defaultEEEPS5_SJ_SJ_NS9_4lessItEEEE10hipError_tPvRmT0_T1_T2_T3_T4_T5_mmT6_P12ihipStream_tbEUlT_E0_NS1_11comp_targetILNS1_3genE3ELNS1_11target_archE908ELNS1_3gpuE7ELNS1_3repE0EEENS1_30default_config_static_selectorELNS0_4arch9wavefront6targetE1EEEvSQ_.kd
    .uniform_work_group_size: 1
    .uses_dynamic_stack: false
    .vgpr_count:     0
    .vgpr_spill_count: 0
    .wavefront_size: 64
  - .agpr_count:     0
    .args:
      - .offset:         0
        .size:           96
        .value_kind:     by_value
    .group_segment_fixed_size: 0
    .kernarg_segment_align: 8
    .kernarg_segment_size: 96
    .language:       OpenCL C
    .language_version:
      - 2
      - 0
    .max_flat_workgroup_size: 256
    .name:           _ZN7rocprim17ROCPRIM_400000_NS6detail17trampoline_kernelINS0_14default_configENS1_21merge_config_selectorItNS0_10empty_typeEEEZNS1_10merge_implIS3_N6thrust23THRUST_200600_302600_NS6detail15normal_iteratorINS9_10device_ptrIKtEEEESF_NS9_16discard_iteratorINS9_11use_defaultEEEPS5_SJ_SJ_NS9_4lessItEEEE10hipError_tPvRmT0_T1_T2_T3_T4_T5_mmT6_P12ihipStream_tbEUlT_E0_NS1_11comp_targetILNS1_3genE2ELNS1_11target_archE906ELNS1_3gpuE6ELNS1_3repE0EEENS1_30default_config_static_selectorELNS0_4arch9wavefront6targetE1EEEvSQ_
    .private_segment_fixed_size: 0
    .sgpr_count:     4
    .sgpr_spill_count: 0
    .symbol:         _ZN7rocprim17ROCPRIM_400000_NS6detail17trampoline_kernelINS0_14default_configENS1_21merge_config_selectorItNS0_10empty_typeEEEZNS1_10merge_implIS3_N6thrust23THRUST_200600_302600_NS6detail15normal_iteratorINS9_10device_ptrIKtEEEESF_NS9_16discard_iteratorINS9_11use_defaultEEEPS5_SJ_SJ_NS9_4lessItEEEE10hipError_tPvRmT0_T1_T2_T3_T4_T5_mmT6_P12ihipStream_tbEUlT_E0_NS1_11comp_targetILNS1_3genE2ELNS1_11target_archE906ELNS1_3gpuE6ELNS1_3repE0EEENS1_30default_config_static_selectorELNS0_4arch9wavefront6targetE1EEEvSQ_.kd
    .uniform_work_group_size: 1
    .uses_dynamic_stack: false
    .vgpr_count:     0
    .vgpr_spill_count: 0
    .wavefront_size: 64
  - .agpr_count:     0
    .args:
      - .offset:         0
        .size:           96
        .value_kind:     by_value
    .group_segment_fixed_size: 0
    .kernarg_segment_align: 8
    .kernarg_segment_size: 96
    .language:       OpenCL C
    .language_version:
      - 2
      - 0
    .max_flat_workgroup_size: 512
    .name:           _ZN7rocprim17ROCPRIM_400000_NS6detail17trampoline_kernelINS0_14default_configENS1_21merge_config_selectorItNS0_10empty_typeEEEZNS1_10merge_implIS3_N6thrust23THRUST_200600_302600_NS6detail15normal_iteratorINS9_10device_ptrIKtEEEESF_NS9_16discard_iteratorINS9_11use_defaultEEEPS5_SJ_SJ_NS9_4lessItEEEE10hipError_tPvRmT0_T1_T2_T3_T4_T5_mmT6_P12ihipStream_tbEUlT_E0_NS1_11comp_targetILNS1_3genE10ELNS1_11target_archE1201ELNS1_3gpuE5ELNS1_3repE0EEENS1_30default_config_static_selectorELNS0_4arch9wavefront6targetE1EEEvSQ_
    .private_segment_fixed_size: 0
    .sgpr_count:     4
    .sgpr_spill_count: 0
    .symbol:         _ZN7rocprim17ROCPRIM_400000_NS6detail17trampoline_kernelINS0_14default_configENS1_21merge_config_selectorItNS0_10empty_typeEEEZNS1_10merge_implIS3_N6thrust23THRUST_200600_302600_NS6detail15normal_iteratorINS9_10device_ptrIKtEEEESF_NS9_16discard_iteratorINS9_11use_defaultEEEPS5_SJ_SJ_NS9_4lessItEEEE10hipError_tPvRmT0_T1_T2_T3_T4_T5_mmT6_P12ihipStream_tbEUlT_E0_NS1_11comp_targetILNS1_3genE10ELNS1_11target_archE1201ELNS1_3gpuE5ELNS1_3repE0EEENS1_30default_config_static_selectorELNS0_4arch9wavefront6targetE1EEEvSQ_.kd
    .uniform_work_group_size: 1
    .uses_dynamic_stack: false
    .vgpr_count:     0
    .vgpr_spill_count: 0
    .wavefront_size: 64
  - .agpr_count:     0
    .args:
      - .offset:         0
        .size:           96
        .value_kind:     by_value
    .group_segment_fixed_size: 0
    .kernarg_segment_align: 8
    .kernarg_segment_size: 96
    .language:       OpenCL C
    .language_version:
      - 2
      - 0
    .max_flat_workgroup_size: 512
    .name:           _ZN7rocprim17ROCPRIM_400000_NS6detail17trampoline_kernelINS0_14default_configENS1_21merge_config_selectorItNS0_10empty_typeEEEZNS1_10merge_implIS3_N6thrust23THRUST_200600_302600_NS6detail15normal_iteratorINS9_10device_ptrIKtEEEESF_NS9_16discard_iteratorINS9_11use_defaultEEEPS5_SJ_SJ_NS9_4lessItEEEE10hipError_tPvRmT0_T1_T2_T3_T4_T5_mmT6_P12ihipStream_tbEUlT_E0_NS1_11comp_targetILNS1_3genE10ELNS1_11target_archE1200ELNS1_3gpuE4ELNS1_3repE0EEENS1_30default_config_static_selectorELNS0_4arch9wavefront6targetE1EEEvSQ_
    .private_segment_fixed_size: 0
    .sgpr_count:     4
    .sgpr_spill_count: 0
    .symbol:         _ZN7rocprim17ROCPRIM_400000_NS6detail17trampoline_kernelINS0_14default_configENS1_21merge_config_selectorItNS0_10empty_typeEEEZNS1_10merge_implIS3_N6thrust23THRUST_200600_302600_NS6detail15normal_iteratorINS9_10device_ptrIKtEEEESF_NS9_16discard_iteratorINS9_11use_defaultEEEPS5_SJ_SJ_NS9_4lessItEEEE10hipError_tPvRmT0_T1_T2_T3_T4_T5_mmT6_P12ihipStream_tbEUlT_E0_NS1_11comp_targetILNS1_3genE10ELNS1_11target_archE1200ELNS1_3gpuE4ELNS1_3repE0EEENS1_30default_config_static_selectorELNS0_4arch9wavefront6targetE1EEEvSQ_.kd
    .uniform_work_group_size: 1
    .uses_dynamic_stack: false
    .vgpr_count:     0
    .vgpr_spill_count: 0
    .wavefront_size: 64
  - .agpr_count:     0
    .args:
      - .offset:         0
        .size:           96
        .value_kind:     by_value
    .group_segment_fixed_size: 0
    .kernarg_segment_align: 8
    .kernarg_segment_size: 96
    .language:       OpenCL C
    .language_version:
      - 2
      - 0
    .max_flat_workgroup_size: 512
    .name:           _ZN7rocprim17ROCPRIM_400000_NS6detail17trampoline_kernelINS0_14default_configENS1_21merge_config_selectorItNS0_10empty_typeEEEZNS1_10merge_implIS3_N6thrust23THRUST_200600_302600_NS6detail15normal_iteratorINS9_10device_ptrIKtEEEESF_NS9_16discard_iteratorINS9_11use_defaultEEEPS5_SJ_SJ_NS9_4lessItEEEE10hipError_tPvRmT0_T1_T2_T3_T4_T5_mmT6_P12ihipStream_tbEUlT_E0_NS1_11comp_targetILNS1_3genE9ELNS1_11target_archE1100ELNS1_3gpuE3ELNS1_3repE0EEENS1_30default_config_static_selectorELNS0_4arch9wavefront6targetE1EEEvSQ_
    .private_segment_fixed_size: 0
    .sgpr_count:     4
    .sgpr_spill_count: 0
    .symbol:         _ZN7rocprim17ROCPRIM_400000_NS6detail17trampoline_kernelINS0_14default_configENS1_21merge_config_selectorItNS0_10empty_typeEEEZNS1_10merge_implIS3_N6thrust23THRUST_200600_302600_NS6detail15normal_iteratorINS9_10device_ptrIKtEEEESF_NS9_16discard_iteratorINS9_11use_defaultEEEPS5_SJ_SJ_NS9_4lessItEEEE10hipError_tPvRmT0_T1_T2_T3_T4_T5_mmT6_P12ihipStream_tbEUlT_E0_NS1_11comp_targetILNS1_3genE9ELNS1_11target_archE1100ELNS1_3gpuE3ELNS1_3repE0EEENS1_30default_config_static_selectorELNS0_4arch9wavefront6targetE1EEEvSQ_.kd
    .uniform_work_group_size: 1
    .uses_dynamic_stack: false
    .vgpr_count:     0
    .vgpr_spill_count: 0
    .wavefront_size: 64
  - .agpr_count:     0
    .args:
      - .offset:         0
        .size:           96
        .value_kind:     by_value
    .group_segment_fixed_size: 0
    .kernarg_segment_align: 8
    .kernarg_segment_size: 96
    .language:       OpenCL C
    .language_version:
      - 2
      - 0
    .max_flat_workgroup_size: 256
    .name:           _ZN7rocprim17ROCPRIM_400000_NS6detail17trampoline_kernelINS0_14default_configENS1_21merge_config_selectorItNS0_10empty_typeEEEZNS1_10merge_implIS3_N6thrust23THRUST_200600_302600_NS6detail15normal_iteratorINS9_10device_ptrIKtEEEESF_NS9_16discard_iteratorINS9_11use_defaultEEEPS5_SJ_SJ_NS9_4lessItEEEE10hipError_tPvRmT0_T1_T2_T3_T4_T5_mmT6_P12ihipStream_tbEUlT_E0_NS1_11comp_targetILNS1_3genE8ELNS1_11target_archE1030ELNS1_3gpuE2ELNS1_3repE0EEENS1_30default_config_static_selectorELNS0_4arch9wavefront6targetE1EEEvSQ_
    .private_segment_fixed_size: 0
    .sgpr_count:     4
    .sgpr_spill_count: 0
    .symbol:         _ZN7rocprim17ROCPRIM_400000_NS6detail17trampoline_kernelINS0_14default_configENS1_21merge_config_selectorItNS0_10empty_typeEEEZNS1_10merge_implIS3_N6thrust23THRUST_200600_302600_NS6detail15normal_iteratorINS9_10device_ptrIKtEEEESF_NS9_16discard_iteratorINS9_11use_defaultEEEPS5_SJ_SJ_NS9_4lessItEEEE10hipError_tPvRmT0_T1_T2_T3_T4_T5_mmT6_P12ihipStream_tbEUlT_E0_NS1_11comp_targetILNS1_3genE8ELNS1_11target_archE1030ELNS1_3gpuE2ELNS1_3repE0EEENS1_30default_config_static_selectorELNS0_4arch9wavefront6targetE1EEEvSQ_.kd
    .uniform_work_group_size: 1
    .uses_dynamic_stack: false
    .vgpr_count:     0
    .vgpr_spill_count: 0
    .wavefront_size: 64
  - .agpr_count:     0
    .args:
      - .offset:         0
        .size:           48
        .value_kind:     by_value
    .group_segment_fixed_size: 0
    .kernarg_segment_align: 8
    .kernarg_segment_size: 48
    .language:       OpenCL C
    .language_version:
      - 2
      - 0
    .max_flat_workgroup_size: 256
    .name:           _ZN7rocprim17ROCPRIM_400000_NS6detail17trampoline_kernelINS0_14default_configENS1_21merge_config_selectorIxNS0_10empty_typeEEEZNS1_10merge_implIS3_N6thrust23THRUST_200600_302600_NS6detail15normal_iteratorINS9_10device_ptrIKxEEEESF_NS9_16discard_iteratorINS9_11use_defaultEEEPS5_SJ_SJ_NS9_4lessIxEEEE10hipError_tPvRmT0_T1_T2_T3_T4_T5_mmT6_P12ihipStream_tbEUlT_E_NS1_11comp_targetILNS1_3genE0ELNS1_11target_archE4294967295ELNS1_3gpuE0ELNS1_3repE0EEENS1_30default_config_static_selectorELNS0_4arch9wavefront6targetE1EEEvSQ_
    .private_segment_fixed_size: 0
    .sgpr_count:     4
    .sgpr_spill_count: 0
    .symbol:         _ZN7rocprim17ROCPRIM_400000_NS6detail17trampoline_kernelINS0_14default_configENS1_21merge_config_selectorIxNS0_10empty_typeEEEZNS1_10merge_implIS3_N6thrust23THRUST_200600_302600_NS6detail15normal_iteratorINS9_10device_ptrIKxEEEESF_NS9_16discard_iteratorINS9_11use_defaultEEEPS5_SJ_SJ_NS9_4lessIxEEEE10hipError_tPvRmT0_T1_T2_T3_T4_T5_mmT6_P12ihipStream_tbEUlT_E_NS1_11comp_targetILNS1_3genE0ELNS1_11target_archE4294967295ELNS1_3gpuE0ELNS1_3repE0EEENS1_30default_config_static_selectorELNS0_4arch9wavefront6targetE1EEEvSQ_.kd
    .uniform_work_group_size: 1
    .uses_dynamic_stack: false
    .vgpr_count:     0
    .vgpr_spill_count: 0
    .wavefront_size: 64
  - .agpr_count:     0
    .args:
      - .offset:         0
        .size:           48
        .value_kind:     by_value
    .group_segment_fixed_size: 0
    .kernarg_segment_align: 8
    .kernarg_segment_size: 48
    .language:       OpenCL C
    .language_version:
      - 2
      - 0
    .max_flat_workgroup_size: 256
    .name:           _ZN7rocprim17ROCPRIM_400000_NS6detail17trampoline_kernelINS0_14default_configENS1_21merge_config_selectorIxNS0_10empty_typeEEEZNS1_10merge_implIS3_N6thrust23THRUST_200600_302600_NS6detail15normal_iteratorINS9_10device_ptrIKxEEEESF_NS9_16discard_iteratorINS9_11use_defaultEEEPS5_SJ_SJ_NS9_4lessIxEEEE10hipError_tPvRmT0_T1_T2_T3_T4_T5_mmT6_P12ihipStream_tbEUlT_E_NS1_11comp_targetILNS1_3genE5ELNS1_11target_archE942ELNS1_3gpuE9ELNS1_3repE0EEENS1_30default_config_static_selectorELNS0_4arch9wavefront6targetE1EEEvSQ_
    .private_segment_fixed_size: 0
    .sgpr_count:     4
    .sgpr_spill_count: 0
    .symbol:         _ZN7rocprim17ROCPRIM_400000_NS6detail17trampoline_kernelINS0_14default_configENS1_21merge_config_selectorIxNS0_10empty_typeEEEZNS1_10merge_implIS3_N6thrust23THRUST_200600_302600_NS6detail15normal_iteratorINS9_10device_ptrIKxEEEESF_NS9_16discard_iteratorINS9_11use_defaultEEEPS5_SJ_SJ_NS9_4lessIxEEEE10hipError_tPvRmT0_T1_T2_T3_T4_T5_mmT6_P12ihipStream_tbEUlT_E_NS1_11comp_targetILNS1_3genE5ELNS1_11target_archE942ELNS1_3gpuE9ELNS1_3repE0EEENS1_30default_config_static_selectorELNS0_4arch9wavefront6targetE1EEEvSQ_.kd
    .uniform_work_group_size: 1
    .uses_dynamic_stack: false
    .vgpr_count:     0
    .vgpr_spill_count: 0
    .wavefront_size: 64
  - .agpr_count:     0
    .args:
      - .offset:         0
        .size:           48
        .value_kind:     by_value
      - .offset:         48
        .size:           4
        .value_kind:     hidden_block_count_x
      - .offset:         52
        .size:           4
        .value_kind:     hidden_block_count_y
      - .offset:         56
        .size:           4
        .value_kind:     hidden_block_count_z
      - .offset:         60
        .size:           2
        .value_kind:     hidden_group_size_x
      - .offset:         62
        .size:           2
        .value_kind:     hidden_group_size_y
      - .offset:         64
        .size:           2
        .value_kind:     hidden_group_size_z
      - .offset:         66
        .size:           2
        .value_kind:     hidden_remainder_x
      - .offset:         68
        .size:           2
        .value_kind:     hidden_remainder_y
      - .offset:         70
        .size:           2
        .value_kind:     hidden_remainder_z
      - .offset:         88
        .size:           8
        .value_kind:     hidden_global_offset_x
      - .offset:         96
        .size:           8
        .value_kind:     hidden_global_offset_y
      - .offset:         104
        .size:           8
        .value_kind:     hidden_global_offset_z
      - .offset:         112
        .size:           2
        .value_kind:     hidden_grid_dims
    .group_segment_fixed_size: 0
    .kernarg_segment_align: 8
    .kernarg_segment_size: 304
    .language:       OpenCL C
    .language_version:
      - 2
      - 0
    .max_flat_workgroup_size: 256
    .name:           _ZN7rocprim17ROCPRIM_400000_NS6detail17trampoline_kernelINS0_14default_configENS1_21merge_config_selectorIxNS0_10empty_typeEEEZNS1_10merge_implIS3_N6thrust23THRUST_200600_302600_NS6detail15normal_iteratorINS9_10device_ptrIKxEEEESF_NS9_16discard_iteratorINS9_11use_defaultEEEPS5_SJ_SJ_NS9_4lessIxEEEE10hipError_tPvRmT0_T1_T2_T3_T4_T5_mmT6_P12ihipStream_tbEUlT_E_NS1_11comp_targetILNS1_3genE4ELNS1_11target_archE910ELNS1_3gpuE8ELNS1_3repE0EEENS1_30default_config_static_selectorELNS0_4arch9wavefront6targetE1EEEvSQ_
    .private_segment_fixed_size: 0
    .sgpr_count:     18
    .sgpr_spill_count: 0
    .symbol:         _ZN7rocprim17ROCPRIM_400000_NS6detail17trampoline_kernelINS0_14default_configENS1_21merge_config_selectorIxNS0_10empty_typeEEEZNS1_10merge_implIS3_N6thrust23THRUST_200600_302600_NS6detail15normal_iteratorINS9_10device_ptrIKxEEEESF_NS9_16discard_iteratorINS9_11use_defaultEEEPS5_SJ_SJ_NS9_4lessIxEEEE10hipError_tPvRmT0_T1_T2_T3_T4_T5_mmT6_P12ihipStream_tbEUlT_E_NS1_11comp_targetILNS1_3genE4ELNS1_11target_archE910ELNS1_3gpuE8ELNS1_3repE0EEENS1_30default_config_static_selectorELNS0_4arch9wavefront6targetE1EEEvSQ_.kd
    .uniform_work_group_size: 1
    .uses_dynamic_stack: false
    .vgpr_count:     16
    .vgpr_spill_count: 0
    .wavefront_size: 64
  - .agpr_count:     0
    .args:
      - .offset:         0
        .size:           48
        .value_kind:     by_value
    .group_segment_fixed_size: 0
    .kernarg_segment_align: 8
    .kernarg_segment_size: 48
    .language:       OpenCL C
    .language_version:
      - 2
      - 0
    .max_flat_workgroup_size: 256
    .name:           _ZN7rocprim17ROCPRIM_400000_NS6detail17trampoline_kernelINS0_14default_configENS1_21merge_config_selectorIxNS0_10empty_typeEEEZNS1_10merge_implIS3_N6thrust23THRUST_200600_302600_NS6detail15normal_iteratorINS9_10device_ptrIKxEEEESF_NS9_16discard_iteratorINS9_11use_defaultEEEPS5_SJ_SJ_NS9_4lessIxEEEE10hipError_tPvRmT0_T1_T2_T3_T4_T5_mmT6_P12ihipStream_tbEUlT_E_NS1_11comp_targetILNS1_3genE3ELNS1_11target_archE908ELNS1_3gpuE7ELNS1_3repE0EEENS1_30default_config_static_selectorELNS0_4arch9wavefront6targetE1EEEvSQ_
    .private_segment_fixed_size: 0
    .sgpr_count:     4
    .sgpr_spill_count: 0
    .symbol:         _ZN7rocprim17ROCPRIM_400000_NS6detail17trampoline_kernelINS0_14default_configENS1_21merge_config_selectorIxNS0_10empty_typeEEEZNS1_10merge_implIS3_N6thrust23THRUST_200600_302600_NS6detail15normal_iteratorINS9_10device_ptrIKxEEEESF_NS9_16discard_iteratorINS9_11use_defaultEEEPS5_SJ_SJ_NS9_4lessIxEEEE10hipError_tPvRmT0_T1_T2_T3_T4_T5_mmT6_P12ihipStream_tbEUlT_E_NS1_11comp_targetILNS1_3genE3ELNS1_11target_archE908ELNS1_3gpuE7ELNS1_3repE0EEENS1_30default_config_static_selectorELNS0_4arch9wavefront6targetE1EEEvSQ_.kd
    .uniform_work_group_size: 1
    .uses_dynamic_stack: false
    .vgpr_count:     0
    .vgpr_spill_count: 0
    .wavefront_size: 64
  - .agpr_count:     0
    .args:
      - .offset:         0
        .size:           48
        .value_kind:     by_value
    .group_segment_fixed_size: 0
    .kernarg_segment_align: 8
    .kernarg_segment_size: 48
    .language:       OpenCL C
    .language_version:
      - 2
      - 0
    .max_flat_workgroup_size: 256
    .name:           _ZN7rocprim17ROCPRIM_400000_NS6detail17trampoline_kernelINS0_14default_configENS1_21merge_config_selectorIxNS0_10empty_typeEEEZNS1_10merge_implIS3_N6thrust23THRUST_200600_302600_NS6detail15normal_iteratorINS9_10device_ptrIKxEEEESF_NS9_16discard_iteratorINS9_11use_defaultEEEPS5_SJ_SJ_NS9_4lessIxEEEE10hipError_tPvRmT0_T1_T2_T3_T4_T5_mmT6_P12ihipStream_tbEUlT_E_NS1_11comp_targetILNS1_3genE2ELNS1_11target_archE906ELNS1_3gpuE6ELNS1_3repE0EEENS1_30default_config_static_selectorELNS0_4arch9wavefront6targetE1EEEvSQ_
    .private_segment_fixed_size: 0
    .sgpr_count:     4
    .sgpr_spill_count: 0
    .symbol:         _ZN7rocprim17ROCPRIM_400000_NS6detail17trampoline_kernelINS0_14default_configENS1_21merge_config_selectorIxNS0_10empty_typeEEEZNS1_10merge_implIS3_N6thrust23THRUST_200600_302600_NS6detail15normal_iteratorINS9_10device_ptrIKxEEEESF_NS9_16discard_iteratorINS9_11use_defaultEEEPS5_SJ_SJ_NS9_4lessIxEEEE10hipError_tPvRmT0_T1_T2_T3_T4_T5_mmT6_P12ihipStream_tbEUlT_E_NS1_11comp_targetILNS1_3genE2ELNS1_11target_archE906ELNS1_3gpuE6ELNS1_3repE0EEENS1_30default_config_static_selectorELNS0_4arch9wavefront6targetE1EEEvSQ_.kd
    .uniform_work_group_size: 1
    .uses_dynamic_stack: false
    .vgpr_count:     0
    .vgpr_spill_count: 0
    .wavefront_size: 64
  - .agpr_count:     0
    .args:
      - .offset:         0
        .size:           48
        .value_kind:     by_value
    .group_segment_fixed_size: 0
    .kernarg_segment_align: 8
    .kernarg_segment_size: 48
    .language:       OpenCL C
    .language_version:
      - 2
      - 0
    .max_flat_workgroup_size: 512
    .name:           _ZN7rocprim17ROCPRIM_400000_NS6detail17trampoline_kernelINS0_14default_configENS1_21merge_config_selectorIxNS0_10empty_typeEEEZNS1_10merge_implIS3_N6thrust23THRUST_200600_302600_NS6detail15normal_iteratorINS9_10device_ptrIKxEEEESF_NS9_16discard_iteratorINS9_11use_defaultEEEPS5_SJ_SJ_NS9_4lessIxEEEE10hipError_tPvRmT0_T1_T2_T3_T4_T5_mmT6_P12ihipStream_tbEUlT_E_NS1_11comp_targetILNS1_3genE10ELNS1_11target_archE1201ELNS1_3gpuE5ELNS1_3repE0EEENS1_30default_config_static_selectorELNS0_4arch9wavefront6targetE1EEEvSQ_
    .private_segment_fixed_size: 0
    .sgpr_count:     4
    .sgpr_spill_count: 0
    .symbol:         _ZN7rocprim17ROCPRIM_400000_NS6detail17trampoline_kernelINS0_14default_configENS1_21merge_config_selectorIxNS0_10empty_typeEEEZNS1_10merge_implIS3_N6thrust23THRUST_200600_302600_NS6detail15normal_iteratorINS9_10device_ptrIKxEEEESF_NS9_16discard_iteratorINS9_11use_defaultEEEPS5_SJ_SJ_NS9_4lessIxEEEE10hipError_tPvRmT0_T1_T2_T3_T4_T5_mmT6_P12ihipStream_tbEUlT_E_NS1_11comp_targetILNS1_3genE10ELNS1_11target_archE1201ELNS1_3gpuE5ELNS1_3repE0EEENS1_30default_config_static_selectorELNS0_4arch9wavefront6targetE1EEEvSQ_.kd
    .uniform_work_group_size: 1
    .uses_dynamic_stack: false
    .vgpr_count:     0
    .vgpr_spill_count: 0
    .wavefront_size: 64
  - .agpr_count:     0
    .args:
      - .offset:         0
        .size:           48
        .value_kind:     by_value
    .group_segment_fixed_size: 0
    .kernarg_segment_align: 8
    .kernarg_segment_size: 48
    .language:       OpenCL C
    .language_version:
      - 2
      - 0
    .max_flat_workgroup_size: 1024
    .name:           _ZN7rocprim17ROCPRIM_400000_NS6detail17trampoline_kernelINS0_14default_configENS1_21merge_config_selectorIxNS0_10empty_typeEEEZNS1_10merge_implIS3_N6thrust23THRUST_200600_302600_NS6detail15normal_iteratorINS9_10device_ptrIKxEEEESF_NS9_16discard_iteratorINS9_11use_defaultEEEPS5_SJ_SJ_NS9_4lessIxEEEE10hipError_tPvRmT0_T1_T2_T3_T4_T5_mmT6_P12ihipStream_tbEUlT_E_NS1_11comp_targetILNS1_3genE10ELNS1_11target_archE1200ELNS1_3gpuE4ELNS1_3repE0EEENS1_30default_config_static_selectorELNS0_4arch9wavefront6targetE1EEEvSQ_
    .private_segment_fixed_size: 0
    .sgpr_count:     4
    .sgpr_spill_count: 0
    .symbol:         _ZN7rocprim17ROCPRIM_400000_NS6detail17trampoline_kernelINS0_14default_configENS1_21merge_config_selectorIxNS0_10empty_typeEEEZNS1_10merge_implIS3_N6thrust23THRUST_200600_302600_NS6detail15normal_iteratorINS9_10device_ptrIKxEEEESF_NS9_16discard_iteratorINS9_11use_defaultEEEPS5_SJ_SJ_NS9_4lessIxEEEE10hipError_tPvRmT0_T1_T2_T3_T4_T5_mmT6_P12ihipStream_tbEUlT_E_NS1_11comp_targetILNS1_3genE10ELNS1_11target_archE1200ELNS1_3gpuE4ELNS1_3repE0EEENS1_30default_config_static_selectorELNS0_4arch9wavefront6targetE1EEEvSQ_.kd
    .uniform_work_group_size: 1
    .uses_dynamic_stack: false
    .vgpr_count:     0
    .vgpr_spill_count: 0
    .wavefront_size: 64
  - .agpr_count:     0
    .args:
      - .offset:         0
        .size:           48
        .value_kind:     by_value
    .group_segment_fixed_size: 0
    .kernarg_segment_align: 8
    .kernarg_segment_size: 48
    .language:       OpenCL C
    .language_version:
      - 2
      - 0
    .max_flat_workgroup_size: 1024
    .name:           _ZN7rocprim17ROCPRIM_400000_NS6detail17trampoline_kernelINS0_14default_configENS1_21merge_config_selectorIxNS0_10empty_typeEEEZNS1_10merge_implIS3_N6thrust23THRUST_200600_302600_NS6detail15normal_iteratorINS9_10device_ptrIKxEEEESF_NS9_16discard_iteratorINS9_11use_defaultEEEPS5_SJ_SJ_NS9_4lessIxEEEE10hipError_tPvRmT0_T1_T2_T3_T4_T5_mmT6_P12ihipStream_tbEUlT_E_NS1_11comp_targetILNS1_3genE9ELNS1_11target_archE1100ELNS1_3gpuE3ELNS1_3repE0EEENS1_30default_config_static_selectorELNS0_4arch9wavefront6targetE1EEEvSQ_
    .private_segment_fixed_size: 0
    .sgpr_count:     4
    .sgpr_spill_count: 0
    .symbol:         _ZN7rocprim17ROCPRIM_400000_NS6detail17trampoline_kernelINS0_14default_configENS1_21merge_config_selectorIxNS0_10empty_typeEEEZNS1_10merge_implIS3_N6thrust23THRUST_200600_302600_NS6detail15normal_iteratorINS9_10device_ptrIKxEEEESF_NS9_16discard_iteratorINS9_11use_defaultEEEPS5_SJ_SJ_NS9_4lessIxEEEE10hipError_tPvRmT0_T1_T2_T3_T4_T5_mmT6_P12ihipStream_tbEUlT_E_NS1_11comp_targetILNS1_3genE9ELNS1_11target_archE1100ELNS1_3gpuE3ELNS1_3repE0EEENS1_30default_config_static_selectorELNS0_4arch9wavefront6targetE1EEEvSQ_.kd
    .uniform_work_group_size: 1
    .uses_dynamic_stack: false
    .vgpr_count:     0
    .vgpr_spill_count: 0
    .wavefront_size: 64
  - .agpr_count:     0
    .args:
      - .offset:         0
        .size:           48
        .value_kind:     by_value
    .group_segment_fixed_size: 0
    .kernarg_segment_align: 8
    .kernarg_segment_size: 48
    .language:       OpenCL C
    .language_version:
      - 2
      - 0
    .max_flat_workgroup_size: 256
    .name:           _ZN7rocprim17ROCPRIM_400000_NS6detail17trampoline_kernelINS0_14default_configENS1_21merge_config_selectorIxNS0_10empty_typeEEEZNS1_10merge_implIS3_N6thrust23THRUST_200600_302600_NS6detail15normal_iteratorINS9_10device_ptrIKxEEEESF_NS9_16discard_iteratorINS9_11use_defaultEEEPS5_SJ_SJ_NS9_4lessIxEEEE10hipError_tPvRmT0_T1_T2_T3_T4_T5_mmT6_P12ihipStream_tbEUlT_E_NS1_11comp_targetILNS1_3genE8ELNS1_11target_archE1030ELNS1_3gpuE2ELNS1_3repE0EEENS1_30default_config_static_selectorELNS0_4arch9wavefront6targetE1EEEvSQ_
    .private_segment_fixed_size: 0
    .sgpr_count:     4
    .sgpr_spill_count: 0
    .symbol:         _ZN7rocprim17ROCPRIM_400000_NS6detail17trampoline_kernelINS0_14default_configENS1_21merge_config_selectorIxNS0_10empty_typeEEEZNS1_10merge_implIS3_N6thrust23THRUST_200600_302600_NS6detail15normal_iteratorINS9_10device_ptrIKxEEEESF_NS9_16discard_iteratorINS9_11use_defaultEEEPS5_SJ_SJ_NS9_4lessIxEEEE10hipError_tPvRmT0_T1_T2_T3_T4_T5_mmT6_P12ihipStream_tbEUlT_E_NS1_11comp_targetILNS1_3genE8ELNS1_11target_archE1030ELNS1_3gpuE2ELNS1_3repE0EEENS1_30default_config_static_selectorELNS0_4arch9wavefront6targetE1EEEvSQ_.kd
    .uniform_work_group_size: 1
    .uses_dynamic_stack: false
    .vgpr_count:     0
    .vgpr_spill_count: 0
    .wavefront_size: 64
  - .agpr_count:     0
    .args:
      - .offset:         0
        .size:           96
        .value_kind:     by_value
    .group_segment_fixed_size: 0
    .kernarg_segment_align: 8
    .kernarg_segment_size: 96
    .language:       OpenCL C
    .language_version:
      - 2
      - 0
    .max_flat_workgroup_size: 256
    .name:           _ZN7rocprim17ROCPRIM_400000_NS6detail17trampoline_kernelINS0_14default_configENS1_21merge_config_selectorIxNS0_10empty_typeEEEZNS1_10merge_implIS3_N6thrust23THRUST_200600_302600_NS6detail15normal_iteratorINS9_10device_ptrIKxEEEESF_NS9_16discard_iteratorINS9_11use_defaultEEEPS5_SJ_SJ_NS9_4lessIxEEEE10hipError_tPvRmT0_T1_T2_T3_T4_T5_mmT6_P12ihipStream_tbEUlT_E0_NS1_11comp_targetILNS1_3genE0ELNS1_11target_archE4294967295ELNS1_3gpuE0ELNS1_3repE0EEENS1_30default_config_static_selectorELNS0_4arch9wavefront6targetE1EEEvSQ_
    .private_segment_fixed_size: 0
    .sgpr_count:     4
    .sgpr_spill_count: 0
    .symbol:         _ZN7rocprim17ROCPRIM_400000_NS6detail17trampoline_kernelINS0_14default_configENS1_21merge_config_selectorIxNS0_10empty_typeEEEZNS1_10merge_implIS3_N6thrust23THRUST_200600_302600_NS6detail15normal_iteratorINS9_10device_ptrIKxEEEESF_NS9_16discard_iteratorINS9_11use_defaultEEEPS5_SJ_SJ_NS9_4lessIxEEEE10hipError_tPvRmT0_T1_T2_T3_T4_T5_mmT6_P12ihipStream_tbEUlT_E0_NS1_11comp_targetILNS1_3genE0ELNS1_11target_archE4294967295ELNS1_3gpuE0ELNS1_3repE0EEENS1_30default_config_static_selectorELNS0_4arch9wavefront6targetE1EEEvSQ_.kd
    .uniform_work_group_size: 1
    .uses_dynamic_stack: false
    .vgpr_count:     0
    .vgpr_spill_count: 0
    .wavefront_size: 64
  - .agpr_count:     0
    .args:
      - .offset:         0
        .size:           96
        .value_kind:     by_value
    .group_segment_fixed_size: 0
    .kernarg_segment_align: 8
    .kernarg_segment_size: 96
    .language:       OpenCL C
    .language_version:
      - 2
      - 0
    .max_flat_workgroup_size: 256
    .name:           _ZN7rocprim17ROCPRIM_400000_NS6detail17trampoline_kernelINS0_14default_configENS1_21merge_config_selectorIxNS0_10empty_typeEEEZNS1_10merge_implIS3_N6thrust23THRUST_200600_302600_NS6detail15normal_iteratorINS9_10device_ptrIKxEEEESF_NS9_16discard_iteratorINS9_11use_defaultEEEPS5_SJ_SJ_NS9_4lessIxEEEE10hipError_tPvRmT0_T1_T2_T3_T4_T5_mmT6_P12ihipStream_tbEUlT_E0_NS1_11comp_targetILNS1_3genE5ELNS1_11target_archE942ELNS1_3gpuE9ELNS1_3repE0EEENS1_30default_config_static_selectorELNS0_4arch9wavefront6targetE1EEEvSQ_
    .private_segment_fixed_size: 0
    .sgpr_count:     4
    .sgpr_spill_count: 0
    .symbol:         _ZN7rocprim17ROCPRIM_400000_NS6detail17trampoline_kernelINS0_14default_configENS1_21merge_config_selectorIxNS0_10empty_typeEEEZNS1_10merge_implIS3_N6thrust23THRUST_200600_302600_NS6detail15normal_iteratorINS9_10device_ptrIKxEEEESF_NS9_16discard_iteratorINS9_11use_defaultEEEPS5_SJ_SJ_NS9_4lessIxEEEE10hipError_tPvRmT0_T1_T2_T3_T4_T5_mmT6_P12ihipStream_tbEUlT_E0_NS1_11comp_targetILNS1_3genE5ELNS1_11target_archE942ELNS1_3gpuE9ELNS1_3repE0EEENS1_30default_config_static_selectorELNS0_4arch9wavefront6targetE1EEEvSQ_.kd
    .uniform_work_group_size: 1
    .uses_dynamic_stack: false
    .vgpr_count:     0
    .vgpr_spill_count: 0
    .wavefront_size: 64
  - .agpr_count:     0
    .args:
      - .offset:         0
        .size:           96
        .value_kind:     by_value
    .group_segment_fixed_size: 8448
    .kernarg_segment_align: 8
    .kernarg_segment_size: 96
    .language:       OpenCL C
    .language_version:
      - 2
      - 0
    .max_flat_workgroup_size: 256
    .name:           _ZN7rocprim17ROCPRIM_400000_NS6detail17trampoline_kernelINS0_14default_configENS1_21merge_config_selectorIxNS0_10empty_typeEEEZNS1_10merge_implIS3_N6thrust23THRUST_200600_302600_NS6detail15normal_iteratorINS9_10device_ptrIKxEEEESF_NS9_16discard_iteratorINS9_11use_defaultEEEPS5_SJ_SJ_NS9_4lessIxEEEE10hipError_tPvRmT0_T1_T2_T3_T4_T5_mmT6_P12ihipStream_tbEUlT_E0_NS1_11comp_targetILNS1_3genE4ELNS1_11target_archE910ELNS1_3gpuE8ELNS1_3repE0EEENS1_30default_config_static_selectorELNS0_4arch9wavefront6targetE1EEEvSQ_
    .private_segment_fixed_size: 0
    .sgpr_count:     21
    .sgpr_spill_count: 0
    .symbol:         _ZN7rocprim17ROCPRIM_400000_NS6detail17trampoline_kernelINS0_14default_configENS1_21merge_config_selectorIxNS0_10empty_typeEEEZNS1_10merge_implIS3_N6thrust23THRUST_200600_302600_NS6detail15normal_iteratorINS9_10device_ptrIKxEEEESF_NS9_16discard_iteratorINS9_11use_defaultEEEPS5_SJ_SJ_NS9_4lessIxEEEE10hipError_tPvRmT0_T1_T2_T3_T4_T5_mmT6_P12ihipStream_tbEUlT_E0_NS1_11comp_targetILNS1_3genE4ELNS1_11target_archE910ELNS1_3gpuE8ELNS1_3repE0EEENS1_30default_config_static_selectorELNS0_4arch9wavefront6targetE1EEEvSQ_.kd
    .uniform_work_group_size: 1
    .uses_dynamic_stack: false
    .vgpr_count:     20
    .vgpr_spill_count: 0
    .wavefront_size: 64
  - .agpr_count:     0
    .args:
      - .offset:         0
        .size:           96
        .value_kind:     by_value
    .group_segment_fixed_size: 0
    .kernarg_segment_align: 8
    .kernarg_segment_size: 96
    .language:       OpenCL C
    .language_version:
      - 2
      - 0
    .max_flat_workgroup_size: 256
    .name:           _ZN7rocprim17ROCPRIM_400000_NS6detail17trampoline_kernelINS0_14default_configENS1_21merge_config_selectorIxNS0_10empty_typeEEEZNS1_10merge_implIS3_N6thrust23THRUST_200600_302600_NS6detail15normal_iteratorINS9_10device_ptrIKxEEEESF_NS9_16discard_iteratorINS9_11use_defaultEEEPS5_SJ_SJ_NS9_4lessIxEEEE10hipError_tPvRmT0_T1_T2_T3_T4_T5_mmT6_P12ihipStream_tbEUlT_E0_NS1_11comp_targetILNS1_3genE3ELNS1_11target_archE908ELNS1_3gpuE7ELNS1_3repE0EEENS1_30default_config_static_selectorELNS0_4arch9wavefront6targetE1EEEvSQ_
    .private_segment_fixed_size: 0
    .sgpr_count:     4
    .sgpr_spill_count: 0
    .symbol:         _ZN7rocprim17ROCPRIM_400000_NS6detail17trampoline_kernelINS0_14default_configENS1_21merge_config_selectorIxNS0_10empty_typeEEEZNS1_10merge_implIS3_N6thrust23THRUST_200600_302600_NS6detail15normal_iteratorINS9_10device_ptrIKxEEEESF_NS9_16discard_iteratorINS9_11use_defaultEEEPS5_SJ_SJ_NS9_4lessIxEEEE10hipError_tPvRmT0_T1_T2_T3_T4_T5_mmT6_P12ihipStream_tbEUlT_E0_NS1_11comp_targetILNS1_3genE3ELNS1_11target_archE908ELNS1_3gpuE7ELNS1_3repE0EEENS1_30default_config_static_selectorELNS0_4arch9wavefront6targetE1EEEvSQ_.kd
    .uniform_work_group_size: 1
    .uses_dynamic_stack: false
    .vgpr_count:     0
    .vgpr_spill_count: 0
    .wavefront_size: 64
  - .agpr_count:     0
    .args:
      - .offset:         0
        .size:           96
        .value_kind:     by_value
    .group_segment_fixed_size: 0
    .kernarg_segment_align: 8
    .kernarg_segment_size: 96
    .language:       OpenCL C
    .language_version:
      - 2
      - 0
    .max_flat_workgroup_size: 256
    .name:           _ZN7rocprim17ROCPRIM_400000_NS6detail17trampoline_kernelINS0_14default_configENS1_21merge_config_selectorIxNS0_10empty_typeEEEZNS1_10merge_implIS3_N6thrust23THRUST_200600_302600_NS6detail15normal_iteratorINS9_10device_ptrIKxEEEESF_NS9_16discard_iteratorINS9_11use_defaultEEEPS5_SJ_SJ_NS9_4lessIxEEEE10hipError_tPvRmT0_T1_T2_T3_T4_T5_mmT6_P12ihipStream_tbEUlT_E0_NS1_11comp_targetILNS1_3genE2ELNS1_11target_archE906ELNS1_3gpuE6ELNS1_3repE0EEENS1_30default_config_static_selectorELNS0_4arch9wavefront6targetE1EEEvSQ_
    .private_segment_fixed_size: 0
    .sgpr_count:     4
    .sgpr_spill_count: 0
    .symbol:         _ZN7rocprim17ROCPRIM_400000_NS6detail17trampoline_kernelINS0_14default_configENS1_21merge_config_selectorIxNS0_10empty_typeEEEZNS1_10merge_implIS3_N6thrust23THRUST_200600_302600_NS6detail15normal_iteratorINS9_10device_ptrIKxEEEESF_NS9_16discard_iteratorINS9_11use_defaultEEEPS5_SJ_SJ_NS9_4lessIxEEEE10hipError_tPvRmT0_T1_T2_T3_T4_T5_mmT6_P12ihipStream_tbEUlT_E0_NS1_11comp_targetILNS1_3genE2ELNS1_11target_archE906ELNS1_3gpuE6ELNS1_3repE0EEENS1_30default_config_static_selectorELNS0_4arch9wavefront6targetE1EEEvSQ_.kd
    .uniform_work_group_size: 1
    .uses_dynamic_stack: false
    .vgpr_count:     0
    .vgpr_spill_count: 0
    .wavefront_size: 64
  - .agpr_count:     0
    .args:
      - .offset:         0
        .size:           96
        .value_kind:     by_value
    .group_segment_fixed_size: 0
    .kernarg_segment_align: 8
    .kernarg_segment_size: 96
    .language:       OpenCL C
    .language_version:
      - 2
      - 0
    .max_flat_workgroup_size: 512
    .name:           _ZN7rocprim17ROCPRIM_400000_NS6detail17trampoline_kernelINS0_14default_configENS1_21merge_config_selectorIxNS0_10empty_typeEEEZNS1_10merge_implIS3_N6thrust23THRUST_200600_302600_NS6detail15normal_iteratorINS9_10device_ptrIKxEEEESF_NS9_16discard_iteratorINS9_11use_defaultEEEPS5_SJ_SJ_NS9_4lessIxEEEE10hipError_tPvRmT0_T1_T2_T3_T4_T5_mmT6_P12ihipStream_tbEUlT_E0_NS1_11comp_targetILNS1_3genE10ELNS1_11target_archE1201ELNS1_3gpuE5ELNS1_3repE0EEENS1_30default_config_static_selectorELNS0_4arch9wavefront6targetE1EEEvSQ_
    .private_segment_fixed_size: 0
    .sgpr_count:     4
    .sgpr_spill_count: 0
    .symbol:         _ZN7rocprim17ROCPRIM_400000_NS6detail17trampoline_kernelINS0_14default_configENS1_21merge_config_selectorIxNS0_10empty_typeEEEZNS1_10merge_implIS3_N6thrust23THRUST_200600_302600_NS6detail15normal_iteratorINS9_10device_ptrIKxEEEESF_NS9_16discard_iteratorINS9_11use_defaultEEEPS5_SJ_SJ_NS9_4lessIxEEEE10hipError_tPvRmT0_T1_T2_T3_T4_T5_mmT6_P12ihipStream_tbEUlT_E0_NS1_11comp_targetILNS1_3genE10ELNS1_11target_archE1201ELNS1_3gpuE5ELNS1_3repE0EEENS1_30default_config_static_selectorELNS0_4arch9wavefront6targetE1EEEvSQ_.kd
    .uniform_work_group_size: 1
    .uses_dynamic_stack: false
    .vgpr_count:     0
    .vgpr_spill_count: 0
    .wavefront_size: 64
  - .agpr_count:     0
    .args:
      - .offset:         0
        .size:           96
        .value_kind:     by_value
    .group_segment_fixed_size: 0
    .kernarg_segment_align: 8
    .kernarg_segment_size: 96
    .language:       OpenCL C
    .language_version:
      - 2
      - 0
    .max_flat_workgroup_size: 1024
    .name:           _ZN7rocprim17ROCPRIM_400000_NS6detail17trampoline_kernelINS0_14default_configENS1_21merge_config_selectorIxNS0_10empty_typeEEEZNS1_10merge_implIS3_N6thrust23THRUST_200600_302600_NS6detail15normal_iteratorINS9_10device_ptrIKxEEEESF_NS9_16discard_iteratorINS9_11use_defaultEEEPS5_SJ_SJ_NS9_4lessIxEEEE10hipError_tPvRmT0_T1_T2_T3_T4_T5_mmT6_P12ihipStream_tbEUlT_E0_NS1_11comp_targetILNS1_3genE10ELNS1_11target_archE1200ELNS1_3gpuE4ELNS1_3repE0EEENS1_30default_config_static_selectorELNS0_4arch9wavefront6targetE1EEEvSQ_
    .private_segment_fixed_size: 0
    .sgpr_count:     4
    .sgpr_spill_count: 0
    .symbol:         _ZN7rocprim17ROCPRIM_400000_NS6detail17trampoline_kernelINS0_14default_configENS1_21merge_config_selectorIxNS0_10empty_typeEEEZNS1_10merge_implIS3_N6thrust23THRUST_200600_302600_NS6detail15normal_iteratorINS9_10device_ptrIKxEEEESF_NS9_16discard_iteratorINS9_11use_defaultEEEPS5_SJ_SJ_NS9_4lessIxEEEE10hipError_tPvRmT0_T1_T2_T3_T4_T5_mmT6_P12ihipStream_tbEUlT_E0_NS1_11comp_targetILNS1_3genE10ELNS1_11target_archE1200ELNS1_3gpuE4ELNS1_3repE0EEENS1_30default_config_static_selectorELNS0_4arch9wavefront6targetE1EEEvSQ_.kd
    .uniform_work_group_size: 1
    .uses_dynamic_stack: false
    .vgpr_count:     0
    .vgpr_spill_count: 0
    .wavefront_size: 64
  - .agpr_count:     0
    .args:
      - .offset:         0
        .size:           96
        .value_kind:     by_value
    .group_segment_fixed_size: 0
    .kernarg_segment_align: 8
    .kernarg_segment_size: 96
    .language:       OpenCL C
    .language_version:
      - 2
      - 0
    .max_flat_workgroup_size: 1024
    .name:           _ZN7rocprim17ROCPRIM_400000_NS6detail17trampoline_kernelINS0_14default_configENS1_21merge_config_selectorIxNS0_10empty_typeEEEZNS1_10merge_implIS3_N6thrust23THRUST_200600_302600_NS6detail15normal_iteratorINS9_10device_ptrIKxEEEESF_NS9_16discard_iteratorINS9_11use_defaultEEEPS5_SJ_SJ_NS9_4lessIxEEEE10hipError_tPvRmT0_T1_T2_T3_T4_T5_mmT6_P12ihipStream_tbEUlT_E0_NS1_11comp_targetILNS1_3genE9ELNS1_11target_archE1100ELNS1_3gpuE3ELNS1_3repE0EEENS1_30default_config_static_selectorELNS0_4arch9wavefront6targetE1EEEvSQ_
    .private_segment_fixed_size: 0
    .sgpr_count:     4
    .sgpr_spill_count: 0
    .symbol:         _ZN7rocprim17ROCPRIM_400000_NS6detail17trampoline_kernelINS0_14default_configENS1_21merge_config_selectorIxNS0_10empty_typeEEEZNS1_10merge_implIS3_N6thrust23THRUST_200600_302600_NS6detail15normal_iteratorINS9_10device_ptrIKxEEEESF_NS9_16discard_iteratorINS9_11use_defaultEEEPS5_SJ_SJ_NS9_4lessIxEEEE10hipError_tPvRmT0_T1_T2_T3_T4_T5_mmT6_P12ihipStream_tbEUlT_E0_NS1_11comp_targetILNS1_3genE9ELNS1_11target_archE1100ELNS1_3gpuE3ELNS1_3repE0EEENS1_30default_config_static_selectorELNS0_4arch9wavefront6targetE1EEEvSQ_.kd
    .uniform_work_group_size: 1
    .uses_dynamic_stack: false
    .vgpr_count:     0
    .vgpr_spill_count: 0
    .wavefront_size: 64
  - .agpr_count:     0
    .args:
      - .offset:         0
        .size:           96
        .value_kind:     by_value
    .group_segment_fixed_size: 0
    .kernarg_segment_align: 8
    .kernarg_segment_size: 96
    .language:       OpenCL C
    .language_version:
      - 2
      - 0
    .max_flat_workgroup_size: 256
    .name:           _ZN7rocprim17ROCPRIM_400000_NS6detail17trampoline_kernelINS0_14default_configENS1_21merge_config_selectorIxNS0_10empty_typeEEEZNS1_10merge_implIS3_N6thrust23THRUST_200600_302600_NS6detail15normal_iteratorINS9_10device_ptrIKxEEEESF_NS9_16discard_iteratorINS9_11use_defaultEEEPS5_SJ_SJ_NS9_4lessIxEEEE10hipError_tPvRmT0_T1_T2_T3_T4_T5_mmT6_P12ihipStream_tbEUlT_E0_NS1_11comp_targetILNS1_3genE8ELNS1_11target_archE1030ELNS1_3gpuE2ELNS1_3repE0EEENS1_30default_config_static_selectorELNS0_4arch9wavefront6targetE1EEEvSQ_
    .private_segment_fixed_size: 0
    .sgpr_count:     4
    .sgpr_spill_count: 0
    .symbol:         _ZN7rocprim17ROCPRIM_400000_NS6detail17trampoline_kernelINS0_14default_configENS1_21merge_config_selectorIxNS0_10empty_typeEEEZNS1_10merge_implIS3_N6thrust23THRUST_200600_302600_NS6detail15normal_iteratorINS9_10device_ptrIKxEEEESF_NS9_16discard_iteratorINS9_11use_defaultEEEPS5_SJ_SJ_NS9_4lessIxEEEE10hipError_tPvRmT0_T1_T2_T3_T4_T5_mmT6_P12ihipStream_tbEUlT_E0_NS1_11comp_targetILNS1_3genE8ELNS1_11target_archE1030ELNS1_3gpuE2ELNS1_3repE0EEENS1_30default_config_static_selectorELNS0_4arch9wavefront6targetE1EEEvSQ_.kd
    .uniform_work_group_size: 1
    .uses_dynamic_stack: false
    .vgpr_count:     0
    .vgpr_spill_count: 0
    .wavefront_size: 64
  - .agpr_count:     0
    .args:
      - .offset:         0
        .size:           48
        .value_kind:     by_value
    .group_segment_fixed_size: 0
    .kernarg_segment_align: 8
    .kernarg_segment_size: 48
    .language:       OpenCL C
    .language_version:
      - 2
      - 0
    .max_flat_workgroup_size: 256
    .name:           _ZN7rocprim17ROCPRIM_400000_NS6detail17trampoline_kernelINS0_14default_configENS1_21merge_config_selectorIiNS0_10empty_typeEEEZNS1_10merge_implIS3_N6thrust23THRUST_200600_302600_NS6detail15normal_iteratorINS9_10device_ptrIKiEEEESF_NS9_16discard_iteratorINS9_11use_defaultEEEPS5_SJ_SJ_NS9_4lessIiEEEE10hipError_tPvRmT0_T1_T2_T3_T4_T5_mmT6_P12ihipStream_tbEUlT_E_NS1_11comp_targetILNS1_3genE0ELNS1_11target_archE4294967295ELNS1_3gpuE0ELNS1_3repE0EEENS1_30default_config_static_selectorELNS0_4arch9wavefront6targetE1EEEvSQ_
    .private_segment_fixed_size: 0
    .sgpr_count:     4
    .sgpr_spill_count: 0
    .symbol:         _ZN7rocprim17ROCPRIM_400000_NS6detail17trampoline_kernelINS0_14default_configENS1_21merge_config_selectorIiNS0_10empty_typeEEEZNS1_10merge_implIS3_N6thrust23THRUST_200600_302600_NS6detail15normal_iteratorINS9_10device_ptrIKiEEEESF_NS9_16discard_iteratorINS9_11use_defaultEEEPS5_SJ_SJ_NS9_4lessIiEEEE10hipError_tPvRmT0_T1_T2_T3_T4_T5_mmT6_P12ihipStream_tbEUlT_E_NS1_11comp_targetILNS1_3genE0ELNS1_11target_archE4294967295ELNS1_3gpuE0ELNS1_3repE0EEENS1_30default_config_static_selectorELNS0_4arch9wavefront6targetE1EEEvSQ_.kd
    .uniform_work_group_size: 1
    .uses_dynamic_stack: false
    .vgpr_count:     0
    .vgpr_spill_count: 0
    .wavefront_size: 64
  - .agpr_count:     0
    .args:
      - .offset:         0
        .size:           48
        .value_kind:     by_value
    .group_segment_fixed_size: 0
    .kernarg_segment_align: 8
    .kernarg_segment_size: 48
    .language:       OpenCL C
    .language_version:
      - 2
      - 0
    .max_flat_workgroup_size: 256
    .name:           _ZN7rocprim17ROCPRIM_400000_NS6detail17trampoline_kernelINS0_14default_configENS1_21merge_config_selectorIiNS0_10empty_typeEEEZNS1_10merge_implIS3_N6thrust23THRUST_200600_302600_NS6detail15normal_iteratorINS9_10device_ptrIKiEEEESF_NS9_16discard_iteratorINS9_11use_defaultEEEPS5_SJ_SJ_NS9_4lessIiEEEE10hipError_tPvRmT0_T1_T2_T3_T4_T5_mmT6_P12ihipStream_tbEUlT_E_NS1_11comp_targetILNS1_3genE5ELNS1_11target_archE942ELNS1_3gpuE9ELNS1_3repE0EEENS1_30default_config_static_selectorELNS0_4arch9wavefront6targetE1EEEvSQ_
    .private_segment_fixed_size: 0
    .sgpr_count:     4
    .sgpr_spill_count: 0
    .symbol:         _ZN7rocprim17ROCPRIM_400000_NS6detail17trampoline_kernelINS0_14default_configENS1_21merge_config_selectorIiNS0_10empty_typeEEEZNS1_10merge_implIS3_N6thrust23THRUST_200600_302600_NS6detail15normal_iteratorINS9_10device_ptrIKiEEEESF_NS9_16discard_iteratorINS9_11use_defaultEEEPS5_SJ_SJ_NS9_4lessIiEEEE10hipError_tPvRmT0_T1_T2_T3_T4_T5_mmT6_P12ihipStream_tbEUlT_E_NS1_11comp_targetILNS1_3genE5ELNS1_11target_archE942ELNS1_3gpuE9ELNS1_3repE0EEENS1_30default_config_static_selectorELNS0_4arch9wavefront6targetE1EEEvSQ_.kd
    .uniform_work_group_size: 1
    .uses_dynamic_stack: false
    .vgpr_count:     0
    .vgpr_spill_count: 0
    .wavefront_size: 64
  - .agpr_count:     0
    .args:
      - .offset:         0
        .size:           48
        .value_kind:     by_value
      - .offset:         48
        .size:           4
        .value_kind:     hidden_block_count_x
      - .offset:         52
        .size:           4
        .value_kind:     hidden_block_count_y
      - .offset:         56
        .size:           4
        .value_kind:     hidden_block_count_z
      - .offset:         60
        .size:           2
        .value_kind:     hidden_group_size_x
      - .offset:         62
        .size:           2
        .value_kind:     hidden_group_size_y
      - .offset:         64
        .size:           2
        .value_kind:     hidden_group_size_z
      - .offset:         66
        .size:           2
        .value_kind:     hidden_remainder_x
      - .offset:         68
        .size:           2
        .value_kind:     hidden_remainder_y
      - .offset:         70
        .size:           2
        .value_kind:     hidden_remainder_z
      - .offset:         88
        .size:           8
        .value_kind:     hidden_global_offset_x
      - .offset:         96
        .size:           8
        .value_kind:     hidden_global_offset_y
      - .offset:         104
        .size:           8
        .value_kind:     hidden_global_offset_z
      - .offset:         112
        .size:           2
        .value_kind:     hidden_grid_dims
    .group_segment_fixed_size: 0
    .kernarg_segment_align: 8
    .kernarg_segment_size: 304
    .language:       OpenCL C
    .language_version:
      - 2
      - 0
    .max_flat_workgroup_size: 256
    .name:           _ZN7rocprim17ROCPRIM_400000_NS6detail17trampoline_kernelINS0_14default_configENS1_21merge_config_selectorIiNS0_10empty_typeEEEZNS1_10merge_implIS3_N6thrust23THRUST_200600_302600_NS6detail15normal_iteratorINS9_10device_ptrIKiEEEESF_NS9_16discard_iteratorINS9_11use_defaultEEEPS5_SJ_SJ_NS9_4lessIiEEEE10hipError_tPvRmT0_T1_T2_T3_T4_T5_mmT6_P12ihipStream_tbEUlT_E_NS1_11comp_targetILNS1_3genE4ELNS1_11target_archE910ELNS1_3gpuE8ELNS1_3repE0EEENS1_30default_config_static_selectorELNS0_4arch9wavefront6targetE1EEEvSQ_
    .private_segment_fixed_size: 0
    .sgpr_count:     18
    .sgpr_spill_count: 0
    .symbol:         _ZN7rocprim17ROCPRIM_400000_NS6detail17trampoline_kernelINS0_14default_configENS1_21merge_config_selectorIiNS0_10empty_typeEEEZNS1_10merge_implIS3_N6thrust23THRUST_200600_302600_NS6detail15normal_iteratorINS9_10device_ptrIKiEEEESF_NS9_16discard_iteratorINS9_11use_defaultEEEPS5_SJ_SJ_NS9_4lessIiEEEE10hipError_tPvRmT0_T1_T2_T3_T4_T5_mmT6_P12ihipStream_tbEUlT_E_NS1_11comp_targetILNS1_3genE4ELNS1_11target_archE910ELNS1_3gpuE8ELNS1_3repE0EEENS1_30default_config_static_selectorELNS0_4arch9wavefront6targetE1EEEvSQ_.kd
    .uniform_work_group_size: 1
    .uses_dynamic_stack: false
    .vgpr_count:     14
    .vgpr_spill_count: 0
    .wavefront_size: 64
  - .agpr_count:     0
    .args:
      - .offset:         0
        .size:           48
        .value_kind:     by_value
    .group_segment_fixed_size: 0
    .kernarg_segment_align: 8
    .kernarg_segment_size: 48
    .language:       OpenCL C
    .language_version:
      - 2
      - 0
    .max_flat_workgroup_size: 256
    .name:           _ZN7rocprim17ROCPRIM_400000_NS6detail17trampoline_kernelINS0_14default_configENS1_21merge_config_selectorIiNS0_10empty_typeEEEZNS1_10merge_implIS3_N6thrust23THRUST_200600_302600_NS6detail15normal_iteratorINS9_10device_ptrIKiEEEESF_NS9_16discard_iteratorINS9_11use_defaultEEEPS5_SJ_SJ_NS9_4lessIiEEEE10hipError_tPvRmT0_T1_T2_T3_T4_T5_mmT6_P12ihipStream_tbEUlT_E_NS1_11comp_targetILNS1_3genE3ELNS1_11target_archE908ELNS1_3gpuE7ELNS1_3repE0EEENS1_30default_config_static_selectorELNS0_4arch9wavefront6targetE1EEEvSQ_
    .private_segment_fixed_size: 0
    .sgpr_count:     4
    .sgpr_spill_count: 0
    .symbol:         _ZN7rocprim17ROCPRIM_400000_NS6detail17trampoline_kernelINS0_14default_configENS1_21merge_config_selectorIiNS0_10empty_typeEEEZNS1_10merge_implIS3_N6thrust23THRUST_200600_302600_NS6detail15normal_iteratorINS9_10device_ptrIKiEEEESF_NS9_16discard_iteratorINS9_11use_defaultEEEPS5_SJ_SJ_NS9_4lessIiEEEE10hipError_tPvRmT0_T1_T2_T3_T4_T5_mmT6_P12ihipStream_tbEUlT_E_NS1_11comp_targetILNS1_3genE3ELNS1_11target_archE908ELNS1_3gpuE7ELNS1_3repE0EEENS1_30default_config_static_selectorELNS0_4arch9wavefront6targetE1EEEvSQ_.kd
    .uniform_work_group_size: 1
    .uses_dynamic_stack: false
    .vgpr_count:     0
    .vgpr_spill_count: 0
    .wavefront_size: 64
  - .agpr_count:     0
    .args:
      - .offset:         0
        .size:           48
        .value_kind:     by_value
    .group_segment_fixed_size: 0
    .kernarg_segment_align: 8
    .kernarg_segment_size: 48
    .language:       OpenCL C
    .language_version:
      - 2
      - 0
    .max_flat_workgroup_size: 256
    .name:           _ZN7rocprim17ROCPRIM_400000_NS6detail17trampoline_kernelINS0_14default_configENS1_21merge_config_selectorIiNS0_10empty_typeEEEZNS1_10merge_implIS3_N6thrust23THRUST_200600_302600_NS6detail15normal_iteratorINS9_10device_ptrIKiEEEESF_NS9_16discard_iteratorINS9_11use_defaultEEEPS5_SJ_SJ_NS9_4lessIiEEEE10hipError_tPvRmT0_T1_T2_T3_T4_T5_mmT6_P12ihipStream_tbEUlT_E_NS1_11comp_targetILNS1_3genE2ELNS1_11target_archE906ELNS1_3gpuE6ELNS1_3repE0EEENS1_30default_config_static_selectorELNS0_4arch9wavefront6targetE1EEEvSQ_
    .private_segment_fixed_size: 0
    .sgpr_count:     4
    .sgpr_spill_count: 0
    .symbol:         _ZN7rocprim17ROCPRIM_400000_NS6detail17trampoline_kernelINS0_14default_configENS1_21merge_config_selectorIiNS0_10empty_typeEEEZNS1_10merge_implIS3_N6thrust23THRUST_200600_302600_NS6detail15normal_iteratorINS9_10device_ptrIKiEEEESF_NS9_16discard_iteratorINS9_11use_defaultEEEPS5_SJ_SJ_NS9_4lessIiEEEE10hipError_tPvRmT0_T1_T2_T3_T4_T5_mmT6_P12ihipStream_tbEUlT_E_NS1_11comp_targetILNS1_3genE2ELNS1_11target_archE906ELNS1_3gpuE6ELNS1_3repE0EEENS1_30default_config_static_selectorELNS0_4arch9wavefront6targetE1EEEvSQ_.kd
    .uniform_work_group_size: 1
    .uses_dynamic_stack: false
    .vgpr_count:     0
    .vgpr_spill_count: 0
    .wavefront_size: 64
  - .agpr_count:     0
    .args:
      - .offset:         0
        .size:           48
        .value_kind:     by_value
    .group_segment_fixed_size: 0
    .kernarg_segment_align: 8
    .kernarg_segment_size: 48
    .language:       OpenCL C
    .language_version:
      - 2
      - 0
    .max_flat_workgroup_size: 1024
    .name:           _ZN7rocprim17ROCPRIM_400000_NS6detail17trampoline_kernelINS0_14default_configENS1_21merge_config_selectorIiNS0_10empty_typeEEEZNS1_10merge_implIS3_N6thrust23THRUST_200600_302600_NS6detail15normal_iteratorINS9_10device_ptrIKiEEEESF_NS9_16discard_iteratorINS9_11use_defaultEEEPS5_SJ_SJ_NS9_4lessIiEEEE10hipError_tPvRmT0_T1_T2_T3_T4_T5_mmT6_P12ihipStream_tbEUlT_E_NS1_11comp_targetILNS1_3genE10ELNS1_11target_archE1201ELNS1_3gpuE5ELNS1_3repE0EEENS1_30default_config_static_selectorELNS0_4arch9wavefront6targetE1EEEvSQ_
    .private_segment_fixed_size: 0
    .sgpr_count:     4
    .sgpr_spill_count: 0
    .symbol:         _ZN7rocprim17ROCPRIM_400000_NS6detail17trampoline_kernelINS0_14default_configENS1_21merge_config_selectorIiNS0_10empty_typeEEEZNS1_10merge_implIS3_N6thrust23THRUST_200600_302600_NS6detail15normal_iteratorINS9_10device_ptrIKiEEEESF_NS9_16discard_iteratorINS9_11use_defaultEEEPS5_SJ_SJ_NS9_4lessIiEEEE10hipError_tPvRmT0_T1_T2_T3_T4_T5_mmT6_P12ihipStream_tbEUlT_E_NS1_11comp_targetILNS1_3genE10ELNS1_11target_archE1201ELNS1_3gpuE5ELNS1_3repE0EEENS1_30default_config_static_selectorELNS0_4arch9wavefront6targetE1EEEvSQ_.kd
    .uniform_work_group_size: 1
    .uses_dynamic_stack: false
    .vgpr_count:     0
    .vgpr_spill_count: 0
    .wavefront_size: 64
  - .agpr_count:     0
    .args:
      - .offset:         0
        .size:           48
        .value_kind:     by_value
    .group_segment_fixed_size: 0
    .kernarg_segment_align: 8
    .kernarg_segment_size: 48
    .language:       OpenCL C
    .language_version:
      - 2
      - 0
    .max_flat_workgroup_size: 1024
    .name:           _ZN7rocprim17ROCPRIM_400000_NS6detail17trampoline_kernelINS0_14default_configENS1_21merge_config_selectorIiNS0_10empty_typeEEEZNS1_10merge_implIS3_N6thrust23THRUST_200600_302600_NS6detail15normal_iteratorINS9_10device_ptrIKiEEEESF_NS9_16discard_iteratorINS9_11use_defaultEEEPS5_SJ_SJ_NS9_4lessIiEEEE10hipError_tPvRmT0_T1_T2_T3_T4_T5_mmT6_P12ihipStream_tbEUlT_E_NS1_11comp_targetILNS1_3genE10ELNS1_11target_archE1200ELNS1_3gpuE4ELNS1_3repE0EEENS1_30default_config_static_selectorELNS0_4arch9wavefront6targetE1EEEvSQ_
    .private_segment_fixed_size: 0
    .sgpr_count:     4
    .sgpr_spill_count: 0
    .symbol:         _ZN7rocprim17ROCPRIM_400000_NS6detail17trampoline_kernelINS0_14default_configENS1_21merge_config_selectorIiNS0_10empty_typeEEEZNS1_10merge_implIS3_N6thrust23THRUST_200600_302600_NS6detail15normal_iteratorINS9_10device_ptrIKiEEEESF_NS9_16discard_iteratorINS9_11use_defaultEEEPS5_SJ_SJ_NS9_4lessIiEEEE10hipError_tPvRmT0_T1_T2_T3_T4_T5_mmT6_P12ihipStream_tbEUlT_E_NS1_11comp_targetILNS1_3genE10ELNS1_11target_archE1200ELNS1_3gpuE4ELNS1_3repE0EEENS1_30default_config_static_selectorELNS0_4arch9wavefront6targetE1EEEvSQ_.kd
    .uniform_work_group_size: 1
    .uses_dynamic_stack: false
    .vgpr_count:     0
    .vgpr_spill_count: 0
    .wavefront_size: 64
  - .agpr_count:     0
    .args:
      - .offset:         0
        .size:           48
        .value_kind:     by_value
    .group_segment_fixed_size: 0
    .kernarg_segment_align: 8
    .kernarg_segment_size: 48
    .language:       OpenCL C
    .language_version:
      - 2
      - 0
    .max_flat_workgroup_size: 1024
    .name:           _ZN7rocprim17ROCPRIM_400000_NS6detail17trampoline_kernelINS0_14default_configENS1_21merge_config_selectorIiNS0_10empty_typeEEEZNS1_10merge_implIS3_N6thrust23THRUST_200600_302600_NS6detail15normal_iteratorINS9_10device_ptrIKiEEEESF_NS9_16discard_iteratorINS9_11use_defaultEEEPS5_SJ_SJ_NS9_4lessIiEEEE10hipError_tPvRmT0_T1_T2_T3_T4_T5_mmT6_P12ihipStream_tbEUlT_E_NS1_11comp_targetILNS1_3genE9ELNS1_11target_archE1100ELNS1_3gpuE3ELNS1_3repE0EEENS1_30default_config_static_selectorELNS0_4arch9wavefront6targetE1EEEvSQ_
    .private_segment_fixed_size: 0
    .sgpr_count:     4
    .sgpr_spill_count: 0
    .symbol:         _ZN7rocprim17ROCPRIM_400000_NS6detail17trampoline_kernelINS0_14default_configENS1_21merge_config_selectorIiNS0_10empty_typeEEEZNS1_10merge_implIS3_N6thrust23THRUST_200600_302600_NS6detail15normal_iteratorINS9_10device_ptrIKiEEEESF_NS9_16discard_iteratorINS9_11use_defaultEEEPS5_SJ_SJ_NS9_4lessIiEEEE10hipError_tPvRmT0_T1_T2_T3_T4_T5_mmT6_P12ihipStream_tbEUlT_E_NS1_11comp_targetILNS1_3genE9ELNS1_11target_archE1100ELNS1_3gpuE3ELNS1_3repE0EEENS1_30default_config_static_selectorELNS0_4arch9wavefront6targetE1EEEvSQ_.kd
    .uniform_work_group_size: 1
    .uses_dynamic_stack: false
    .vgpr_count:     0
    .vgpr_spill_count: 0
    .wavefront_size: 64
  - .agpr_count:     0
    .args:
      - .offset:         0
        .size:           48
        .value_kind:     by_value
    .group_segment_fixed_size: 0
    .kernarg_segment_align: 8
    .kernarg_segment_size: 48
    .language:       OpenCL C
    .language_version:
      - 2
      - 0
    .max_flat_workgroup_size: 1024
    .name:           _ZN7rocprim17ROCPRIM_400000_NS6detail17trampoline_kernelINS0_14default_configENS1_21merge_config_selectorIiNS0_10empty_typeEEEZNS1_10merge_implIS3_N6thrust23THRUST_200600_302600_NS6detail15normal_iteratorINS9_10device_ptrIKiEEEESF_NS9_16discard_iteratorINS9_11use_defaultEEEPS5_SJ_SJ_NS9_4lessIiEEEE10hipError_tPvRmT0_T1_T2_T3_T4_T5_mmT6_P12ihipStream_tbEUlT_E_NS1_11comp_targetILNS1_3genE8ELNS1_11target_archE1030ELNS1_3gpuE2ELNS1_3repE0EEENS1_30default_config_static_selectorELNS0_4arch9wavefront6targetE1EEEvSQ_
    .private_segment_fixed_size: 0
    .sgpr_count:     4
    .sgpr_spill_count: 0
    .symbol:         _ZN7rocprim17ROCPRIM_400000_NS6detail17trampoline_kernelINS0_14default_configENS1_21merge_config_selectorIiNS0_10empty_typeEEEZNS1_10merge_implIS3_N6thrust23THRUST_200600_302600_NS6detail15normal_iteratorINS9_10device_ptrIKiEEEESF_NS9_16discard_iteratorINS9_11use_defaultEEEPS5_SJ_SJ_NS9_4lessIiEEEE10hipError_tPvRmT0_T1_T2_T3_T4_T5_mmT6_P12ihipStream_tbEUlT_E_NS1_11comp_targetILNS1_3genE8ELNS1_11target_archE1030ELNS1_3gpuE2ELNS1_3repE0EEENS1_30default_config_static_selectorELNS0_4arch9wavefront6targetE1EEEvSQ_.kd
    .uniform_work_group_size: 1
    .uses_dynamic_stack: false
    .vgpr_count:     0
    .vgpr_spill_count: 0
    .wavefront_size: 64
  - .agpr_count:     0
    .args:
      - .offset:         0
        .size:           96
        .value_kind:     by_value
    .group_segment_fixed_size: 0
    .kernarg_segment_align: 8
    .kernarg_segment_size: 96
    .language:       OpenCL C
    .language_version:
      - 2
      - 0
    .max_flat_workgroup_size: 256
    .name:           _ZN7rocprim17ROCPRIM_400000_NS6detail17trampoline_kernelINS0_14default_configENS1_21merge_config_selectorIiNS0_10empty_typeEEEZNS1_10merge_implIS3_N6thrust23THRUST_200600_302600_NS6detail15normal_iteratorINS9_10device_ptrIKiEEEESF_NS9_16discard_iteratorINS9_11use_defaultEEEPS5_SJ_SJ_NS9_4lessIiEEEE10hipError_tPvRmT0_T1_T2_T3_T4_T5_mmT6_P12ihipStream_tbEUlT_E0_NS1_11comp_targetILNS1_3genE0ELNS1_11target_archE4294967295ELNS1_3gpuE0ELNS1_3repE0EEENS1_30default_config_static_selectorELNS0_4arch9wavefront6targetE1EEEvSQ_
    .private_segment_fixed_size: 0
    .sgpr_count:     4
    .sgpr_spill_count: 0
    .symbol:         _ZN7rocprim17ROCPRIM_400000_NS6detail17trampoline_kernelINS0_14default_configENS1_21merge_config_selectorIiNS0_10empty_typeEEEZNS1_10merge_implIS3_N6thrust23THRUST_200600_302600_NS6detail15normal_iteratorINS9_10device_ptrIKiEEEESF_NS9_16discard_iteratorINS9_11use_defaultEEEPS5_SJ_SJ_NS9_4lessIiEEEE10hipError_tPvRmT0_T1_T2_T3_T4_T5_mmT6_P12ihipStream_tbEUlT_E0_NS1_11comp_targetILNS1_3genE0ELNS1_11target_archE4294967295ELNS1_3gpuE0ELNS1_3repE0EEENS1_30default_config_static_selectorELNS0_4arch9wavefront6targetE1EEEvSQ_.kd
    .uniform_work_group_size: 1
    .uses_dynamic_stack: false
    .vgpr_count:     0
    .vgpr_spill_count: 0
    .wavefront_size: 64
  - .agpr_count:     0
    .args:
      - .offset:         0
        .size:           96
        .value_kind:     by_value
    .group_segment_fixed_size: 0
    .kernarg_segment_align: 8
    .kernarg_segment_size: 96
    .language:       OpenCL C
    .language_version:
      - 2
      - 0
    .max_flat_workgroup_size: 256
    .name:           _ZN7rocprim17ROCPRIM_400000_NS6detail17trampoline_kernelINS0_14default_configENS1_21merge_config_selectorIiNS0_10empty_typeEEEZNS1_10merge_implIS3_N6thrust23THRUST_200600_302600_NS6detail15normal_iteratorINS9_10device_ptrIKiEEEESF_NS9_16discard_iteratorINS9_11use_defaultEEEPS5_SJ_SJ_NS9_4lessIiEEEE10hipError_tPvRmT0_T1_T2_T3_T4_T5_mmT6_P12ihipStream_tbEUlT_E0_NS1_11comp_targetILNS1_3genE5ELNS1_11target_archE942ELNS1_3gpuE9ELNS1_3repE0EEENS1_30default_config_static_selectorELNS0_4arch9wavefront6targetE1EEEvSQ_
    .private_segment_fixed_size: 0
    .sgpr_count:     4
    .sgpr_spill_count: 0
    .symbol:         _ZN7rocprim17ROCPRIM_400000_NS6detail17trampoline_kernelINS0_14default_configENS1_21merge_config_selectorIiNS0_10empty_typeEEEZNS1_10merge_implIS3_N6thrust23THRUST_200600_302600_NS6detail15normal_iteratorINS9_10device_ptrIKiEEEESF_NS9_16discard_iteratorINS9_11use_defaultEEEPS5_SJ_SJ_NS9_4lessIiEEEE10hipError_tPvRmT0_T1_T2_T3_T4_T5_mmT6_P12ihipStream_tbEUlT_E0_NS1_11comp_targetILNS1_3genE5ELNS1_11target_archE942ELNS1_3gpuE9ELNS1_3repE0EEENS1_30default_config_static_selectorELNS0_4arch9wavefront6targetE1EEEvSQ_.kd
    .uniform_work_group_size: 1
    .uses_dynamic_stack: false
    .vgpr_count:     0
    .vgpr_spill_count: 0
    .wavefront_size: 64
  - .agpr_count:     0
    .args:
      - .offset:         0
        .size:           96
        .value_kind:     by_value
    .group_segment_fixed_size: 10256
    .kernarg_segment_align: 8
    .kernarg_segment_size: 96
    .language:       OpenCL C
    .language_version:
      - 2
      - 0
    .max_flat_workgroup_size: 256
    .name:           _ZN7rocprim17ROCPRIM_400000_NS6detail17trampoline_kernelINS0_14default_configENS1_21merge_config_selectorIiNS0_10empty_typeEEEZNS1_10merge_implIS3_N6thrust23THRUST_200600_302600_NS6detail15normal_iteratorINS9_10device_ptrIKiEEEESF_NS9_16discard_iteratorINS9_11use_defaultEEEPS5_SJ_SJ_NS9_4lessIiEEEE10hipError_tPvRmT0_T1_T2_T3_T4_T5_mmT6_P12ihipStream_tbEUlT_E0_NS1_11comp_targetILNS1_3genE4ELNS1_11target_archE910ELNS1_3gpuE8ELNS1_3repE0EEENS1_30default_config_static_selectorELNS0_4arch9wavefront6targetE1EEEvSQ_
    .private_segment_fixed_size: 0
    .sgpr_count:     26
    .sgpr_spill_count: 0
    .symbol:         _ZN7rocprim17ROCPRIM_400000_NS6detail17trampoline_kernelINS0_14default_configENS1_21merge_config_selectorIiNS0_10empty_typeEEEZNS1_10merge_implIS3_N6thrust23THRUST_200600_302600_NS6detail15normal_iteratorINS9_10device_ptrIKiEEEESF_NS9_16discard_iteratorINS9_11use_defaultEEEPS5_SJ_SJ_NS9_4lessIiEEEE10hipError_tPvRmT0_T1_T2_T3_T4_T5_mmT6_P12ihipStream_tbEUlT_E0_NS1_11comp_targetILNS1_3genE4ELNS1_11target_archE910ELNS1_3gpuE8ELNS1_3repE0EEENS1_30default_config_static_selectorELNS0_4arch9wavefront6targetE1EEEvSQ_.kd
    .uniform_work_group_size: 1
    .uses_dynamic_stack: false
    .vgpr_count:     24
    .vgpr_spill_count: 0
    .wavefront_size: 64
  - .agpr_count:     0
    .args:
      - .offset:         0
        .size:           96
        .value_kind:     by_value
    .group_segment_fixed_size: 0
    .kernarg_segment_align: 8
    .kernarg_segment_size: 96
    .language:       OpenCL C
    .language_version:
      - 2
      - 0
    .max_flat_workgroup_size: 256
    .name:           _ZN7rocprim17ROCPRIM_400000_NS6detail17trampoline_kernelINS0_14default_configENS1_21merge_config_selectorIiNS0_10empty_typeEEEZNS1_10merge_implIS3_N6thrust23THRUST_200600_302600_NS6detail15normal_iteratorINS9_10device_ptrIKiEEEESF_NS9_16discard_iteratorINS9_11use_defaultEEEPS5_SJ_SJ_NS9_4lessIiEEEE10hipError_tPvRmT0_T1_T2_T3_T4_T5_mmT6_P12ihipStream_tbEUlT_E0_NS1_11comp_targetILNS1_3genE3ELNS1_11target_archE908ELNS1_3gpuE7ELNS1_3repE0EEENS1_30default_config_static_selectorELNS0_4arch9wavefront6targetE1EEEvSQ_
    .private_segment_fixed_size: 0
    .sgpr_count:     4
    .sgpr_spill_count: 0
    .symbol:         _ZN7rocprim17ROCPRIM_400000_NS6detail17trampoline_kernelINS0_14default_configENS1_21merge_config_selectorIiNS0_10empty_typeEEEZNS1_10merge_implIS3_N6thrust23THRUST_200600_302600_NS6detail15normal_iteratorINS9_10device_ptrIKiEEEESF_NS9_16discard_iteratorINS9_11use_defaultEEEPS5_SJ_SJ_NS9_4lessIiEEEE10hipError_tPvRmT0_T1_T2_T3_T4_T5_mmT6_P12ihipStream_tbEUlT_E0_NS1_11comp_targetILNS1_3genE3ELNS1_11target_archE908ELNS1_3gpuE7ELNS1_3repE0EEENS1_30default_config_static_selectorELNS0_4arch9wavefront6targetE1EEEvSQ_.kd
    .uniform_work_group_size: 1
    .uses_dynamic_stack: false
    .vgpr_count:     0
    .vgpr_spill_count: 0
    .wavefront_size: 64
  - .agpr_count:     0
    .args:
      - .offset:         0
        .size:           96
        .value_kind:     by_value
    .group_segment_fixed_size: 0
    .kernarg_segment_align: 8
    .kernarg_segment_size: 96
    .language:       OpenCL C
    .language_version:
      - 2
      - 0
    .max_flat_workgroup_size: 256
    .name:           _ZN7rocprim17ROCPRIM_400000_NS6detail17trampoline_kernelINS0_14default_configENS1_21merge_config_selectorIiNS0_10empty_typeEEEZNS1_10merge_implIS3_N6thrust23THRUST_200600_302600_NS6detail15normal_iteratorINS9_10device_ptrIKiEEEESF_NS9_16discard_iteratorINS9_11use_defaultEEEPS5_SJ_SJ_NS9_4lessIiEEEE10hipError_tPvRmT0_T1_T2_T3_T4_T5_mmT6_P12ihipStream_tbEUlT_E0_NS1_11comp_targetILNS1_3genE2ELNS1_11target_archE906ELNS1_3gpuE6ELNS1_3repE0EEENS1_30default_config_static_selectorELNS0_4arch9wavefront6targetE1EEEvSQ_
    .private_segment_fixed_size: 0
    .sgpr_count:     4
    .sgpr_spill_count: 0
    .symbol:         _ZN7rocprim17ROCPRIM_400000_NS6detail17trampoline_kernelINS0_14default_configENS1_21merge_config_selectorIiNS0_10empty_typeEEEZNS1_10merge_implIS3_N6thrust23THRUST_200600_302600_NS6detail15normal_iteratorINS9_10device_ptrIKiEEEESF_NS9_16discard_iteratorINS9_11use_defaultEEEPS5_SJ_SJ_NS9_4lessIiEEEE10hipError_tPvRmT0_T1_T2_T3_T4_T5_mmT6_P12ihipStream_tbEUlT_E0_NS1_11comp_targetILNS1_3genE2ELNS1_11target_archE906ELNS1_3gpuE6ELNS1_3repE0EEENS1_30default_config_static_selectorELNS0_4arch9wavefront6targetE1EEEvSQ_.kd
    .uniform_work_group_size: 1
    .uses_dynamic_stack: false
    .vgpr_count:     0
    .vgpr_spill_count: 0
    .wavefront_size: 64
  - .agpr_count:     0
    .args:
      - .offset:         0
        .size:           96
        .value_kind:     by_value
    .group_segment_fixed_size: 0
    .kernarg_segment_align: 8
    .kernarg_segment_size: 96
    .language:       OpenCL C
    .language_version:
      - 2
      - 0
    .max_flat_workgroup_size: 1024
    .name:           _ZN7rocprim17ROCPRIM_400000_NS6detail17trampoline_kernelINS0_14default_configENS1_21merge_config_selectorIiNS0_10empty_typeEEEZNS1_10merge_implIS3_N6thrust23THRUST_200600_302600_NS6detail15normal_iteratorINS9_10device_ptrIKiEEEESF_NS9_16discard_iteratorINS9_11use_defaultEEEPS5_SJ_SJ_NS9_4lessIiEEEE10hipError_tPvRmT0_T1_T2_T3_T4_T5_mmT6_P12ihipStream_tbEUlT_E0_NS1_11comp_targetILNS1_3genE10ELNS1_11target_archE1201ELNS1_3gpuE5ELNS1_3repE0EEENS1_30default_config_static_selectorELNS0_4arch9wavefront6targetE1EEEvSQ_
    .private_segment_fixed_size: 0
    .sgpr_count:     4
    .sgpr_spill_count: 0
    .symbol:         _ZN7rocprim17ROCPRIM_400000_NS6detail17trampoline_kernelINS0_14default_configENS1_21merge_config_selectorIiNS0_10empty_typeEEEZNS1_10merge_implIS3_N6thrust23THRUST_200600_302600_NS6detail15normal_iteratorINS9_10device_ptrIKiEEEESF_NS9_16discard_iteratorINS9_11use_defaultEEEPS5_SJ_SJ_NS9_4lessIiEEEE10hipError_tPvRmT0_T1_T2_T3_T4_T5_mmT6_P12ihipStream_tbEUlT_E0_NS1_11comp_targetILNS1_3genE10ELNS1_11target_archE1201ELNS1_3gpuE5ELNS1_3repE0EEENS1_30default_config_static_selectorELNS0_4arch9wavefront6targetE1EEEvSQ_.kd
    .uniform_work_group_size: 1
    .uses_dynamic_stack: false
    .vgpr_count:     0
    .vgpr_spill_count: 0
    .wavefront_size: 64
  - .agpr_count:     0
    .args:
      - .offset:         0
        .size:           96
        .value_kind:     by_value
    .group_segment_fixed_size: 0
    .kernarg_segment_align: 8
    .kernarg_segment_size: 96
    .language:       OpenCL C
    .language_version:
      - 2
      - 0
    .max_flat_workgroup_size: 1024
    .name:           _ZN7rocprim17ROCPRIM_400000_NS6detail17trampoline_kernelINS0_14default_configENS1_21merge_config_selectorIiNS0_10empty_typeEEEZNS1_10merge_implIS3_N6thrust23THRUST_200600_302600_NS6detail15normal_iteratorINS9_10device_ptrIKiEEEESF_NS9_16discard_iteratorINS9_11use_defaultEEEPS5_SJ_SJ_NS9_4lessIiEEEE10hipError_tPvRmT0_T1_T2_T3_T4_T5_mmT6_P12ihipStream_tbEUlT_E0_NS1_11comp_targetILNS1_3genE10ELNS1_11target_archE1200ELNS1_3gpuE4ELNS1_3repE0EEENS1_30default_config_static_selectorELNS0_4arch9wavefront6targetE1EEEvSQ_
    .private_segment_fixed_size: 0
    .sgpr_count:     4
    .sgpr_spill_count: 0
    .symbol:         _ZN7rocprim17ROCPRIM_400000_NS6detail17trampoline_kernelINS0_14default_configENS1_21merge_config_selectorIiNS0_10empty_typeEEEZNS1_10merge_implIS3_N6thrust23THRUST_200600_302600_NS6detail15normal_iteratorINS9_10device_ptrIKiEEEESF_NS9_16discard_iteratorINS9_11use_defaultEEEPS5_SJ_SJ_NS9_4lessIiEEEE10hipError_tPvRmT0_T1_T2_T3_T4_T5_mmT6_P12ihipStream_tbEUlT_E0_NS1_11comp_targetILNS1_3genE10ELNS1_11target_archE1200ELNS1_3gpuE4ELNS1_3repE0EEENS1_30default_config_static_selectorELNS0_4arch9wavefront6targetE1EEEvSQ_.kd
    .uniform_work_group_size: 1
    .uses_dynamic_stack: false
    .vgpr_count:     0
    .vgpr_spill_count: 0
    .wavefront_size: 64
  - .agpr_count:     0
    .args:
      - .offset:         0
        .size:           96
        .value_kind:     by_value
    .group_segment_fixed_size: 0
    .kernarg_segment_align: 8
    .kernarg_segment_size: 96
    .language:       OpenCL C
    .language_version:
      - 2
      - 0
    .max_flat_workgroup_size: 1024
    .name:           _ZN7rocprim17ROCPRIM_400000_NS6detail17trampoline_kernelINS0_14default_configENS1_21merge_config_selectorIiNS0_10empty_typeEEEZNS1_10merge_implIS3_N6thrust23THRUST_200600_302600_NS6detail15normal_iteratorINS9_10device_ptrIKiEEEESF_NS9_16discard_iteratorINS9_11use_defaultEEEPS5_SJ_SJ_NS9_4lessIiEEEE10hipError_tPvRmT0_T1_T2_T3_T4_T5_mmT6_P12ihipStream_tbEUlT_E0_NS1_11comp_targetILNS1_3genE9ELNS1_11target_archE1100ELNS1_3gpuE3ELNS1_3repE0EEENS1_30default_config_static_selectorELNS0_4arch9wavefront6targetE1EEEvSQ_
    .private_segment_fixed_size: 0
    .sgpr_count:     4
    .sgpr_spill_count: 0
    .symbol:         _ZN7rocprim17ROCPRIM_400000_NS6detail17trampoline_kernelINS0_14default_configENS1_21merge_config_selectorIiNS0_10empty_typeEEEZNS1_10merge_implIS3_N6thrust23THRUST_200600_302600_NS6detail15normal_iteratorINS9_10device_ptrIKiEEEESF_NS9_16discard_iteratorINS9_11use_defaultEEEPS5_SJ_SJ_NS9_4lessIiEEEE10hipError_tPvRmT0_T1_T2_T3_T4_T5_mmT6_P12ihipStream_tbEUlT_E0_NS1_11comp_targetILNS1_3genE9ELNS1_11target_archE1100ELNS1_3gpuE3ELNS1_3repE0EEENS1_30default_config_static_selectorELNS0_4arch9wavefront6targetE1EEEvSQ_.kd
    .uniform_work_group_size: 1
    .uses_dynamic_stack: false
    .vgpr_count:     0
    .vgpr_spill_count: 0
    .wavefront_size: 64
  - .agpr_count:     0
    .args:
      - .offset:         0
        .size:           96
        .value_kind:     by_value
    .group_segment_fixed_size: 0
    .kernarg_segment_align: 8
    .kernarg_segment_size: 96
    .language:       OpenCL C
    .language_version:
      - 2
      - 0
    .max_flat_workgroup_size: 1024
    .name:           _ZN7rocprim17ROCPRIM_400000_NS6detail17trampoline_kernelINS0_14default_configENS1_21merge_config_selectorIiNS0_10empty_typeEEEZNS1_10merge_implIS3_N6thrust23THRUST_200600_302600_NS6detail15normal_iteratorINS9_10device_ptrIKiEEEESF_NS9_16discard_iteratorINS9_11use_defaultEEEPS5_SJ_SJ_NS9_4lessIiEEEE10hipError_tPvRmT0_T1_T2_T3_T4_T5_mmT6_P12ihipStream_tbEUlT_E0_NS1_11comp_targetILNS1_3genE8ELNS1_11target_archE1030ELNS1_3gpuE2ELNS1_3repE0EEENS1_30default_config_static_selectorELNS0_4arch9wavefront6targetE1EEEvSQ_
    .private_segment_fixed_size: 0
    .sgpr_count:     4
    .sgpr_spill_count: 0
    .symbol:         _ZN7rocprim17ROCPRIM_400000_NS6detail17trampoline_kernelINS0_14default_configENS1_21merge_config_selectorIiNS0_10empty_typeEEEZNS1_10merge_implIS3_N6thrust23THRUST_200600_302600_NS6detail15normal_iteratorINS9_10device_ptrIKiEEEESF_NS9_16discard_iteratorINS9_11use_defaultEEEPS5_SJ_SJ_NS9_4lessIiEEEE10hipError_tPvRmT0_T1_T2_T3_T4_T5_mmT6_P12ihipStream_tbEUlT_E0_NS1_11comp_targetILNS1_3genE8ELNS1_11target_archE1030ELNS1_3gpuE2ELNS1_3repE0EEENS1_30default_config_static_selectorELNS0_4arch9wavefront6targetE1EEEvSQ_.kd
    .uniform_work_group_size: 1
    .uses_dynamic_stack: false
    .vgpr_count:     0
    .vgpr_spill_count: 0
    .wavefront_size: 64
  - .agpr_count:     0
    .args:
      - .offset:         0
        .size:           48
        .value_kind:     by_value
    .group_segment_fixed_size: 0
    .kernarg_segment_align: 8
    .kernarg_segment_size: 48
    .language:       OpenCL C
    .language_version:
      - 2
      - 0
    .max_flat_workgroup_size: 512
    .name:           _ZN7rocprim17ROCPRIM_400000_NS6detail17trampoline_kernelINS0_14default_configENS1_21merge_config_selectorIsNS0_10empty_typeEEEZNS1_10merge_implIS3_N6thrust23THRUST_200600_302600_NS6detail15normal_iteratorINS9_10device_ptrIKsEEEESF_NS9_16discard_iteratorINS9_11use_defaultEEEPS5_SJ_SJ_NS9_4lessIsEEEE10hipError_tPvRmT0_T1_T2_T3_T4_T5_mmT6_P12ihipStream_tbEUlT_E_NS1_11comp_targetILNS1_3genE0ELNS1_11target_archE4294967295ELNS1_3gpuE0ELNS1_3repE0EEENS1_30default_config_static_selectorELNS0_4arch9wavefront6targetE1EEEvSQ_
    .private_segment_fixed_size: 0
    .sgpr_count:     4
    .sgpr_spill_count: 0
    .symbol:         _ZN7rocprim17ROCPRIM_400000_NS6detail17trampoline_kernelINS0_14default_configENS1_21merge_config_selectorIsNS0_10empty_typeEEEZNS1_10merge_implIS3_N6thrust23THRUST_200600_302600_NS6detail15normal_iteratorINS9_10device_ptrIKsEEEESF_NS9_16discard_iteratorINS9_11use_defaultEEEPS5_SJ_SJ_NS9_4lessIsEEEE10hipError_tPvRmT0_T1_T2_T3_T4_T5_mmT6_P12ihipStream_tbEUlT_E_NS1_11comp_targetILNS1_3genE0ELNS1_11target_archE4294967295ELNS1_3gpuE0ELNS1_3repE0EEENS1_30default_config_static_selectorELNS0_4arch9wavefront6targetE1EEEvSQ_.kd
    .uniform_work_group_size: 1
    .uses_dynamic_stack: false
    .vgpr_count:     0
    .vgpr_spill_count: 0
    .wavefront_size: 64
  - .agpr_count:     0
    .args:
      - .offset:         0
        .size:           48
        .value_kind:     by_value
    .group_segment_fixed_size: 0
    .kernarg_segment_align: 8
    .kernarg_segment_size: 48
    .language:       OpenCL C
    .language_version:
      - 2
      - 0
    .max_flat_workgroup_size: 256
    .name:           _ZN7rocprim17ROCPRIM_400000_NS6detail17trampoline_kernelINS0_14default_configENS1_21merge_config_selectorIsNS0_10empty_typeEEEZNS1_10merge_implIS3_N6thrust23THRUST_200600_302600_NS6detail15normal_iteratorINS9_10device_ptrIKsEEEESF_NS9_16discard_iteratorINS9_11use_defaultEEEPS5_SJ_SJ_NS9_4lessIsEEEE10hipError_tPvRmT0_T1_T2_T3_T4_T5_mmT6_P12ihipStream_tbEUlT_E_NS1_11comp_targetILNS1_3genE5ELNS1_11target_archE942ELNS1_3gpuE9ELNS1_3repE0EEENS1_30default_config_static_selectorELNS0_4arch9wavefront6targetE1EEEvSQ_
    .private_segment_fixed_size: 0
    .sgpr_count:     4
    .sgpr_spill_count: 0
    .symbol:         _ZN7rocprim17ROCPRIM_400000_NS6detail17trampoline_kernelINS0_14default_configENS1_21merge_config_selectorIsNS0_10empty_typeEEEZNS1_10merge_implIS3_N6thrust23THRUST_200600_302600_NS6detail15normal_iteratorINS9_10device_ptrIKsEEEESF_NS9_16discard_iteratorINS9_11use_defaultEEEPS5_SJ_SJ_NS9_4lessIsEEEE10hipError_tPvRmT0_T1_T2_T3_T4_T5_mmT6_P12ihipStream_tbEUlT_E_NS1_11comp_targetILNS1_3genE5ELNS1_11target_archE942ELNS1_3gpuE9ELNS1_3repE0EEENS1_30default_config_static_selectorELNS0_4arch9wavefront6targetE1EEEvSQ_.kd
    .uniform_work_group_size: 1
    .uses_dynamic_stack: false
    .vgpr_count:     0
    .vgpr_spill_count: 0
    .wavefront_size: 64
  - .agpr_count:     0
    .args:
      - .offset:         0
        .size:           48
        .value_kind:     by_value
      - .offset:         48
        .size:           4
        .value_kind:     hidden_block_count_x
      - .offset:         52
        .size:           4
        .value_kind:     hidden_block_count_y
      - .offset:         56
        .size:           4
        .value_kind:     hidden_block_count_z
      - .offset:         60
        .size:           2
        .value_kind:     hidden_group_size_x
      - .offset:         62
        .size:           2
        .value_kind:     hidden_group_size_y
      - .offset:         64
        .size:           2
        .value_kind:     hidden_group_size_z
      - .offset:         66
        .size:           2
        .value_kind:     hidden_remainder_x
      - .offset:         68
        .size:           2
        .value_kind:     hidden_remainder_y
      - .offset:         70
        .size:           2
        .value_kind:     hidden_remainder_z
      - .offset:         88
        .size:           8
        .value_kind:     hidden_global_offset_x
      - .offset:         96
        .size:           8
        .value_kind:     hidden_global_offset_y
      - .offset:         104
        .size:           8
        .value_kind:     hidden_global_offset_z
      - .offset:         112
        .size:           2
        .value_kind:     hidden_grid_dims
    .group_segment_fixed_size: 0
    .kernarg_segment_align: 8
    .kernarg_segment_size: 304
    .language:       OpenCL C
    .language_version:
      - 2
      - 0
    .max_flat_workgroup_size: 256
    .name:           _ZN7rocprim17ROCPRIM_400000_NS6detail17trampoline_kernelINS0_14default_configENS1_21merge_config_selectorIsNS0_10empty_typeEEEZNS1_10merge_implIS3_N6thrust23THRUST_200600_302600_NS6detail15normal_iteratorINS9_10device_ptrIKsEEEESF_NS9_16discard_iteratorINS9_11use_defaultEEEPS5_SJ_SJ_NS9_4lessIsEEEE10hipError_tPvRmT0_T1_T2_T3_T4_T5_mmT6_P12ihipStream_tbEUlT_E_NS1_11comp_targetILNS1_3genE4ELNS1_11target_archE910ELNS1_3gpuE8ELNS1_3repE0EEENS1_30default_config_static_selectorELNS0_4arch9wavefront6targetE1EEEvSQ_
    .private_segment_fixed_size: 0
    .sgpr_count:     18
    .sgpr_spill_count: 0
    .symbol:         _ZN7rocprim17ROCPRIM_400000_NS6detail17trampoline_kernelINS0_14default_configENS1_21merge_config_selectorIsNS0_10empty_typeEEEZNS1_10merge_implIS3_N6thrust23THRUST_200600_302600_NS6detail15normal_iteratorINS9_10device_ptrIKsEEEESF_NS9_16discard_iteratorINS9_11use_defaultEEEPS5_SJ_SJ_NS9_4lessIsEEEE10hipError_tPvRmT0_T1_T2_T3_T4_T5_mmT6_P12ihipStream_tbEUlT_E_NS1_11comp_targetILNS1_3genE4ELNS1_11target_archE910ELNS1_3gpuE8ELNS1_3repE0EEENS1_30default_config_static_selectorELNS0_4arch9wavefront6targetE1EEEvSQ_.kd
    .uniform_work_group_size: 1
    .uses_dynamic_stack: false
    .vgpr_count:     15
    .vgpr_spill_count: 0
    .wavefront_size: 64
  - .agpr_count:     0
    .args:
      - .offset:         0
        .size:           48
        .value_kind:     by_value
    .group_segment_fixed_size: 0
    .kernarg_segment_align: 8
    .kernarg_segment_size: 48
    .language:       OpenCL C
    .language_version:
      - 2
      - 0
    .max_flat_workgroup_size: 512
    .name:           _ZN7rocprim17ROCPRIM_400000_NS6detail17trampoline_kernelINS0_14default_configENS1_21merge_config_selectorIsNS0_10empty_typeEEEZNS1_10merge_implIS3_N6thrust23THRUST_200600_302600_NS6detail15normal_iteratorINS9_10device_ptrIKsEEEESF_NS9_16discard_iteratorINS9_11use_defaultEEEPS5_SJ_SJ_NS9_4lessIsEEEE10hipError_tPvRmT0_T1_T2_T3_T4_T5_mmT6_P12ihipStream_tbEUlT_E_NS1_11comp_targetILNS1_3genE3ELNS1_11target_archE908ELNS1_3gpuE7ELNS1_3repE0EEENS1_30default_config_static_selectorELNS0_4arch9wavefront6targetE1EEEvSQ_
    .private_segment_fixed_size: 0
    .sgpr_count:     4
    .sgpr_spill_count: 0
    .symbol:         _ZN7rocprim17ROCPRIM_400000_NS6detail17trampoline_kernelINS0_14default_configENS1_21merge_config_selectorIsNS0_10empty_typeEEEZNS1_10merge_implIS3_N6thrust23THRUST_200600_302600_NS6detail15normal_iteratorINS9_10device_ptrIKsEEEESF_NS9_16discard_iteratorINS9_11use_defaultEEEPS5_SJ_SJ_NS9_4lessIsEEEE10hipError_tPvRmT0_T1_T2_T3_T4_T5_mmT6_P12ihipStream_tbEUlT_E_NS1_11comp_targetILNS1_3genE3ELNS1_11target_archE908ELNS1_3gpuE7ELNS1_3repE0EEENS1_30default_config_static_selectorELNS0_4arch9wavefront6targetE1EEEvSQ_.kd
    .uniform_work_group_size: 1
    .uses_dynamic_stack: false
    .vgpr_count:     0
    .vgpr_spill_count: 0
    .wavefront_size: 64
  - .agpr_count:     0
    .args:
      - .offset:         0
        .size:           48
        .value_kind:     by_value
    .group_segment_fixed_size: 0
    .kernarg_segment_align: 8
    .kernarg_segment_size: 48
    .language:       OpenCL C
    .language_version:
      - 2
      - 0
    .max_flat_workgroup_size: 256
    .name:           _ZN7rocprim17ROCPRIM_400000_NS6detail17trampoline_kernelINS0_14default_configENS1_21merge_config_selectorIsNS0_10empty_typeEEEZNS1_10merge_implIS3_N6thrust23THRUST_200600_302600_NS6detail15normal_iteratorINS9_10device_ptrIKsEEEESF_NS9_16discard_iteratorINS9_11use_defaultEEEPS5_SJ_SJ_NS9_4lessIsEEEE10hipError_tPvRmT0_T1_T2_T3_T4_T5_mmT6_P12ihipStream_tbEUlT_E_NS1_11comp_targetILNS1_3genE2ELNS1_11target_archE906ELNS1_3gpuE6ELNS1_3repE0EEENS1_30default_config_static_selectorELNS0_4arch9wavefront6targetE1EEEvSQ_
    .private_segment_fixed_size: 0
    .sgpr_count:     4
    .sgpr_spill_count: 0
    .symbol:         _ZN7rocprim17ROCPRIM_400000_NS6detail17trampoline_kernelINS0_14default_configENS1_21merge_config_selectorIsNS0_10empty_typeEEEZNS1_10merge_implIS3_N6thrust23THRUST_200600_302600_NS6detail15normal_iteratorINS9_10device_ptrIKsEEEESF_NS9_16discard_iteratorINS9_11use_defaultEEEPS5_SJ_SJ_NS9_4lessIsEEEE10hipError_tPvRmT0_T1_T2_T3_T4_T5_mmT6_P12ihipStream_tbEUlT_E_NS1_11comp_targetILNS1_3genE2ELNS1_11target_archE906ELNS1_3gpuE6ELNS1_3repE0EEENS1_30default_config_static_selectorELNS0_4arch9wavefront6targetE1EEEvSQ_.kd
    .uniform_work_group_size: 1
    .uses_dynamic_stack: false
    .vgpr_count:     0
    .vgpr_spill_count: 0
    .wavefront_size: 64
  - .agpr_count:     0
    .args:
      - .offset:         0
        .size:           48
        .value_kind:     by_value
    .group_segment_fixed_size: 0
    .kernarg_segment_align: 8
    .kernarg_segment_size: 48
    .language:       OpenCL C
    .language_version:
      - 2
      - 0
    .max_flat_workgroup_size: 512
    .name:           _ZN7rocprim17ROCPRIM_400000_NS6detail17trampoline_kernelINS0_14default_configENS1_21merge_config_selectorIsNS0_10empty_typeEEEZNS1_10merge_implIS3_N6thrust23THRUST_200600_302600_NS6detail15normal_iteratorINS9_10device_ptrIKsEEEESF_NS9_16discard_iteratorINS9_11use_defaultEEEPS5_SJ_SJ_NS9_4lessIsEEEE10hipError_tPvRmT0_T1_T2_T3_T4_T5_mmT6_P12ihipStream_tbEUlT_E_NS1_11comp_targetILNS1_3genE10ELNS1_11target_archE1201ELNS1_3gpuE5ELNS1_3repE0EEENS1_30default_config_static_selectorELNS0_4arch9wavefront6targetE1EEEvSQ_
    .private_segment_fixed_size: 0
    .sgpr_count:     4
    .sgpr_spill_count: 0
    .symbol:         _ZN7rocprim17ROCPRIM_400000_NS6detail17trampoline_kernelINS0_14default_configENS1_21merge_config_selectorIsNS0_10empty_typeEEEZNS1_10merge_implIS3_N6thrust23THRUST_200600_302600_NS6detail15normal_iteratorINS9_10device_ptrIKsEEEESF_NS9_16discard_iteratorINS9_11use_defaultEEEPS5_SJ_SJ_NS9_4lessIsEEEE10hipError_tPvRmT0_T1_T2_T3_T4_T5_mmT6_P12ihipStream_tbEUlT_E_NS1_11comp_targetILNS1_3genE10ELNS1_11target_archE1201ELNS1_3gpuE5ELNS1_3repE0EEENS1_30default_config_static_selectorELNS0_4arch9wavefront6targetE1EEEvSQ_.kd
    .uniform_work_group_size: 1
    .uses_dynamic_stack: false
    .vgpr_count:     0
    .vgpr_spill_count: 0
    .wavefront_size: 64
  - .agpr_count:     0
    .args:
      - .offset:         0
        .size:           48
        .value_kind:     by_value
    .group_segment_fixed_size: 0
    .kernarg_segment_align: 8
    .kernarg_segment_size: 48
    .language:       OpenCL C
    .language_version:
      - 2
      - 0
    .max_flat_workgroup_size: 512
    .name:           _ZN7rocprim17ROCPRIM_400000_NS6detail17trampoline_kernelINS0_14default_configENS1_21merge_config_selectorIsNS0_10empty_typeEEEZNS1_10merge_implIS3_N6thrust23THRUST_200600_302600_NS6detail15normal_iteratorINS9_10device_ptrIKsEEEESF_NS9_16discard_iteratorINS9_11use_defaultEEEPS5_SJ_SJ_NS9_4lessIsEEEE10hipError_tPvRmT0_T1_T2_T3_T4_T5_mmT6_P12ihipStream_tbEUlT_E_NS1_11comp_targetILNS1_3genE10ELNS1_11target_archE1200ELNS1_3gpuE4ELNS1_3repE0EEENS1_30default_config_static_selectorELNS0_4arch9wavefront6targetE1EEEvSQ_
    .private_segment_fixed_size: 0
    .sgpr_count:     4
    .sgpr_spill_count: 0
    .symbol:         _ZN7rocprim17ROCPRIM_400000_NS6detail17trampoline_kernelINS0_14default_configENS1_21merge_config_selectorIsNS0_10empty_typeEEEZNS1_10merge_implIS3_N6thrust23THRUST_200600_302600_NS6detail15normal_iteratorINS9_10device_ptrIKsEEEESF_NS9_16discard_iteratorINS9_11use_defaultEEEPS5_SJ_SJ_NS9_4lessIsEEEE10hipError_tPvRmT0_T1_T2_T3_T4_T5_mmT6_P12ihipStream_tbEUlT_E_NS1_11comp_targetILNS1_3genE10ELNS1_11target_archE1200ELNS1_3gpuE4ELNS1_3repE0EEENS1_30default_config_static_selectorELNS0_4arch9wavefront6targetE1EEEvSQ_.kd
    .uniform_work_group_size: 1
    .uses_dynamic_stack: false
    .vgpr_count:     0
    .vgpr_spill_count: 0
    .wavefront_size: 64
  - .agpr_count:     0
    .args:
      - .offset:         0
        .size:           48
        .value_kind:     by_value
    .group_segment_fixed_size: 0
    .kernarg_segment_align: 8
    .kernarg_segment_size: 48
    .language:       OpenCL C
    .language_version:
      - 2
      - 0
    .max_flat_workgroup_size: 512
    .name:           _ZN7rocprim17ROCPRIM_400000_NS6detail17trampoline_kernelINS0_14default_configENS1_21merge_config_selectorIsNS0_10empty_typeEEEZNS1_10merge_implIS3_N6thrust23THRUST_200600_302600_NS6detail15normal_iteratorINS9_10device_ptrIKsEEEESF_NS9_16discard_iteratorINS9_11use_defaultEEEPS5_SJ_SJ_NS9_4lessIsEEEE10hipError_tPvRmT0_T1_T2_T3_T4_T5_mmT6_P12ihipStream_tbEUlT_E_NS1_11comp_targetILNS1_3genE9ELNS1_11target_archE1100ELNS1_3gpuE3ELNS1_3repE0EEENS1_30default_config_static_selectorELNS0_4arch9wavefront6targetE1EEEvSQ_
    .private_segment_fixed_size: 0
    .sgpr_count:     4
    .sgpr_spill_count: 0
    .symbol:         _ZN7rocprim17ROCPRIM_400000_NS6detail17trampoline_kernelINS0_14default_configENS1_21merge_config_selectorIsNS0_10empty_typeEEEZNS1_10merge_implIS3_N6thrust23THRUST_200600_302600_NS6detail15normal_iteratorINS9_10device_ptrIKsEEEESF_NS9_16discard_iteratorINS9_11use_defaultEEEPS5_SJ_SJ_NS9_4lessIsEEEE10hipError_tPvRmT0_T1_T2_T3_T4_T5_mmT6_P12ihipStream_tbEUlT_E_NS1_11comp_targetILNS1_3genE9ELNS1_11target_archE1100ELNS1_3gpuE3ELNS1_3repE0EEENS1_30default_config_static_selectorELNS0_4arch9wavefront6targetE1EEEvSQ_.kd
    .uniform_work_group_size: 1
    .uses_dynamic_stack: false
    .vgpr_count:     0
    .vgpr_spill_count: 0
    .wavefront_size: 64
  - .agpr_count:     0
    .args:
      - .offset:         0
        .size:           48
        .value_kind:     by_value
    .group_segment_fixed_size: 0
    .kernarg_segment_align: 8
    .kernarg_segment_size: 48
    .language:       OpenCL C
    .language_version:
      - 2
      - 0
    .max_flat_workgroup_size: 256
    .name:           _ZN7rocprim17ROCPRIM_400000_NS6detail17trampoline_kernelINS0_14default_configENS1_21merge_config_selectorIsNS0_10empty_typeEEEZNS1_10merge_implIS3_N6thrust23THRUST_200600_302600_NS6detail15normal_iteratorINS9_10device_ptrIKsEEEESF_NS9_16discard_iteratorINS9_11use_defaultEEEPS5_SJ_SJ_NS9_4lessIsEEEE10hipError_tPvRmT0_T1_T2_T3_T4_T5_mmT6_P12ihipStream_tbEUlT_E_NS1_11comp_targetILNS1_3genE8ELNS1_11target_archE1030ELNS1_3gpuE2ELNS1_3repE0EEENS1_30default_config_static_selectorELNS0_4arch9wavefront6targetE1EEEvSQ_
    .private_segment_fixed_size: 0
    .sgpr_count:     4
    .sgpr_spill_count: 0
    .symbol:         _ZN7rocprim17ROCPRIM_400000_NS6detail17trampoline_kernelINS0_14default_configENS1_21merge_config_selectorIsNS0_10empty_typeEEEZNS1_10merge_implIS3_N6thrust23THRUST_200600_302600_NS6detail15normal_iteratorINS9_10device_ptrIKsEEEESF_NS9_16discard_iteratorINS9_11use_defaultEEEPS5_SJ_SJ_NS9_4lessIsEEEE10hipError_tPvRmT0_T1_T2_T3_T4_T5_mmT6_P12ihipStream_tbEUlT_E_NS1_11comp_targetILNS1_3genE8ELNS1_11target_archE1030ELNS1_3gpuE2ELNS1_3repE0EEENS1_30default_config_static_selectorELNS0_4arch9wavefront6targetE1EEEvSQ_.kd
    .uniform_work_group_size: 1
    .uses_dynamic_stack: false
    .vgpr_count:     0
    .vgpr_spill_count: 0
    .wavefront_size: 64
  - .agpr_count:     0
    .args:
      - .offset:         0
        .size:           96
        .value_kind:     by_value
    .group_segment_fixed_size: 0
    .kernarg_segment_align: 8
    .kernarg_segment_size: 96
    .language:       OpenCL C
    .language_version:
      - 2
      - 0
    .max_flat_workgroup_size: 512
    .name:           _ZN7rocprim17ROCPRIM_400000_NS6detail17trampoline_kernelINS0_14default_configENS1_21merge_config_selectorIsNS0_10empty_typeEEEZNS1_10merge_implIS3_N6thrust23THRUST_200600_302600_NS6detail15normal_iteratorINS9_10device_ptrIKsEEEESF_NS9_16discard_iteratorINS9_11use_defaultEEEPS5_SJ_SJ_NS9_4lessIsEEEE10hipError_tPvRmT0_T1_T2_T3_T4_T5_mmT6_P12ihipStream_tbEUlT_E0_NS1_11comp_targetILNS1_3genE0ELNS1_11target_archE4294967295ELNS1_3gpuE0ELNS1_3repE0EEENS1_30default_config_static_selectorELNS0_4arch9wavefront6targetE1EEEvSQ_
    .private_segment_fixed_size: 0
    .sgpr_count:     4
    .sgpr_spill_count: 0
    .symbol:         _ZN7rocprim17ROCPRIM_400000_NS6detail17trampoline_kernelINS0_14default_configENS1_21merge_config_selectorIsNS0_10empty_typeEEEZNS1_10merge_implIS3_N6thrust23THRUST_200600_302600_NS6detail15normal_iteratorINS9_10device_ptrIKsEEEESF_NS9_16discard_iteratorINS9_11use_defaultEEEPS5_SJ_SJ_NS9_4lessIsEEEE10hipError_tPvRmT0_T1_T2_T3_T4_T5_mmT6_P12ihipStream_tbEUlT_E0_NS1_11comp_targetILNS1_3genE0ELNS1_11target_archE4294967295ELNS1_3gpuE0ELNS1_3repE0EEENS1_30default_config_static_selectorELNS0_4arch9wavefront6targetE1EEEvSQ_.kd
    .uniform_work_group_size: 1
    .uses_dynamic_stack: false
    .vgpr_count:     0
    .vgpr_spill_count: 0
    .wavefront_size: 64
  - .agpr_count:     0
    .args:
      - .offset:         0
        .size:           96
        .value_kind:     by_value
    .group_segment_fixed_size: 0
    .kernarg_segment_align: 8
    .kernarg_segment_size: 96
    .language:       OpenCL C
    .language_version:
      - 2
      - 0
    .max_flat_workgroup_size: 256
    .name:           _ZN7rocprim17ROCPRIM_400000_NS6detail17trampoline_kernelINS0_14default_configENS1_21merge_config_selectorIsNS0_10empty_typeEEEZNS1_10merge_implIS3_N6thrust23THRUST_200600_302600_NS6detail15normal_iteratorINS9_10device_ptrIKsEEEESF_NS9_16discard_iteratorINS9_11use_defaultEEEPS5_SJ_SJ_NS9_4lessIsEEEE10hipError_tPvRmT0_T1_T2_T3_T4_T5_mmT6_P12ihipStream_tbEUlT_E0_NS1_11comp_targetILNS1_3genE5ELNS1_11target_archE942ELNS1_3gpuE9ELNS1_3repE0EEENS1_30default_config_static_selectorELNS0_4arch9wavefront6targetE1EEEvSQ_
    .private_segment_fixed_size: 0
    .sgpr_count:     4
    .sgpr_spill_count: 0
    .symbol:         _ZN7rocprim17ROCPRIM_400000_NS6detail17trampoline_kernelINS0_14default_configENS1_21merge_config_selectorIsNS0_10empty_typeEEEZNS1_10merge_implIS3_N6thrust23THRUST_200600_302600_NS6detail15normal_iteratorINS9_10device_ptrIKsEEEESF_NS9_16discard_iteratorINS9_11use_defaultEEEPS5_SJ_SJ_NS9_4lessIsEEEE10hipError_tPvRmT0_T1_T2_T3_T4_T5_mmT6_P12ihipStream_tbEUlT_E0_NS1_11comp_targetILNS1_3genE5ELNS1_11target_archE942ELNS1_3gpuE9ELNS1_3repE0EEENS1_30default_config_static_selectorELNS0_4arch9wavefront6targetE1EEEvSQ_.kd
    .uniform_work_group_size: 1
    .uses_dynamic_stack: false
    .vgpr_count:     0
    .vgpr_spill_count: 0
    .wavefront_size: 64
  - .agpr_count:     0
    .args:
      - .offset:         0
        .size:           96
        .value_kind:     by_value
    .group_segment_fixed_size: 8448
    .kernarg_segment_align: 8
    .kernarg_segment_size: 96
    .language:       OpenCL C
    .language_version:
      - 2
      - 0
    .max_flat_workgroup_size: 256
    .name:           _ZN7rocprim17ROCPRIM_400000_NS6detail17trampoline_kernelINS0_14default_configENS1_21merge_config_selectorIsNS0_10empty_typeEEEZNS1_10merge_implIS3_N6thrust23THRUST_200600_302600_NS6detail15normal_iteratorINS9_10device_ptrIKsEEEESF_NS9_16discard_iteratorINS9_11use_defaultEEEPS5_SJ_SJ_NS9_4lessIsEEEE10hipError_tPvRmT0_T1_T2_T3_T4_T5_mmT6_P12ihipStream_tbEUlT_E0_NS1_11comp_targetILNS1_3genE4ELNS1_11target_archE910ELNS1_3gpuE8ELNS1_3repE0EEENS1_30default_config_static_selectorELNS0_4arch9wavefront6targetE1EEEvSQ_
    .private_segment_fixed_size: 0
    .sgpr_count:     36
    .sgpr_spill_count: 0
    .symbol:         _ZN7rocprim17ROCPRIM_400000_NS6detail17trampoline_kernelINS0_14default_configENS1_21merge_config_selectorIsNS0_10empty_typeEEEZNS1_10merge_implIS3_N6thrust23THRUST_200600_302600_NS6detail15normal_iteratorINS9_10device_ptrIKsEEEESF_NS9_16discard_iteratorINS9_11use_defaultEEEPS5_SJ_SJ_NS9_4lessIsEEEE10hipError_tPvRmT0_T1_T2_T3_T4_T5_mmT6_P12ihipStream_tbEUlT_E0_NS1_11comp_targetILNS1_3genE4ELNS1_11target_archE910ELNS1_3gpuE8ELNS1_3repE0EEENS1_30default_config_static_selectorELNS0_4arch9wavefront6targetE1EEEvSQ_.kd
    .uniform_work_group_size: 1
    .uses_dynamic_stack: false
    .vgpr_count:     32
    .vgpr_spill_count: 0
    .wavefront_size: 64
  - .agpr_count:     0
    .args:
      - .offset:         0
        .size:           96
        .value_kind:     by_value
    .group_segment_fixed_size: 0
    .kernarg_segment_align: 8
    .kernarg_segment_size: 96
    .language:       OpenCL C
    .language_version:
      - 2
      - 0
    .max_flat_workgroup_size: 512
    .name:           _ZN7rocprim17ROCPRIM_400000_NS6detail17trampoline_kernelINS0_14default_configENS1_21merge_config_selectorIsNS0_10empty_typeEEEZNS1_10merge_implIS3_N6thrust23THRUST_200600_302600_NS6detail15normal_iteratorINS9_10device_ptrIKsEEEESF_NS9_16discard_iteratorINS9_11use_defaultEEEPS5_SJ_SJ_NS9_4lessIsEEEE10hipError_tPvRmT0_T1_T2_T3_T4_T5_mmT6_P12ihipStream_tbEUlT_E0_NS1_11comp_targetILNS1_3genE3ELNS1_11target_archE908ELNS1_3gpuE7ELNS1_3repE0EEENS1_30default_config_static_selectorELNS0_4arch9wavefront6targetE1EEEvSQ_
    .private_segment_fixed_size: 0
    .sgpr_count:     4
    .sgpr_spill_count: 0
    .symbol:         _ZN7rocprim17ROCPRIM_400000_NS6detail17trampoline_kernelINS0_14default_configENS1_21merge_config_selectorIsNS0_10empty_typeEEEZNS1_10merge_implIS3_N6thrust23THRUST_200600_302600_NS6detail15normal_iteratorINS9_10device_ptrIKsEEEESF_NS9_16discard_iteratorINS9_11use_defaultEEEPS5_SJ_SJ_NS9_4lessIsEEEE10hipError_tPvRmT0_T1_T2_T3_T4_T5_mmT6_P12ihipStream_tbEUlT_E0_NS1_11comp_targetILNS1_3genE3ELNS1_11target_archE908ELNS1_3gpuE7ELNS1_3repE0EEENS1_30default_config_static_selectorELNS0_4arch9wavefront6targetE1EEEvSQ_.kd
    .uniform_work_group_size: 1
    .uses_dynamic_stack: false
    .vgpr_count:     0
    .vgpr_spill_count: 0
    .wavefront_size: 64
  - .agpr_count:     0
    .args:
      - .offset:         0
        .size:           96
        .value_kind:     by_value
    .group_segment_fixed_size: 0
    .kernarg_segment_align: 8
    .kernarg_segment_size: 96
    .language:       OpenCL C
    .language_version:
      - 2
      - 0
    .max_flat_workgroup_size: 256
    .name:           _ZN7rocprim17ROCPRIM_400000_NS6detail17trampoline_kernelINS0_14default_configENS1_21merge_config_selectorIsNS0_10empty_typeEEEZNS1_10merge_implIS3_N6thrust23THRUST_200600_302600_NS6detail15normal_iteratorINS9_10device_ptrIKsEEEESF_NS9_16discard_iteratorINS9_11use_defaultEEEPS5_SJ_SJ_NS9_4lessIsEEEE10hipError_tPvRmT0_T1_T2_T3_T4_T5_mmT6_P12ihipStream_tbEUlT_E0_NS1_11comp_targetILNS1_3genE2ELNS1_11target_archE906ELNS1_3gpuE6ELNS1_3repE0EEENS1_30default_config_static_selectorELNS0_4arch9wavefront6targetE1EEEvSQ_
    .private_segment_fixed_size: 0
    .sgpr_count:     4
    .sgpr_spill_count: 0
    .symbol:         _ZN7rocprim17ROCPRIM_400000_NS6detail17trampoline_kernelINS0_14default_configENS1_21merge_config_selectorIsNS0_10empty_typeEEEZNS1_10merge_implIS3_N6thrust23THRUST_200600_302600_NS6detail15normal_iteratorINS9_10device_ptrIKsEEEESF_NS9_16discard_iteratorINS9_11use_defaultEEEPS5_SJ_SJ_NS9_4lessIsEEEE10hipError_tPvRmT0_T1_T2_T3_T4_T5_mmT6_P12ihipStream_tbEUlT_E0_NS1_11comp_targetILNS1_3genE2ELNS1_11target_archE906ELNS1_3gpuE6ELNS1_3repE0EEENS1_30default_config_static_selectorELNS0_4arch9wavefront6targetE1EEEvSQ_.kd
    .uniform_work_group_size: 1
    .uses_dynamic_stack: false
    .vgpr_count:     0
    .vgpr_spill_count: 0
    .wavefront_size: 64
  - .agpr_count:     0
    .args:
      - .offset:         0
        .size:           96
        .value_kind:     by_value
    .group_segment_fixed_size: 0
    .kernarg_segment_align: 8
    .kernarg_segment_size: 96
    .language:       OpenCL C
    .language_version:
      - 2
      - 0
    .max_flat_workgroup_size: 512
    .name:           _ZN7rocprim17ROCPRIM_400000_NS6detail17trampoline_kernelINS0_14default_configENS1_21merge_config_selectorIsNS0_10empty_typeEEEZNS1_10merge_implIS3_N6thrust23THRUST_200600_302600_NS6detail15normal_iteratorINS9_10device_ptrIKsEEEESF_NS9_16discard_iteratorINS9_11use_defaultEEEPS5_SJ_SJ_NS9_4lessIsEEEE10hipError_tPvRmT0_T1_T2_T3_T4_T5_mmT6_P12ihipStream_tbEUlT_E0_NS1_11comp_targetILNS1_3genE10ELNS1_11target_archE1201ELNS1_3gpuE5ELNS1_3repE0EEENS1_30default_config_static_selectorELNS0_4arch9wavefront6targetE1EEEvSQ_
    .private_segment_fixed_size: 0
    .sgpr_count:     4
    .sgpr_spill_count: 0
    .symbol:         _ZN7rocprim17ROCPRIM_400000_NS6detail17trampoline_kernelINS0_14default_configENS1_21merge_config_selectorIsNS0_10empty_typeEEEZNS1_10merge_implIS3_N6thrust23THRUST_200600_302600_NS6detail15normal_iteratorINS9_10device_ptrIKsEEEESF_NS9_16discard_iteratorINS9_11use_defaultEEEPS5_SJ_SJ_NS9_4lessIsEEEE10hipError_tPvRmT0_T1_T2_T3_T4_T5_mmT6_P12ihipStream_tbEUlT_E0_NS1_11comp_targetILNS1_3genE10ELNS1_11target_archE1201ELNS1_3gpuE5ELNS1_3repE0EEENS1_30default_config_static_selectorELNS0_4arch9wavefront6targetE1EEEvSQ_.kd
    .uniform_work_group_size: 1
    .uses_dynamic_stack: false
    .vgpr_count:     0
    .vgpr_spill_count: 0
    .wavefront_size: 64
  - .agpr_count:     0
    .args:
      - .offset:         0
        .size:           96
        .value_kind:     by_value
    .group_segment_fixed_size: 0
    .kernarg_segment_align: 8
    .kernarg_segment_size: 96
    .language:       OpenCL C
    .language_version:
      - 2
      - 0
    .max_flat_workgroup_size: 512
    .name:           _ZN7rocprim17ROCPRIM_400000_NS6detail17trampoline_kernelINS0_14default_configENS1_21merge_config_selectorIsNS0_10empty_typeEEEZNS1_10merge_implIS3_N6thrust23THRUST_200600_302600_NS6detail15normal_iteratorINS9_10device_ptrIKsEEEESF_NS9_16discard_iteratorINS9_11use_defaultEEEPS5_SJ_SJ_NS9_4lessIsEEEE10hipError_tPvRmT0_T1_T2_T3_T4_T5_mmT6_P12ihipStream_tbEUlT_E0_NS1_11comp_targetILNS1_3genE10ELNS1_11target_archE1200ELNS1_3gpuE4ELNS1_3repE0EEENS1_30default_config_static_selectorELNS0_4arch9wavefront6targetE1EEEvSQ_
    .private_segment_fixed_size: 0
    .sgpr_count:     4
    .sgpr_spill_count: 0
    .symbol:         _ZN7rocprim17ROCPRIM_400000_NS6detail17trampoline_kernelINS0_14default_configENS1_21merge_config_selectorIsNS0_10empty_typeEEEZNS1_10merge_implIS3_N6thrust23THRUST_200600_302600_NS6detail15normal_iteratorINS9_10device_ptrIKsEEEESF_NS9_16discard_iteratorINS9_11use_defaultEEEPS5_SJ_SJ_NS9_4lessIsEEEE10hipError_tPvRmT0_T1_T2_T3_T4_T5_mmT6_P12ihipStream_tbEUlT_E0_NS1_11comp_targetILNS1_3genE10ELNS1_11target_archE1200ELNS1_3gpuE4ELNS1_3repE0EEENS1_30default_config_static_selectorELNS0_4arch9wavefront6targetE1EEEvSQ_.kd
    .uniform_work_group_size: 1
    .uses_dynamic_stack: false
    .vgpr_count:     0
    .vgpr_spill_count: 0
    .wavefront_size: 64
  - .agpr_count:     0
    .args:
      - .offset:         0
        .size:           96
        .value_kind:     by_value
    .group_segment_fixed_size: 0
    .kernarg_segment_align: 8
    .kernarg_segment_size: 96
    .language:       OpenCL C
    .language_version:
      - 2
      - 0
    .max_flat_workgroup_size: 512
    .name:           _ZN7rocprim17ROCPRIM_400000_NS6detail17trampoline_kernelINS0_14default_configENS1_21merge_config_selectorIsNS0_10empty_typeEEEZNS1_10merge_implIS3_N6thrust23THRUST_200600_302600_NS6detail15normal_iteratorINS9_10device_ptrIKsEEEESF_NS9_16discard_iteratorINS9_11use_defaultEEEPS5_SJ_SJ_NS9_4lessIsEEEE10hipError_tPvRmT0_T1_T2_T3_T4_T5_mmT6_P12ihipStream_tbEUlT_E0_NS1_11comp_targetILNS1_3genE9ELNS1_11target_archE1100ELNS1_3gpuE3ELNS1_3repE0EEENS1_30default_config_static_selectorELNS0_4arch9wavefront6targetE1EEEvSQ_
    .private_segment_fixed_size: 0
    .sgpr_count:     4
    .sgpr_spill_count: 0
    .symbol:         _ZN7rocprim17ROCPRIM_400000_NS6detail17trampoline_kernelINS0_14default_configENS1_21merge_config_selectorIsNS0_10empty_typeEEEZNS1_10merge_implIS3_N6thrust23THRUST_200600_302600_NS6detail15normal_iteratorINS9_10device_ptrIKsEEEESF_NS9_16discard_iteratorINS9_11use_defaultEEEPS5_SJ_SJ_NS9_4lessIsEEEE10hipError_tPvRmT0_T1_T2_T3_T4_T5_mmT6_P12ihipStream_tbEUlT_E0_NS1_11comp_targetILNS1_3genE9ELNS1_11target_archE1100ELNS1_3gpuE3ELNS1_3repE0EEENS1_30default_config_static_selectorELNS0_4arch9wavefront6targetE1EEEvSQ_.kd
    .uniform_work_group_size: 1
    .uses_dynamic_stack: false
    .vgpr_count:     0
    .vgpr_spill_count: 0
    .wavefront_size: 64
  - .agpr_count:     0
    .args:
      - .offset:         0
        .size:           96
        .value_kind:     by_value
    .group_segment_fixed_size: 0
    .kernarg_segment_align: 8
    .kernarg_segment_size: 96
    .language:       OpenCL C
    .language_version:
      - 2
      - 0
    .max_flat_workgroup_size: 256
    .name:           _ZN7rocprim17ROCPRIM_400000_NS6detail17trampoline_kernelINS0_14default_configENS1_21merge_config_selectorIsNS0_10empty_typeEEEZNS1_10merge_implIS3_N6thrust23THRUST_200600_302600_NS6detail15normal_iteratorINS9_10device_ptrIKsEEEESF_NS9_16discard_iteratorINS9_11use_defaultEEEPS5_SJ_SJ_NS9_4lessIsEEEE10hipError_tPvRmT0_T1_T2_T3_T4_T5_mmT6_P12ihipStream_tbEUlT_E0_NS1_11comp_targetILNS1_3genE8ELNS1_11target_archE1030ELNS1_3gpuE2ELNS1_3repE0EEENS1_30default_config_static_selectorELNS0_4arch9wavefront6targetE1EEEvSQ_
    .private_segment_fixed_size: 0
    .sgpr_count:     4
    .sgpr_spill_count: 0
    .symbol:         _ZN7rocprim17ROCPRIM_400000_NS6detail17trampoline_kernelINS0_14default_configENS1_21merge_config_selectorIsNS0_10empty_typeEEEZNS1_10merge_implIS3_N6thrust23THRUST_200600_302600_NS6detail15normal_iteratorINS9_10device_ptrIKsEEEESF_NS9_16discard_iteratorINS9_11use_defaultEEEPS5_SJ_SJ_NS9_4lessIsEEEE10hipError_tPvRmT0_T1_T2_T3_T4_T5_mmT6_P12ihipStream_tbEUlT_E0_NS1_11comp_targetILNS1_3genE8ELNS1_11target_archE1030ELNS1_3gpuE2ELNS1_3repE0EEENS1_30default_config_static_selectorELNS0_4arch9wavefront6targetE1EEEvSQ_.kd
    .uniform_work_group_size: 1
    .uses_dynamic_stack: false
    .vgpr_count:     0
    .vgpr_spill_count: 0
    .wavefront_size: 64
  - .agpr_count:     0
    .args:
      - .offset:         0
        .size:           48
        .value_kind:     by_value
    .group_segment_fixed_size: 0
    .kernarg_segment_align: 8
    .kernarg_segment_size: 48
    .language:       OpenCL C
    .language_version:
      - 2
      - 0
    .max_flat_workgroup_size: 256
    .name:           _ZN7rocprim17ROCPRIM_400000_NS6detail17trampoline_kernelINS0_14default_configENS1_21merge_config_selectorIdNS0_10empty_typeEEEZNS1_10merge_implIS3_N6thrust23THRUST_200600_302600_NS6detail15normal_iteratorINS9_10device_ptrIKdEEEESF_NSB_INSC_IdEEEEPS5_SI_SI_NS9_7greaterIdEEEE10hipError_tPvRmT0_T1_T2_T3_T4_T5_mmT6_P12ihipStream_tbEUlT_E_NS1_11comp_targetILNS1_3genE0ELNS1_11target_archE4294967295ELNS1_3gpuE0ELNS1_3repE0EEENS1_30default_config_static_selectorELNS0_4arch9wavefront6targetE1EEEvSP_
    .private_segment_fixed_size: 0
    .sgpr_count:     4
    .sgpr_spill_count: 0
    .symbol:         _ZN7rocprim17ROCPRIM_400000_NS6detail17trampoline_kernelINS0_14default_configENS1_21merge_config_selectorIdNS0_10empty_typeEEEZNS1_10merge_implIS3_N6thrust23THRUST_200600_302600_NS6detail15normal_iteratorINS9_10device_ptrIKdEEEESF_NSB_INSC_IdEEEEPS5_SI_SI_NS9_7greaterIdEEEE10hipError_tPvRmT0_T1_T2_T3_T4_T5_mmT6_P12ihipStream_tbEUlT_E_NS1_11comp_targetILNS1_3genE0ELNS1_11target_archE4294967295ELNS1_3gpuE0ELNS1_3repE0EEENS1_30default_config_static_selectorELNS0_4arch9wavefront6targetE1EEEvSP_.kd
    .uniform_work_group_size: 1
    .uses_dynamic_stack: false
    .vgpr_count:     0
    .vgpr_spill_count: 0
    .wavefront_size: 64
  - .agpr_count:     0
    .args:
      - .offset:         0
        .size:           48
        .value_kind:     by_value
    .group_segment_fixed_size: 0
    .kernarg_segment_align: 8
    .kernarg_segment_size: 48
    .language:       OpenCL C
    .language_version:
      - 2
      - 0
    .max_flat_workgroup_size: 256
    .name:           _ZN7rocprim17ROCPRIM_400000_NS6detail17trampoline_kernelINS0_14default_configENS1_21merge_config_selectorIdNS0_10empty_typeEEEZNS1_10merge_implIS3_N6thrust23THRUST_200600_302600_NS6detail15normal_iteratorINS9_10device_ptrIKdEEEESF_NSB_INSC_IdEEEEPS5_SI_SI_NS9_7greaterIdEEEE10hipError_tPvRmT0_T1_T2_T3_T4_T5_mmT6_P12ihipStream_tbEUlT_E_NS1_11comp_targetILNS1_3genE5ELNS1_11target_archE942ELNS1_3gpuE9ELNS1_3repE0EEENS1_30default_config_static_selectorELNS0_4arch9wavefront6targetE1EEEvSP_
    .private_segment_fixed_size: 0
    .sgpr_count:     4
    .sgpr_spill_count: 0
    .symbol:         _ZN7rocprim17ROCPRIM_400000_NS6detail17trampoline_kernelINS0_14default_configENS1_21merge_config_selectorIdNS0_10empty_typeEEEZNS1_10merge_implIS3_N6thrust23THRUST_200600_302600_NS6detail15normal_iteratorINS9_10device_ptrIKdEEEESF_NSB_INSC_IdEEEEPS5_SI_SI_NS9_7greaterIdEEEE10hipError_tPvRmT0_T1_T2_T3_T4_T5_mmT6_P12ihipStream_tbEUlT_E_NS1_11comp_targetILNS1_3genE5ELNS1_11target_archE942ELNS1_3gpuE9ELNS1_3repE0EEENS1_30default_config_static_selectorELNS0_4arch9wavefront6targetE1EEEvSP_.kd
    .uniform_work_group_size: 1
    .uses_dynamic_stack: false
    .vgpr_count:     0
    .vgpr_spill_count: 0
    .wavefront_size: 64
  - .agpr_count:     0
    .args:
      - .offset:         0
        .size:           48
        .value_kind:     by_value
      - .offset:         48
        .size:           4
        .value_kind:     hidden_block_count_x
      - .offset:         52
        .size:           4
        .value_kind:     hidden_block_count_y
      - .offset:         56
        .size:           4
        .value_kind:     hidden_block_count_z
      - .offset:         60
        .size:           2
        .value_kind:     hidden_group_size_x
      - .offset:         62
        .size:           2
        .value_kind:     hidden_group_size_y
      - .offset:         64
        .size:           2
        .value_kind:     hidden_group_size_z
      - .offset:         66
        .size:           2
        .value_kind:     hidden_remainder_x
      - .offset:         68
        .size:           2
        .value_kind:     hidden_remainder_y
      - .offset:         70
        .size:           2
        .value_kind:     hidden_remainder_z
      - .offset:         88
        .size:           8
        .value_kind:     hidden_global_offset_x
      - .offset:         96
        .size:           8
        .value_kind:     hidden_global_offset_y
      - .offset:         104
        .size:           8
        .value_kind:     hidden_global_offset_z
      - .offset:         112
        .size:           2
        .value_kind:     hidden_grid_dims
    .group_segment_fixed_size: 0
    .kernarg_segment_align: 8
    .kernarg_segment_size: 304
    .language:       OpenCL C
    .language_version:
      - 2
      - 0
    .max_flat_workgroup_size: 256
    .name:           _ZN7rocprim17ROCPRIM_400000_NS6detail17trampoline_kernelINS0_14default_configENS1_21merge_config_selectorIdNS0_10empty_typeEEEZNS1_10merge_implIS3_N6thrust23THRUST_200600_302600_NS6detail15normal_iteratorINS9_10device_ptrIKdEEEESF_NSB_INSC_IdEEEEPS5_SI_SI_NS9_7greaterIdEEEE10hipError_tPvRmT0_T1_T2_T3_T4_T5_mmT6_P12ihipStream_tbEUlT_E_NS1_11comp_targetILNS1_3genE4ELNS1_11target_archE910ELNS1_3gpuE8ELNS1_3repE0EEENS1_30default_config_static_selectorELNS0_4arch9wavefront6targetE1EEEvSP_
    .private_segment_fixed_size: 0
    .sgpr_count:     18
    .sgpr_spill_count: 0
    .symbol:         _ZN7rocprim17ROCPRIM_400000_NS6detail17trampoline_kernelINS0_14default_configENS1_21merge_config_selectorIdNS0_10empty_typeEEEZNS1_10merge_implIS3_N6thrust23THRUST_200600_302600_NS6detail15normal_iteratorINS9_10device_ptrIKdEEEESF_NSB_INSC_IdEEEEPS5_SI_SI_NS9_7greaterIdEEEE10hipError_tPvRmT0_T1_T2_T3_T4_T5_mmT6_P12ihipStream_tbEUlT_E_NS1_11comp_targetILNS1_3genE4ELNS1_11target_archE910ELNS1_3gpuE8ELNS1_3repE0EEENS1_30default_config_static_selectorELNS0_4arch9wavefront6targetE1EEEvSP_.kd
    .uniform_work_group_size: 1
    .uses_dynamic_stack: false
    .vgpr_count:     16
    .vgpr_spill_count: 0
    .wavefront_size: 64
  - .agpr_count:     0
    .args:
      - .offset:         0
        .size:           48
        .value_kind:     by_value
    .group_segment_fixed_size: 0
    .kernarg_segment_align: 8
    .kernarg_segment_size: 48
    .language:       OpenCL C
    .language_version:
      - 2
      - 0
    .max_flat_workgroup_size: 256
    .name:           _ZN7rocprim17ROCPRIM_400000_NS6detail17trampoline_kernelINS0_14default_configENS1_21merge_config_selectorIdNS0_10empty_typeEEEZNS1_10merge_implIS3_N6thrust23THRUST_200600_302600_NS6detail15normal_iteratorINS9_10device_ptrIKdEEEESF_NSB_INSC_IdEEEEPS5_SI_SI_NS9_7greaterIdEEEE10hipError_tPvRmT0_T1_T2_T3_T4_T5_mmT6_P12ihipStream_tbEUlT_E_NS1_11comp_targetILNS1_3genE3ELNS1_11target_archE908ELNS1_3gpuE7ELNS1_3repE0EEENS1_30default_config_static_selectorELNS0_4arch9wavefront6targetE1EEEvSP_
    .private_segment_fixed_size: 0
    .sgpr_count:     4
    .sgpr_spill_count: 0
    .symbol:         _ZN7rocprim17ROCPRIM_400000_NS6detail17trampoline_kernelINS0_14default_configENS1_21merge_config_selectorIdNS0_10empty_typeEEEZNS1_10merge_implIS3_N6thrust23THRUST_200600_302600_NS6detail15normal_iteratorINS9_10device_ptrIKdEEEESF_NSB_INSC_IdEEEEPS5_SI_SI_NS9_7greaterIdEEEE10hipError_tPvRmT0_T1_T2_T3_T4_T5_mmT6_P12ihipStream_tbEUlT_E_NS1_11comp_targetILNS1_3genE3ELNS1_11target_archE908ELNS1_3gpuE7ELNS1_3repE0EEENS1_30default_config_static_selectorELNS0_4arch9wavefront6targetE1EEEvSP_.kd
    .uniform_work_group_size: 1
    .uses_dynamic_stack: false
    .vgpr_count:     0
    .vgpr_spill_count: 0
    .wavefront_size: 64
  - .agpr_count:     0
    .args:
      - .offset:         0
        .size:           48
        .value_kind:     by_value
    .group_segment_fixed_size: 0
    .kernarg_segment_align: 8
    .kernarg_segment_size: 48
    .language:       OpenCL C
    .language_version:
      - 2
      - 0
    .max_flat_workgroup_size: 256
    .name:           _ZN7rocprim17ROCPRIM_400000_NS6detail17trampoline_kernelINS0_14default_configENS1_21merge_config_selectorIdNS0_10empty_typeEEEZNS1_10merge_implIS3_N6thrust23THRUST_200600_302600_NS6detail15normal_iteratorINS9_10device_ptrIKdEEEESF_NSB_INSC_IdEEEEPS5_SI_SI_NS9_7greaterIdEEEE10hipError_tPvRmT0_T1_T2_T3_T4_T5_mmT6_P12ihipStream_tbEUlT_E_NS1_11comp_targetILNS1_3genE2ELNS1_11target_archE906ELNS1_3gpuE6ELNS1_3repE0EEENS1_30default_config_static_selectorELNS0_4arch9wavefront6targetE1EEEvSP_
    .private_segment_fixed_size: 0
    .sgpr_count:     4
    .sgpr_spill_count: 0
    .symbol:         _ZN7rocprim17ROCPRIM_400000_NS6detail17trampoline_kernelINS0_14default_configENS1_21merge_config_selectorIdNS0_10empty_typeEEEZNS1_10merge_implIS3_N6thrust23THRUST_200600_302600_NS6detail15normal_iteratorINS9_10device_ptrIKdEEEESF_NSB_INSC_IdEEEEPS5_SI_SI_NS9_7greaterIdEEEE10hipError_tPvRmT0_T1_T2_T3_T4_T5_mmT6_P12ihipStream_tbEUlT_E_NS1_11comp_targetILNS1_3genE2ELNS1_11target_archE906ELNS1_3gpuE6ELNS1_3repE0EEENS1_30default_config_static_selectorELNS0_4arch9wavefront6targetE1EEEvSP_.kd
    .uniform_work_group_size: 1
    .uses_dynamic_stack: false
    .vgpr_count:     0
    .vgpr_spill_count: 0
    .wavefront_size: 64
  - .agpr_count:     0
    .args:
      - .offset:         0
        .size:           48
        .value_kind:     by_value
    .group_segment_fixed_size: 0
    .kernarg_segment_align: 8
    .kernarg_segment_size: 48
    .language:       OpenCL C
    .language_version:
      - 2
      - 0
    .max_flat_workgroup_size: 512
    .name:           _ZN7rocprim17ROCPRIM_400000_NS6detail17trampoline_kernelINS0_14default_configENS1_21merge_config_selectorIdNS0_10empty_typeEEEZNS1_10merge_implIS3_N6thrust23THRUST_200600_302600_NS6detail15normal_iteratorINS9_10device_ptrIKdEEEESF_NSB_INSC_IdEEEEPS5_SI_SI_NS9_7greaterIdEEEE10hipError_tPvRmT0_T1_T2_T3_T4_T5_mmT6_P12ihipStream_tbEUlT_E_NS1_11comp_targetILNS1_3genE10ELNS1_11target_archE1201ELNS1_3gpuE5ELNS1_3repE0EEENS1_30default_config_static_selectorELNS0_4arch9wavefront6targetE1EEEvSP_
    .private_segment_fixed_size: 0
    .sgpr_count:     4
    .sgpr_spill_count: 0
    .symbol:         _ZN7rocprim17ROCPRIM_400000_NS6detail17trampoline_kernelINS0_14default_configENS1_21merge_config_selectorIdNS0_10empty_typeEEEZNS1_10merge_implIS3_N6thrust23THRUST_200600_302600_NS6detail15normal_iteratorINS9_10device_ptrIKdEEEESF_NSB_INSC_IdEEEEPS5_SI_SI_NS9_7greaterIdEEEE10hipError_tPvRmT0_T1_T2_T3_T4_T5_mmT6_P12ihipStream_tbEUlT_E_NS1_11comp_targetILNS1_3genE10ELNS1_11target_archE1201ELNS1_3gpuE5ELNS1_3repE0EEENS1_30default_config_static_selectorELNS0_4arch9wavefront6targetE1EEEvSP_.kd
    .uniform_work_group_size: 1
    .uses_dynamic_stack: false
    .vgpr_count:     0
    .vgpr_spill_count: 0
    .wavefront_size: 64
  - .agpr_count:     0
    .args:
      - .offset:         0
        .size:           48
        .value_kind:     by_value
    .group_segment_fixed_size: 0
    .kernarg_segment_align: 8
    .kernarg_segment_size: 48
    .language:       OpenCL C
    .language_version:
      - 2
      - 0
    .max_flat_workgroup_size: 1024
    .name:           _ZN7rocprim17ROCPRIM_400000_NS6detail17trampoline_kernelINS0_14default_configENS1_21merge_config_selectorIdNS0_10empty_typeEEEZNS1_10merge_implIS3_N6thrust23THRUST_200600_302600_NS6detail15normal_iteratorINS9_10device_ptrIKdEEEESF_NSB_INSC_IdEEEEPS5_SI_SI_NS9_7greaterIdEEEE10hipError_tPvRmT0_T1_T2_T3_T4_T5_mmT6_P12ihipStream_tbEUlT_E_NS1_11comp_targetILNS1_3genE10ELNS1_11target_archE1200ELNS1_3gpuE4ELNS1_3repE0EEENS1_30default_config_static_selectorELNS0_4arch9wavefront6targetE1EEEvSP_
    .private_segment_fixed_size: 0
    .sgpr_count:     4
    .sgpr_spill_count: 0
    .symbol:         _ZN7rocprim17ROCPRIM_400000_NS6detail17trampoline_kernelINS0_14default_configENS1_21merge_config_selectorIdNS0_10empty_typeEEEZNS1_10merge_implIS3_N6thrust23THRUST_200600_302600_NS6detail15normal_iteratorINS9_10device_ptrIKdEEEESF_NSB_INSC_IdEEEEPS5_SI_SI_NS9_7greaterIdEEEE10hipError_tPvRmT0_T1_T2_T3_T4_T5_mmT6_P12ihipStream_tbEUlT_E_NS1_11comp_targetILNS1_3genE10ELNS1_11target_archE1200ELNS1_3gpuE4ELNS1_3repE0EEENS1_30default_config_static_selectorELNS0_4arch9wavefront6targetE1EEEvSP_.kd
    .uniform_work_group_size: 1
    .uses_dynamic_stack: false
    .vgpr_count:     0
    .vgpr_spill_count: 0
    .wavefront_size: 64
  - .agpr_count:     0
    .args:
      - .offset:         0
        .size:           48
        .value_kind:     by_value
    .group_segment_fixed_size: 0
    .kernarg_segment_align: 8
    .kernarg_segment_size: 48
    .language:       OpenCL C
    .language_version:
      - 2
      - 0
    .max_flat_workgroup_size: 1024
    .name:           _ZN7rocprim17ROCPRIM_400000_NS6detail17trampoline_kernelINS0_14default_configENS1_21merge_config_selectorIdNS0_10empty_typeEEEZNS1_10merge_implIS3_N6thrust23THRUST_200600_302600_NS6detail15normal_iteratorINS9_10device_ptrIKdEEEESF_NSB_INSC_IdEEEEPS5_SI_SI_NS9_7greaterIdEEEE10hipError_tPvRmT0_T1_T2_T3_T4_T5_mmT6_P12ihipStream_tbEUlT_E_NS1_11comp_targetILNS1_3genE9ELNS1_11target_archE1100ELNS1_3gpuE3ELNS1_3repE0EEENS1_30default_config_static_selectorELNS0_4arch9wavefront6targetE1EEEvSP_
    .private_segment_fixed_size: 0
    .sgpr_count:     4
    .sgpr_spill_count: 0
    .symbol:         _ZN7rocprim17ROCPRIM_400000_NS6detail17trampoline_kernelINS0_14default_configENS1_21merge_config_selectorIdNS0_10empty_typeEEEZNS1_10merge_implIS3_N6thrust23THRUST_200600_302600_NS6detail15normal_iteratorINS9_10device_ptrIKdEEEESF_NSB_INSC_IdEEEEPS5_SI_SI_NS9_7greaterIdEEEE10hipError_tPvRmT0_T1_T2_T3_T4_T5_mmT6_P12ihipStream_tbEUlT_E_NS1_11comp_targetILNS1_3genE9ELNS1_11target_archE1100ELNS1_3gpuE3ELNS1_3repE0EEENS1_30default_config_static_selectorELNS0_4arch9wavefront6targetE1EEEvSP_.kd
    .uniform_work_group_size: 1
    .uses_dynamic_stack: false
    .vgpr_count:     0
    .vgpr_spill_count: 0
    .wavefront_size: 64
  - .agpr_count:     0
    .args:
      - .offset:         0
        .size:           48
        .value_kind:     by_value
    .group_segment_fixed_size: 0
    .kernarg_segment_align: 8
    .kernarg_segment_size: 48
    .language:       OpenCL C
    .language_version:
      - 2
      - 0
    .max_flat_workgroup_size: 1024
    .name:           _ZN7rocprim17ROCPRIM_400000_NS6detail17trampoline_kernelINS0_14default_configENS1_21merge_config_selectorIdNS0_10empty_typeEEEZNS1_10merge_implIS3_N6thrust23THRUST_200600_302600_NS6detail15normal_iteratorINS9_10device_ptrIKdEEEESF_NSB_INSC_IdEEEEPS5_SI_SI_NS9_7greaterIdEEEE10hipError_tPvRmT0_T1_T2_T3_T4_T5_mmT6_P12ihipStream_tbEUlT_E_NS1_11comp_targetILNS1_3genE8ELNS1_11target_archE1030ELNS1_3gpuE2ELNS1_3repE0EEENS1_30default_config_static_selectorELNS0_4arch9wavefront6targetE1EEEvSP_
    .private_segment_fixed_size: 0
    .sgpr_count:     4
    .sgpr_spill_count: 0
    .symbol:         _ZN7rocprim17ROCPRIM_400000_NS6detail17trampoline_kernelINS0_14default_configENS1_21merge_config_selectorIdNS0_10empty_typeEEEZNS1_10merge_implIS3_N6thrust23THRUST_200600_302600_NS6detail15normal_iteratorINS9_10device_ptrIKdEEEESF_NSB_INSC_IdEEEEPS5_SI_SI_NS9_7greaterIdEEEE10hipError_tPvRmT0_T1_T2_T3_T4_T5_mmT6_P12ihipStream_tbEUlT_E_NS1_11comp_targetILNS1_3genE8ELNS1_11target_archE1030ELNS1_3gpuE2ELNS1_3repE0EEENS1_30default_config_static_selectorELNS0_4arch9wavefront6targetE1EEEvSP_.kd
    .uniform_work_group_size: 1
    .uses_dynamic_stack: false
    .vgpr_count:     0
    .vgpr_spill_count: 0
    .wavefront_size: 64
  - .agpr_count:     0
    .args:
      - .offset:         0
        .size:           88
        .value_kind:     by_value
    .group_segment_fixed_size: 0
    .kernarg_segment_align: 8
    .kernarg_segment_size: 88
    .language:       OpenCL C
    .language_version:
      - 2
      - 0
    .max_flat_workgroup_size: 256
    .name:           _ZN7rocprim17ROCPRIM_400000_NS6detail17trampoline_kernelINS0_14default_configENS1_21merge_config_selectorIdNS0_10empty_typeEEEZNS1_10merge_implIS3_N6thrust23THRUST_200600_302600_NS6detail15normal_iteratorINS9_10device_ptrIKdEEEESF_NSB_INSC_IdEEEEPS5_SI_SI_NS9_7greaterIdEEEE10hipError_tPvRmT0_T1_T2_T3_T4_T5_mmT6_P12ihipStream_tbEUlT_E0_NS1_11comp_targetILNS1_3genE0ELNS1_11target_archE4294967295ELNS1_3gpuE0ELNS1_3repE0EEENS1_30default_config_static_selectorELNS0_4arch9wavefront6targetE1EEEvSP_
    .private_segment_fixed_size: 0
    .sgpr_count:     4
    .sgpr_spill_count: 0
    .symbol:         _ZN7rocprim17ROCPRIM_400000_NS6detail17trampoline_kernelINS0_14default_configENS1_21merge_config_selectorIdNS0_10empty_typeEEEZNS1_10merge_implIS3_N6thrust23THRUST_200600_302600_NS6detail15normal_iteratorINS9_10device_ptrIKdEEEESF_NSB_INSC_IdEEEEPS5_SI_SI_NS9_7greaterIdEEEE10hipError_tPvRmT0_T1_T2_T3_T4_T5_mmT6_P12ihipStream_tbEUlT_E0_NS1_11comp_targetILNS1_3genE0ELNS1_11target_archE4294967295ELNS1_3gpuE0ELNS1_3repE0EEENS1_30default_config_static_selectorELNS0_4arch9wavefront6targetE1EEEvSP_.kd
    .uniform_work_group_size: 1
    .uses_dynamic_stack: false
    .vgpr_count:     0
    .vgpr_spill_count: 0
    .wavefront_size: 64
  - .agpr_count:     0
    .args:
      - .offset:         0
        .size:           88
        .value_kind:     by_value
    .group_segment_fixed_size: 0
    .kernarg_segment_align: 8
    .kernarg_segment_size: 88
    .language:       OpenCL C
    .language_version:
      - 2
      - 0
    .max_flat_workgroup_size: 256
    .name:           _ZN7rocprim17ROCPRIM_400000_NS6detail17trampoline_kernelINS0_14default_configENS1_21merge_config_selectorIdNS0_10empty_typeEEEZNS1_10merge_implIS3_N6thrust23THRUST_200600_302600_NS6detail15normal_iteratorINS9_10device_ptrIKdEEEESF_NSB_INSC_IdEEEEPS5_SI_SI_NS9_7greaterIdEEEE10hipError_tPvRmT0_T1_T2_T3_T4_T5_mmT6_P12ihipStream_tbEUlT_E0_NS1_11comp_targetILNS1_3genE5ELNS1_11target_archE942ELNS1_3gpuE9ELNS1_3repE0EEENS1_30default_config_static_selectorELNS0_4arch9wavefront6targetE1EEEvSP_
    .private_segment_fixed_size: 0
    .sgpr_count:     4
    .sgpr_spill_count: 0
    .symbol:         _ZN7rocprim17ROCPRIM_400000_NS6detail17trampoline_kernelINS0_14default_configENS1_21merge_config_selectorIdNS0_10empty_typeEEEZNS1_10merge_implIS3_N6thrust23THRUST_200600_302600_NS6detail15normal_iteratorINS9_10device_ptrIKdEEEESF_NSB_INSC_IdEEEEPS5_SI_SI_NS9_7greaterIdEEEE10hipError_tPvRmT0_T1_T2_T3_T4_T5_mmT6_P12ihipStream_tbEUlT_E0_NS1_11comp_targetILNS1_3genE5ELNS1_11target_archE942ELNS1_3gpuE9ELNS1_3repE0EEENS1_30default_config_static_selectorELNS0_4arch9wavefront6targetE1EEEvSP_.kd
    .uniform_work_group_size: 1
    .uses_dynamic_stack: false
    .vgpr_count:     0
    .vgpr_spill_count: 0
    .wavefront_size: 64
  - .agpr_count:     0
    .args:
      - .offset:         0
        .size:           88
        .value_kind:     by_value
    .group_segment_fixed_size: 8448
    .kernarg_segment_align: 8
    .kernarg_segment_size: 88
    .language:       OpenCL C
    .language_version:
      - 2
      - 0
    .max_flat_workgroup_size: 256
    .name:           _ZN7rocprim17ROCPRIM_400000_NS6detail17trampoline_kernelINS0_14default_configENS1_21merge_config_selectorIdNS0_10empty_typeEEEZNS1_10merge_implIS3_N6thrust23THRUST_200600_302600_NS6detail15normal_iteratorINS9_10device_ptrIKdEEEESF_NSB_INSC_IdEEEEPS5_SI_SI_NS9_7greaterIdEEEE10hipError_tPvRmT0_T1_T2_T3_T4_T5_mmT6_P12ihipStream_tbEUlT_E0_NS1_11comp_targetILNS1_3genE4ELNS1_11target_archE910ELNS1_3gpuE8ELNS1_3repE0EEENS1_30default_config_static_selectorELNS0_4arch9wavefront6targetE1EEEvSP_
    .private_segment_fixed_size: 0
    .sgpr_count:     22
    .sgpr_spill_count: 0
    .symbol:         _ZN7rocprim17ROCPRIM_400000_NS6detail17trampoline_kernelINS0_14default_configENS1_21merge_config_selectorIdNS0_10empty_typeEEEZNS1_10merge_implIS3_N6thrust23THRUST_200600_302600_NS6detail15normal_iteratorINS9_10device_ptrIKdEEEESF_NSB_INSC_IdEEEEPS5_SI_SI_NS9_7greaterIdEEEE10hipError_tPvRmT0_T1_T2_T3_T4_T5_mmT6_P12ihipStream_tbEUlT_E0_NS1_11comp_targetILNS1_3genE4ELNS1_11target_archE910ELNS1_3gpuE8ELNS1_3repE0EEENS1_30default_config_static_selectorELNS0_4arch9wavefront6targetE1EEEvSP_.kd
    .uniform_work_group_size: 1
    .uses_dynamic_stack: false
    .vgpr_count:     23
    .vgpr_spill_count: 0
    .wavefront_size: 64
  - .agpr_count:     0
    .args:
      - .offset:         0
        .size:           88
        .value_kind:     by_value
    .group_segment_fixed_size: 0
    .kernarg_segment_align: 8
    .kernarg_segment_size: 88
    .language:       OpenCL C
    .language_version:
      - 2
      - 0
    .max_flat_workgroup_size: 256
    .name:           _ZN7rocprim17ROCPRIM_400000_NS6detail17trampoline_kernelINS0_14default_configENS1_21merge_config_selectorIdNS0_10empty_typeEEEZNS1_10merge_implIS3_N6thrust23THRUST_200600_302600_NS6detail15normal_iteratorINS9_10device_ptrIKdEEEESF_NSB_INSC_IdEEEEPS5_SI_SI_NS9_7greaterIdEEEE10hipError_tPvRmT0_T1_T2_T3_T4_T5_mmT6_P12ihipStream_tbEUlT_E0_NS1_11comp_targetILNS1_3genE3ELNS1_11target_archE908ELNS1_3gpuE7ELNS1_3repE0EEENS1_30default_config_static_selectorELNS0_4arch9wavefront6targetE1EEEvSP_
    .private_segment_fixed_size: 0
    .sgpr_count:     4
    .sgpr_spill_count: 0
    .symbol:         _ZN7rocprim17ROCPRIM_400000_NS6detail17trampoline_kernelINS0_14default_configENS1_21merge_config_selectorIdNS0_10empty_typeEEEZNS1_10merge_implIS3_N6thrust23THRUST_200600_302600_NS6detail15normal_iteratorINS9_10device_ptrIKdEEEESF_NSB_INSC_IdEEEEPS5_SI_SI_NS9_7greaterIdEEEE10hipError_tPvRmT0_T1_T2_T3_T4_T5_mmT6_P12ihipStream_tbEUlT_E0_NS1_11comp_targetILNS1_3genE3ELNS1_11target_archE908ELNS1_3gpuE7ELNS1_3repE0EEENS1_30default_config_static_selectorELNS0_4arch9wavefront6targetE1EEEvSP_.kd
    .uniform_work_group_size: 1
    .uses_dynamic_stack: false
    .vgpr_count:     0
    .vgpr_spill_count: 0
    .wavefront_size: 64
  - .agpr_count:     0
    .args:
      - .offset:         0
        .size:           88
        .value_kind:     by_value
    .group_segment_fixed_size: 0
    .kernarg_segment_align: 8
    .kernarg_segment_size: 88
    .language:       OpenCL C
    .language_version:
      - 2
      - 0
    .max_flat_workgroup_size: 256
    .name:           _ZN7rocprim17ROCPRIM_400000_NS6detail17trampoline_kernelINS0_14default_configENS1_21merge_config_selectorIdNS0_10empty_typeEEEZNS1_10merge_implIS3_N6thrust23THRUST_200600_302600_NS6detail15normal_iteratorINS9_10device_ptrIKdEEEESF_NSB_INSC_IdEEEEPS5_SI_SI_NS9_7greaterIdEEEE10hipError_tPvRmT0_T1_T2_T3_T4_T5_mmT6_P12ihipStream_tbEUlT_E0_NS1_11comp_targetILNS1_3genE2ELNS1_11target_archE906ELNS1_3gpuE6ELNS1_3repE0EEENS1_30default_config_static_selectorELNS0_4arch9wavefront6targetE1EEEvSP_
    .private_segment_fixed_size: 0
    .sgpr_count:     4
    .sgpr_spill_count: 0
    .symbol:         _ZN7rocprim17ROCPRIM_400000_NS6detail17trampoline_kernelINS0_14default_configENS1_21merge_config_selectorIdNS0_10empty_typeEEEZNS1_10merge_implIS3_N6thrust23THRUST_200600_302600_NS6detail15normal_iteratorINS9_10device_ptrIKdEEEESF_NSB_INSC_IdEEEEPS5_SI_SI_NS9_7greaterIdEEEE10hipError_tPvRmT0_T1_T2_T3_T4_T5_mmT6_P12ihipStream_tbEUlT_E0_NS1_11comp_targetILNS1_3genE2ELNS1_11target_archE906ELNS1_3gpuE6ELNS1_3repE0EEENS1_30default_config_static_selectorELNS0_4arch9wavefront6targetE1EEEvSP_.kd
    .uniform_work_group_size: 1
    .uses_dynamic_stack: false
    .vgpr_count:     0
    .vgpr_spill_count: 0
    .wavefront_size: 64
  - .agpr_count:     0
    .args:
      - .offset:         0
        .size:           88
        .value_kind:     by_value
    .group_segment_fixed_size: 0
    .kernarg_segment_align: 8
    .kernarg_segment_size: 88
    .language:       OpenCL C
    .language_version:
      - 2
      - 0
    .max_flat_workgroup_size: 512
    .name:           _ZN7rocprim17ROCPRIM_400000_NS6detail17trampoline_kernelINS0_14default_configENS1_21merge_config_selectorIdNS0_10empty_typeEEEZNS1_10merge_implIS3_N6thrust23THRUST_200600_302600_NS6detail15normal_iteratorINS9_10device_ptrIKdEEEESF_NSB_INSC_IdEEEEPS5_SI_SI_NS9_7greaterIdEEEE10hipError_tPvRmT0_T1_T2_T3_T4_T5_mmT6_P12ihipStream_tbEUlT_E0_NS1_11comp_targetILNS1_3genE10ELNS1_11target_archE1201ELNS1_3gpuE5ELNS1_3repE0EEENS1_30default_config_static_selectorELNS0_4arch9wavefront6targetE1EEEvSP_
    .private_segment_fixed_size: 0
    .sgpr_count:     4
    .sgpr_spill_count: 0
    .symbol:         _ZN7rocprim17ROCPRIM_400000_NS6detail17trampoline_kernelINS0_14default_configENS1_21merge_config_selectorIdNS0_10empty_typeEEEZNS1_10merge_implIS3_N6thrust23THRUST_200600_302600_NS6detail15normal_iteratorINS9_10device_ptrIKdEEEESF_NSB_INSC_IdEEEEPS5_SI_SI_NS9_7greaterIdEEEE10hipError_tPvRmT0_T1_T2_T3_T4_T5_mmT6_P12ihipStream_tbEUlT_E0_NS1_11comp_targetILNS1_3genE10ELNS1_11target_archE1201ELNS1_3gpuE5ELNS1_3repE0EEENS1_30default_config_static_selectorELNS0_4arch9wavefront6targetE1EEEvSP_.kd
    .uniform_work_group_size: 1
    .uses_dynamic_stack: false
    .vgpr_count:     0
    .vgpr_spill_count: 0
    .wavefront_size: 64
  - .agpr_count:     0
    .args:
      - .offset:         0
        .size:           88
        .value_kind:     by_value
    .group_segment_fixed_size: 0
    .kernarg_segment_align: 8
    .kernarg_segment_size: 88
    .language:       OpenCL C
    .language_version:
      - 2
      - 0
    .max_flat_workgroup_size: 1024
    .name:           _ZN7rocprim17ROCPRIM_400000_NS6detail17trampoline_kernelINS0_14default_configENS1_21merge_config_selectorIdNS0_10empty_typeEEEZNS1_10merge_implIS3_N6thrust23THRUST_200600_302600_NS6detail15normal_iteratorINS9_10device_ptrIKdEEEESF_NSB_INSC_IdEEEEPS5_SI_SI_NS9_7greaterIdEEEE10hipError_tPvRmT0_T1_T2_T3_T4_T5_mmT6_P12ihipStream_tbEUlT_E0_NS1_11comp_targetILNS1_3genE10ELNS1_11target_archE1200ELNS1_3gpuE4ELNS1_3repE0EEENS1_30default_config_static_selectorELNS0_4arch9wavefront6targetE1EEEvSP_
    .private_segment_fixed_size: 0
    .sgpr_count:     4
    .sgpr_spill_count: 0
    .symbol:         _ZN7rocprim17ROCPRIM_400000_NS6detail17trampoline_kernelINS0_14default_configENS1_21merge_config_selectorIdNS0_10empty_typeEEEZNS1_10merge_implIS3_N6thrust23THRUST_200600_302600_NS6detail15normal_iteratorINS9_10device_ptrIKdEEEESF_NSB_INSC_IdEEEEPS5_SI_SI_NS9_7greaterIdEEEE10hipError_tPvRmT0_T1_T2_T3_T4_T5_mmT6_P12ihipStream_tbEUlT_E0_NS1_11comp_targetILNS1_3genE10ELNS1_11target_archE1200ELNS1_3gpuE4ELNS1_3repE0EEENS1_30default_config_static_selectorELNS0_4arch9wavefront6targetE1EEEvSP_.kd
    .uniform_work_group_size: 1
    .uses_dynamic_stack: false
    .vgpr_count:     0
    .vgpr_spill_count: 0
    .wavefront_size: 64
  - .agpr_count:     0
    .args:
      - .offset:         0
        .size:           88
        .value_kind:     by_value
    .group_segment_fixed_size: 0
    .kernarg_segment_align: 8
    .kernarg_segment_size: 88
    .language:       OpenCL C
    .language_version:
      - 2
      - 0
    .max_flat_workgroup_size: 1024
    .name:           _ZN7rocprim17ROCPRIM_400000_NS6detail17trampoline_kernelINS0_14default_configENS1_21merge_config_selectorIdNS0_10empty_typeEEEZNS1_10merge_implIS3_N6thrust23THRUST_200600_302600_NS6detail15normal_iteratorINS9_10device_ptrIKdEEEESF_NSB_INSC_IdEEEEPS5_SI_SI_NS9_7greaterIdEEEE10hipError_tPvRmT0_T1_T2_T3_T4_T5_mmT6_P12ihipStream_tbEUlT_E0_NS1_11comp_targetILNS1_3genE9ELNS1_11target_archE1100ELNS1_3gpuE3ELNS1_3repE0EEENS1_30default_config_static_selectorELNS0_4arch9wavefront6targetE1EEEvSP_
    .private_segment_fixed_size: 0
    .sgpr_count:     4
    .sgpr_spill_count: 0
    .symbol:         _ZN7rocprim17ROCPRIM_400000_NS6detail17trampoline_kernelINS0_14default_configENS1_21merge_config_selectorIdNS0_10empty_typeEEEZNS1_10merge_implIS3_N6thrust23THRUST_200600_302600_NS6detail15normal_iteratorINS9_10device_ptrIKdEEEESF_NSB_INSC_IdEEEEPS5_SI_SI_NS9_7greaterIdEEEE10hipError_tPvRmT0_T1_T2_T3_T4_T5_mmT6_P12ihipStream_tbEUlT_E0_NS1_11comp_targetILNS1_3genE9ELNS1_11target_archE1100ELNS1_3gpuE3ELNS1_3repE0EEENS1_30default_config_static_selectorELNS0_4arch9wavefront6targetE1EEEvSP_.kd
    .uniform_work_group_size: 1
    .uses_dynamic_stack: false
    .vgpr_count:     0
    .vgpr_spill_count: 0
    .wavefront_size: 64
  - .agpr_count:     0
    .args:
      - .offset:         0
        .size:           88
        .value_kind:     by_value
    .group_segment_fixed_size: 0
    .kernarg_segment_align: 8
    .kernarg_segment_size: 88
    .language:       OpenCL C
    .language_version:
      - 2
      - 0
    .max_flat_workgroup_size: 1024
    .name:           _ZN7rocprim17ROCPRIM_400000_NS6detail17trampoline_kernelINS0_14default_configENS1_21merge_config_selectorIdNS0_10empty_typeEEEZNS1_10merge_implIS3_N6thrust23THRUST_200600_302600_NS6detail15normal_iteratorINS9_10device_ptrIKdEEEESF_NSB_INSC_IdEEEEPS5_SI_SI_NS9_7greaterIdEEEE10hipError_tPvRmT0_T1_T2_T3_T4_T5_mmT6_P12ihipStream_tbEUlT_E0_NS1_11comp_targetILNS1_3genE8ELNS1_11target_archE1030ELNS1_3gpuE2ELNS1_3repE0EEENS1_30default_config_static_selectorELNS0_4arch9wavefront6targetE1EEEvSP_
    .private_segment_fixed_size: 0
    .sgpr_count:     4
    .sgpr_spill_count: 0
    .symbol:         _ZN7rocprim17ROCPRIM_400000_NS6detail17trampoline_kernelINS0_14default_configENS1_21merge_config_selectorIdNS0_10empty_typeEEEZNS1_10merge_implIS3_N6thrust23THRUST_200600_302600_NS6detail15normal_iteratorINS9_10device_ptrIKdEEEESF_NSB_INSC_IdEEEEPS5_SI_SI_NS9_7greaterIdEEEE10hipError_tPvRmT0_T1_T2_T3_T4_T5_mmT6_P12ihipStream_tbEUlT_E0_NS1_11comp_targetILNS1_3genE8ELNS1_11target_archE1030ELNS1_3gpuE2ELNS1_3repE0EEENS1_30default_config_static_selectorELNS0_4arch9wavefront6targetE1EEEvSP_.kd
    .uniform_work_group_size: 1
    .uses_dynamic_stack: false
    .vgpr_count:     0
    .vgpr_spill_count: 0
    .wavefront_size: 64
  - .agpr_count:     0
    .args:
      - .offset:         0
        .size:           48
        .value_kind:     by_value
    .group_segment_fixed_size: 0
    .kernarg_segment_align: 8
    .kernarg_segment_size: 48
    .language:       OpenCL C
    .language_version:
      - 2
      - 0
    .max_flat_workgroup_size: 512
    .name:           _ZN7rocprim17ROCPRIM_400000_NS6detail17trampoline_kernelINS0_14default_configENS1_21merge_config_selectorIfNS0_10empty_typeEEEZNS1_10merge_implIS3_N6thrust23THRUST_200600_302600_NS6detail15normal_iteratorINS9_10device_ptrIKfEEEESF_NSB_INSC_IfEEEEPS5_SI_SI_NS9_7greaterIfEEEE10hipError_tPvRmT0_T1_T2_T3_T4_T5_mmT6_P12ihipStream_tbEUlT_E_NS1_11comp_targetILNS1_3genE0ELNS1_11target_archE4294967295ELNS1_3gpuE0ELNS1_3repE0EEENS1_30default_config_static_selectorELNS0_4arch9wavefront6targetE1EEEvSP_
    .private_segment_fixed_size: 0
    .sgpr_count:     4
    .sgpr_spill_count: 0
    .symbol:         _ZN7rocprim17ROCPRIM_400000_NS6detail17trampoline_kernelINS0_14default_configENS1_21merge_config_selectorIfNS0_10empty_typeEEEZNS1_10merge_implIS3_N6thrust23THRUST_200600_302600_NS6detail15normal_iteratorINS9_10device_ptrIKfEEEESF_NSB_INSC_IfEEEEPS5_SI_SI_NS9_7greaterIfEEEE10hipError_tPvRmT0_T1_T2_T3_T4_T5_mmT6_P12ihipStream_tbEUlT_E_NS1_11comp_targetILNS1_3genE0ELNS1_11target_archE4294967295ELNS1_3gpuE0ELNS1_3repE0EEENS1_30default_config_static_selectorELNS0_4arch9wavefront6targetE1EEEvSP_.kd
    .uniform_work_group_size: 1
    .uses_dynamic_stack: false
    .vgpr_count:     0
    .vgpr_spill_count: 0
    .wavefront_size: 64
  - .agpr_count:     0
    .args:
      - .offset:         0
        .size:           48
        .value_kind:     by_value
    .group_segment_fixed_size: 0
    .kernarg_segment_align: 8
    .kernarg_segment_size: 48
    .language:       OpenCL C
    .language_version:
      - 2
      - 0
    .max_flat_workgroup_size: 256
    .name:           _ZN7rocprim17ROCPRIM_400000_NS6detail17trampoline_kernelINS0_14default_configENS1_21merge_config_selectorIfNS0_10empty_typeEEEZNS1_10merge_implIS3_N6thrust23THRUST_200600_302600_NS6detail15normal_iteratorINS9_10device_ptrIKfEEEESF_NSB_INSC_IfEEEEPS5_SI_SI_NS9_7greaterIfEEEE10hipError_tPvRmT0_T1_T2_T3_T4_T5_mmT6_P12ihipStream_tbEUlT_E_NS1_11comp_targetILNS1_3genE5ELNS1_11target_archE942ELNS1_3gpuE9ELNS1_3repE0EEENS1_30default_config_static_selectorELNS0_4arch9wavefront6targetE1EEEvSP_
    .private_segment_fixed_size: 0
    .sgpr_count:     4
    .sgpr_spill_count: 0
    .symbol:         _ZN7rocprim17ROCPRIM_400000_NS6detail17trampoline_kernelINS0_14default_configENS1_21merge_config_selectorIfNS0_10empty_typeEEEZNS1_10merge_implIS3_N6thrust23THRUST_200600_302600_NS6detail15normal_iteratorINS9_10device_ptrIKfEEEESF_NSB_INSC_IfEEEEPS5_SI_SI_NS9_7greaterIfEEEE10hipError_tPvRmT0_T1_T2_T3_T4_T5_mmT6_P12ihipStream_tbEUlT_E_NS1_11comp_targetILNS1_3genE5ELNS1_11target_archE942ELNS1_3gpuE9ELNS1_3repE0EEENS1_30default_config_static_selectorELNS0_4arch9wavefront6targetE1EEEvSP_.kd
    .uniform_work_group_size: 1
    .uses_dynamic_stack: false
    .vgpr_count:     0
    .vgpr_spill_count: 0
    .wavefront_size: 64
  - .agpr_count:     0
    .args:
      - .offset:         0
        .size:           48
        .value_kind:     by_value
      - .offset:         48
        .size:           4
        .value_kind:     hidden_block_count_x
      - .offset:         52
        .size:           4
        .value_kind:     hidden_block_count_y
      - .offset:         56
        .size:           4
        .value_kind:     hidden_block_count_z
      - .offset:         60
        .size:           2
        .value_kind:     hidden_group_size_x
      - .offset:         62
        .size:           2
        .value_kind:     hidden_group_size_y
      - .offset:         64
        .size:           2
        .value_kind:     hidden_group_size_z
      - .offset:         66
        .size:           2
        .value_kind:     hidden_remainder_x
      - .offset:         68
        .size:           2
        .value_kind:     hidden_remainder_y
      - .offset:         70
        .size:           2
        .value_kind:     hidden_remainder_z
      - .offset:         88
        .size:           8
        .value_kind:     hidden_global_offset_x
      - .offset:         96
        .size:           8
        .value_kind:     hidden_global_offset_y
      - .offset:         104
        .size:           8
        .value_kind:     hidden_global_offset_z
      - .offset:         112
        .size:           2
        .value_kind:     hidden_grid_dims
    .group_segment_fixed_size: 0
    .kernarg_segment_align: 8
    .kernarg_segment_size: 304
    .language:       OpenCL C
    .language_version:
      - 2
      - 0
    .max_flat_workgroup_size: 256
    .name:           _ZN7rocprim17ROCPRIM_400000_NS6detail17trampoline_kernelINS0_14default_configENS1_21merge_config_selectorIfNS0_10empty_typeEEEZNS1_10merge_implIS3_N6thrust23THRUST_200600_302600_NS6detail15normal_iteratorINS9_10device_ptrIKfEEEESF_NSB_INSC_IfEEEEPS5_SI_SI_NS9_7greaterIfEEEE10hipError_tPvRmT0_T1_T2_T3_T4_T5_mmT6_P12ihipStream_tbEUlT_E_NS1_11comp_targetILNS1_3genE4ELNS1_11target_archE910ELNS1_3gpuE8ELNS1_3repE0EEENS1_30default_config_static_selectorELNS0_4arch9wavefront6targetE1EEEvSP_
    .private_segment_fixed_size: 0
    .sgpr_count:     18
    .sgpr_spill_count: 0
    .symbol:         _ZN7rocprim17ROCPRIM_400000_NS6detail17trampoline_kernelINS0_14default_configENS1_21merge_config_selectorIfNS0_10empty_typeEEEZNS1_10merge_implIS3_N6thrust23THRUST_200600_302600_NS6detail15normal_iteratorINS9_10device_ptrIKfEEEESF_NSB_INSC_IfEEEEPS5_SI_SI_NS9_7greaterIfEEEE10hipError_tPvRmT0_T1_T2_T3_T4_T5_mmT6_P12ihipStream_tbEUlT_E_NS1_11comp_targetILNS1_3genE4ELNS1_11target_archE910ELNS1_3gpuE8ELNS1_3repE0EEENS1_30default_config_static_selectorELNS0_4arch9wavefront6targetE1EEEvSP_.kd
    .uniform_work_group_size: 1
    .uses_dynamic_stack: false
    .vgpr_count:     14
    .vgpr_spill_count: 0
    .wavefront_size: 64
  - .agpr_count:     0
    .args:
      - .offset:         0
        .size:           48
        .value_kind:     by_value
    .group_segment_fixed_size: 0
    .kernarg_segment_align: 8
    .kernarg_segment_size: 48
    .language:       OpenCL C
    .language_version:
      - 2
      - 0
    .max_flat_workgroup_size: 512
    .name:           _ZN7rocprim17ROCPRIM_400000_NS6detail17trampoline_kernelINS0_14default_configENS1_21merge_config_selectorIfNS0_10empty_typeEEEZNS1_10merge_implIS3_N6thrust23THRUST_200600_302600_NS6detail15normal_iteratorINS9_10device_ptrIKfEEEESF_NSB_INSC_IfEEEEPS5_SI_SI_NS9_7greaterIfEEEE10hipError_tPvRmT0_T1_T2_T3_T4_T5_mmT6_P12ihipStream_tbEUlT_E_NS1_11comp_targetILNS1_3genE3ELNS1_11target_archE908ELNS1_3gpuE7ELNS1_3repE0EEENS1_30default_config_static_selectorELNS0_4arch9wavefront6targetE1EEEvSP_
    .private_segment_fixed_size: 0
    .sgpr_count:     4
    .sgpr_spill_count: 0
    .symbol:         _ZN7rocprim17ROCPRIM_400000_NS6detail17trampoline_kernelINS0_14default_configENS1_21merge_config_selectorIfNS0_10empty_typeEEEZNS1_10merge_implIS3_N6thrust23THRUST_200600_302600_NS6detail15normal_iteratorINS9_10device_ptrIKfEEEESF_NSB_INSC_IfEEEEPS5_SI_SI_NS9_7greaterIfEEEE10hipError_tPvRmT0_T1_T2_T3_T4_T5_mmT6_P12ihipStream_tbEUlT_E_NS1_11comp_targetILNS1_3genE3ELNS1_11target_archE908ELNS1_3gpuE7ELNS1_3repE0EEENS1_30default_config_static_selectorELNS0_4arch9wavefront6targetE1EEEvSP_.kd
    .uniform_work_group_size: 1
    .uses_dynamic_stack: false
    .vgpr_count:     0
    .vgpr_spill_count: 0
    .wavefront_size: 64
  - .agpr_count:     0
    .args:
      - .offset:         0
        .size:           48
        .value_kind:     by_value
    .group_segment_fixed_size: 0
    .kernarg_segment_align: 8
    .kernarg_segment_size: 48
    .language:       OpenCL C
    .language_version:
      - 2
      - 0
    .max_flat_workgroup_size: 256
    .name:           _ZN7rocprim17ROCPRIM_400000_NS6detail17trampoline_kernelINS0_14default_configENS1_21merge_config_selectorIfNS0_10empty_typeEEEZNS1_10merge_implIS3_N6thrust23THRUST_200600_302600_NS6detail15normal_iteratorINS9_10device_ptrIKfEEEESF_NSB_INSC_IfEEEEPS5_SI_SI_NS9_7greaterIfEEEE10hipError_tPvRmT0_T1_T2_T3_T4_T5_mmT6_P12ihipStream_tbEUlT_E_NS1_11comp_targetILNS1_3genE2ELNS1_11target_archE906ELNS1_3gpuE6ELNS1_3repE0EEENS1_30default_config_static_selectorELNS0_4arch9wavefront6targetE1EEEvSP_
    .private_segment_fixed_size: 0
    .sgpr_count:     4
    .sgpr_spill_count: 0
    .symbol:         _ZN7rocprim17ROCPRIM_400000_NS6detail17trampoline_kernelINS0_14default_configENS1_21merge_config_selectorIfNS0_10empty_typeEEEZNS1_10merge_implIS3_N6thrust23THRUST_200600_302600_NS6detail15normal_iteratorINS9_10device_ptrIKfEEEESF_NSB_INSC_IfEEEEPS5_SI_SI_NS9_7greaterIfEEEE10hipError_tPvRmT0_T1_T2_T3_T4_T5_mmT6_P12ihipStream_tbEUlT_E_NS1_11comp_targetILNS1_3genE2ELNS1_11target_archE906ELNS1_3gpuE6ELNS1_3repE0EEENS1_30default_config_static_selectorELNS0_4arch9wavefront6targetE1EEEvSP_.kd
    .uniform_work_group_size: 1
    .uses_dynamic_stack: false
    .vgpr_count:     0
    .vgpr_spill_count: 0
    .wavefront_size: 64
  - .agpr_count:     0
    .args:
      - .offset:         0
        .size:           48
        .value_kind:     by_value
    .group_segment_fixed_size: 0
    .kernarg_segment_align: 8
    .kernarg_segment_size: 48
    .language:       OpenCL C
    .language_version:
      - 2
      - 0
    .max_flat_workgroup_size: 1024
    .name:           _ZN7rocprim17ROCPRIM_400000_NS6detail17trampoline_kernelINS0_14default_configENS1_21merge_config_selectorIfNS0_10empty_typeEEEZNS1_10merge_implIS3_N6thrust23THRUST_200600_302600_NS6detail15normal_iteratorINS9_10device_ptrIKfEEEESF_NSB_INSC_IfEEEEPS5_SI_SI_NS9_7greaterIfEEEE10hipError_tPvRmT0_T1_T2_T3_T4_T5_mmT6_P12ihipStream_tbEUlT_E_NS1_11comp_targetILNS1_3genE10ELNS1_11target_archE1201ELNS1_3gpuE5ELNS1_3repE0EEENS1_30default_config_static_selectorELNS0_4arch9wavefront6targetE1EEEvSP_
    .private_segment_fixed_size: 0
    .sgpr_count:     4
    .sgpr_spill_count: 0
    .symbol:         _ZN7rocprim17ROCPRIM_400000_NS6detail17trampoline_kernelINS0_14default_configENS1_21merge_config_selectorIfNS0_10empty_typeEEEZNS1_10merge_implIS3_N6thrust23THRUST_200600_302600_NS6detail15normal_iteratorINS9_10device_ptrIKfEEEESF_NSB_INSC_IfEEEEPS5_SI_SI_NS9_7greaterIfEEEE10hipError_tPvRmT0_T1_T2_T3_T4_T5_mmT6_P12ihipStream_tbEUlT_E_NS1_11comp_targetILNS1_3genE10ELNS1_11target_archE1201ELNS1_3gpuE5ELNS1_3repE0EEENS1_30default_config_static_selectorELNS0_4arch9wavefront6targetE1EEEvSP_.kd
    .uniform_work_group_size: 1
    .uses_dynamic_stack: false
    .vgpr_count:     0
    .vgpr_spill_count: 0
    .wavefront_size: 64
  - .agpr_count:     0
    .args:
      - .offset:         0
        .size:           48
        .value_kind:     by_value
    .group_segment_fixed_size: 0
    .kernarg_segment_align: 8
    .kernarg_segment_size: 48
    .language:       OpenCL C
    .language_version:
      - 2
      - 0
    .max_flat_workgroup_size: 1024
    .name:           _ZN7rocprim17ROCPRIM_400000_NS6detail17trampoline_kernelINS0_14default_configENS1_21merge_config_selectorIfNS0_10empty_typeEEEZNS1_10merge_implIS3_N6thrust23THRUST_200600_302600_NS6detail15normal_iteratorINS9_10device_ptrIKfEEEESF_NSB_INSC_IfEEEEPS5_SI_SI_NS9_7greaterIfEEEE10hipError_tPvRmT0_T1_T2_T3_T4_T5_mmT6_P12ihipStream_tbEUlT_E_NS1_11comp_targetILNS1_3genE10ELNS1_11target_archE1200ELNS1_3gpuE4ELNS1_3repE0EEENS1_30default_config_static_selectorELNS0_4arch9wavefront6targetE1EEEvSP_
    .private_segment_fixed_size: 0
    .sgpr_count:     4
    .sgpr_spill_count: 0
    .symbol:         _ZN7rocprim17ROCPRIM_400000_NS6detail17trampoline_kernelINS0_14default_configENS1_21merge_config_selectorIfNS0_10empty_typeEEEZNS1_10merge_implIS3_N6thrust23THRUST_200600_302600_NS6detail15normal_iteratorINS9_10device_ptrIKfEEEESF_NSB_INSC_IfEEEEPS5_SI_SI_NS9_7greaterIfEEEE10hipError_tPvRmT0_T1_T2_T3_T4_T5_mmT6_P12ihipStream_tbEUlT_E_NS1_11comp_targetILNS1_3genE10ELNS1_11target_archE1200ELNS1_3gpuE4ELNS1_3repE0EEENS1_30default_config_static_selectorELNS0_4arch9wavefront6targetE1EEEvSP_.kd
    .uniform_work_group_size: 1
    .uses_dynamic_stack: false
    .vgpr_count:     0
    .vgpr_spill_count: 0
    .wavefront_size: 64
  - .agpr_count:     0
    .args:
      - .offset:         0
        .size:           48
        .value_kind:     by_value
    .group_segment_fixed_size: 0
    .kernarg_segment_align: 8
    .kernarg_segment_size: 48
    .language:       OpenCL C
    .language_version:
      - 2
      - 0
    .max_flat_workgroup_size: 1024
    .name:           _ZN7rocprim17ROCPRIM_400000_NS6detail17trampoline_kernelINS0_14default_configENS1_21merge_config_selectorIfNS0_10empty_typeEEEZNS1_10merge_implIS3_N6thrust23THRUST_200600_302600_NS6detail15normal_iteratorINS9_10device_ptrIKfEEEESF_NSB_INSC_IfEEEEPS5_SI_SI_NS9_7greaterIfEEEE10hipError_tPvRmT0_T1_T2_T3_T4_T5_mmT6_P12ihipStream_tbEUlT_E_NS1_11comp_targetILNS1_3genE9ELNS1_11target_archE1100ELNS1_3gpuE3ELNS1_3repE0EEENS1_30default_config_static_selectorELNS0_4arch9wavefront6targetE1EEEvSP_
    .private_segment_fixed_size: 0
    .sgpr_count:     4
    .sgpr_spill_count: 0
    .symbol:         _ZN7rocprim17ROCPRIM_400000_NS6detail17trampoline_kernelINS0_14default_configENS1_21merge_config_selectorIfNS0_10empty_typeEEEZNS1_10merge_implIS3_N6thrust23THRUST_200600_302600_NS6detail15normal_iteratorINS9_10device_ptrIKfEEEESF_NSB_INSC_IfEEEEPS5_SI_SI_NS9_7greaterIfEEEE10hipError_tPvRmT0_T1_T2_T3_T4_T5_mmT6_P12ihipStream_tbEUlT_E_NS1_11comp_targetILNS1_3genE9ELNS1_11target_archE1100ELNS1_3gpuE3ELNS1_3repE0EEENS1_30default_config_static_selectorELNS0_4arch9wavefront6targetE1EEEvSP_.kd
    .uniform_work_group_size: 1
    .uses_dynamic_stack: false
    .vgpr_count:     0
    .vgpr_spill_count: 0
    .wavefront_size: 64
  - .agpr_count:     0
    .args:
      - .offset:         0
        .size:           48
        .value_kind:     by_value
    .group_segment_fixed_size: 0
    .kernarg_segment_align: 8
    .kernarg_segment_size: 48
    .language:       OpenCL C
    .language_version:
      - 2
      - 0
    .max_flat_workgroup_size: 1024
    .name:           _ZN7rocprim17ROCPRIM_400000_NS6detail17trampoline_kernelINS0_14default_configENS1_21merge_config_selectorIfNS0_10empty_typeEEEZNS1_10merge_implIS3_N6thrust23THRUST_200600_302600_NS6detail15normal_iteratorINS9_10device_ptrIKfEEEESF_NSB_INSC_IfEEEEPS5_SI_SI_NS9_7greaterIfEEEE10hipError_tPvRmT0_T1_T2_T3_T4_T5_mmT6_P12ihipStream_tbEUlT_E_NS1_11comp_targetILNS1_3genE8ELNS1_11target_archE1030ELNS1_3gpuE2ELNS1_3repE0EEENS1_30default_config_static_selectorELNS0_4arch9wavefront6targetE1EEEvSP_
    .private_segment_fixed_size: 0
    .sgpr_count:     4
    .sgpr_spill_count: 0
    .symbol:         _ZN7rocprim17ROCPRIM_400000_NS6detail17trampoline_kernelINS0_14default_configENS1_21merge_config_selectorIfNS0_10empty_typeEEEZNS1_10merge_implIS3_N6thrust23THRUST_200600_302600_NS6detail15normal_iteratorINS9_10device_ptrIKfEEEESF_NSB_INSC_IfEEEEPS5_SI_SI_NS9_7greaterIfEEEE10hipError_tPvRmT0_T1_T2_T3_T4_T5_mmT6_P12ihipStream_tbEUlT_E_NS1_11comp_targetILNS1_3genE8ELNS1_11target_archE1030ELNS1_3gpuE2ELNS1_3repE0EEENS1_30default_config_static_selectorELNS0_4arch9wavefront6targetE1EEEvSP_.kd
    .uniform_work_group_size: 1
    .uses_dynamic_stack: false
    .vgpr_count:     0
    .vgpr_spill_count: 0
    .wavefront_size: 64
  - .agpr_count:     0
    .args:
      - .offset:         0
        .size:           88
        .value_kind:     by_value
    .group_segment_fixed_size: 0
    .kernarg_segment_align: 8
    .kernarg_segment_size: 88
    .language:       OpenCL C
    .language_version:
      - 2
      - 0
    .max_flat_workgroup_size: 512
    .name:           _ZN7rocprim17ROCPRIM_400000_NS6detail17trampoline_kernelINS0_14default_configENS1_21merge_config_selectorIfNS0_10empty_typeEEEZNS1_10merge_implIS3_N6thrust23THRUST_200600_302600_NS6detail15normal_iteratorINS9_10device_ptrIKfEEEESF_NSB_INSC_IfEEEEPS5_SI_SI_NS9_7greaterIfEEEE10hipError_tPvRmT0_T1_T2_T3_T4_T5_mmT6_P12ihipStream_tbEUlT_E0_NS1_11comp_targetILNS1_3genE0ELNS1_11target_archE4294967295ELNS1_3gpuE0ELNS1_3repE0EEENS1_30default_config_static_selectorELNS0_4arch9wavefront6targetE1EEEvSP_
    .private_segment_fixed_size: 0
    .sgpr_count:     4
    .sgpr_spill_count: 0
    .symbol:         _ZN7rocprim17ROCPRIM_400000_NS6detail17trampoline_kernelINS0_14default_configENS1_21merge_config_selectorIfNS0_10empty_typeEEEZNS1_10merge_implIS3_N6thrust23THRUST_200600_302600_NS6detail15normal_iteratorINS9_10device_ptrIKfEEEESF_NSB_INSC_IfEEEEPS5_SI_SI_NS9_7greaterIfEEEE10hipError_tPvRmT0_T1_T2_T3_T4_T5_mmT6_P12ihipStream_tbEUlT_E0_NS1_11comp_targetILNS1_3genE0ELNS1_11target_archE4294967295ELNS1_3gpuE0ELNS1_3repE0EEENS1_30default_config_static_selectorELNS0_4arch9wavefront6targetE1EEEvSP_.kd
    .uniform_work_group_size: 1
    .uses_dynamic_stack: false
    .vgpr_count:     0
    .vgpr_spill_count: 0
    .wavefront_size: 64
  - .agpr_count:     0
    .args:
      - .offset:         0
        .size:           88
        .value_kind:     by_value
    .group_segment_fixed_size: 0
    .kernarg_segment_align: 8
    .kernarg_segment_size: 88
    .language:       OpenCL C
    .language_version:
      - 2
      - 0
    .max_flat_workgroup_size: 256
    .name:           _ZN7rocprim17ROCPRIM_400000_NS6detail17trampoline_kernelINS0_14default_configENS1_21merge_config_selectorIfNS0_10empty_typeEEEZNS1_10merge_implIS3_N6thrust23THRUST_200600_302600_NS6detail15normal_iteratorINS9_10device_ptrIKfEEEESF_NSB_INSC_IfEEEEPS5_SI_SI_NS9_7greaterIfEEEE10hipError_tPvRmT0_T1_T2_T3_T4_T5_mmT6_P12ihipStream_tbEUlT_E0_NS1_11comp_targetILNS1_3genE5ELNS1_11target_archE942ELNS1_3gpuE9ELNS1_3repE0EEENS1_30default_config_static_selectorELNS0_4arch9wavefront6targetE1EEEvSP_
    .private_segment_fixed_size: 0
    .sgpr_count:     4
    .sgpr_spill_count: 0
    .symbol:         _ZN7rocprim17ROCPRIM_400000_NS6detail17trampoline_kernelINS0_14default_configENS1_21merge_config_selectorIfNS0_10empty_typeEEEZNS1_10merge_implIS3_N6thrust23THRUST_200600_302600_NS6detail15normal_iteratorINS9_10device_ptrIKfEEEESF_NSB_INSC_IfEEEEPS5_SI_SI_NS9_7greaterIfEEEE10hipError_tPvRmT0_T1_T2_T3_T4_T5_mmT6_P12ihipStream_tbEUlT_E0_NS1_11comp_targetILNS1_3genE5ELNS1_11target_archE942ELNS1_3gpuE9ELNS1_3repE0EEENS1_30default_config_static_selectorELNS0_4arch9wavefront6targetE1EEEvSP_.kd
    .uniform_work_group_size: 1
    .uses_dynamic_stack: false
    .vgpr_count:     0
    .vgpr_spill_count: 0
    .wavefront_size: 64
  - .agpr_count:     0
    .args:
      - .offset:         0
        .size:           88
        .value_kind:     by_value
    .group_segment_fixed_size: 10256
    .kernarg_segment_align: 8
    .kernarg_segment_size: 88
    .language:       OpenCL C
    .language_version:
      - 2
      - 0
    .max_flat_workgroup_size: 256
    .name:           _ZN7rocprim17ROCPRIM_400000_NS6detail17trampoline_kernelINS0_14default_configENS1_21merge_config_selectorIfNS0_10empty_typeEEEZNS1_10merge_implIS3_N6thrust23THRUST_200600_302600_NS6detail15normal_iteratorINS9_10device_ptrIKfEEEESF_NSB_INSC_IfEEEEPS5_SI_SI_NS9_7greaterIfEEEE10hipError_tPvRmT0_T1_T2_T3_T4_T5_mmT6_P12ihipStream_tbEUlT_E0_NS1_11comp_targetILNS1_3genE4ELNS1_11target_archE910ELNS1_3gpuE8ELNS1_3repE0EEENS1_30default_config_static_selectorELNS0_4arch9wavefront6targetE1EEEvSP_
    .private_segment_fixed_size: 0
    .sgpr_count:     28
    .sgpr_spill_count: 0
    .symbol:         _ZN7rocprim17ROCPRIM_400000_NS6detail17trampoline_kernelINS0_14default_configENS1_21merge_config_selectorIfNS0_10empty_typeEEEZNS1_10merge_implIS3_N6thrust23THRUST_200600_302600_NS6detail15normal_iteratorINS9_10device_ptrIKfEEEESF_NSB_INSC_IfEEEEPS5_SI_SI_NS9_7greaterIfEEEE10hipError_tPvRmT0_T1_T2_T3_T4_T5_mmT6_P12ihipStream_tbEUlT_E0_NS1_11comp_targetILNS1_3genE4ELNS1_11target_archE910ELNS1_3gpuE8ELNS1_3repE0EEENS1_30default_config_static_selectorELNS0_4arch9wavefront6targetE1EEEvSP_.kd
    .uniform_work_group_size: 1
    .uses_dynamic_stack: false
    .vgpr_count:     36
    .vgpr_spill_count: 0
    .wavefront_size: 64
  - .agpr_count:     0
    .args:
      - .offset:         0
        .size:           88
        .value_kind:     by_value
    .group_segment_fixed_size: 0
    .kernarg_segment_align: 8
    .kernarg_segment_size: 88
    .language:       OpenCL C
    .language_version:
      - 2
      - 0
    .max_flat_workgroup_size: 512
    .name:           _ZN7rocprim17ROCPRIM_400000_NS6detail17trampoline_kernelINS0_14default_configENS1_21merge_config_selectorIfNS0_10empty_typeEEEZNS1_10merge_implIS3_N6thrust23THRUST_200600_302600_NS6detail15normal_iteratorINS9_10device_ptrIKfEEEESF_NSB_INSC_IfEEEEPS5_SI_SI_NS9_7greaterIfEEEE10hipError_tPvRmT0_T1_T2_T3_T4_T5_mmT6_P12ihipStream_tbEUlT_E0_NS1_11comp_targetILNS1_3genE3ELNS1_11target_archE908ELNS1_3gpuE7ELNS1_3repE0EEENS1_30default_config_static_selectorELNS0_4arch9wavefront6targetE1EEEvSP_
    .private_segment_fixed_size: 0
    .sgpr_count:     4
    .sgpr_spill_count: 0
    .symbol:         _ZN7rocprim17ROCPRIM_400000_NS6detail17trampoline_kernelINS0_14default_configENS1_21merge_config_selectorIfNS0_10empty_typeEEEZNS1_10merge_implIS3_N6thrust23THRUST_200600_302600_NS6detail15normal_iteratorINS9_10device_ptrIKfEEEESF_NSB_INSC_IfEEEEPS5_SI_SI_NS9_7greaterIfEEEE10hipError_tPvRmT0_T1_T2_T3_T4_T5_mmT6_P12ihipStream_tbEUlT_E0_NS1_11comp_targetILNS1_3genE3ELNS1_11target_archE908ELNS1_3gpuE7ELNS1_3repE0EEENS1_30default_config_static_selectorELNS0_4arch9wavefront6targetE1EEEvSP_.kd
    .uniform_work_group_size: 1
    .uses_dynamic_stack: false
    .vgpr_count:     0
    .vgpr_spill_count: 0
    .wavefront_size: 64
  - .agpr_count:     0
    .args:
      - .offset:         0
        .size:           88
        .value_kind:     by_value
    .group_segment_fixed_size: 0
    .kernarg_segment_align: 8
    .kernarg_segment_size: 88
    .language:       OpenCL C
    .language_version:
      - 2
      - 0
    .max_flat_workgroup_size: 256
    .name:           _ZN7rocprim17ROCPRIM_400000_NS6detail17trampoline_kernelINS0_14default_configENS1_21merge_config_selectorIfNS0_10empty_typeEEEZNS1_10merge_implIS3_N6thrust23THRUST_200600_302600_NS6detail15normal_iteratorINS9_10device_ptrIKfEEEESF_NSB_INSC_IfEEEEPS5_SI_SI_NS9_7greaterIfEEEE10hipError_tPvRmT0_T1_T2_T3_T4_T5_mmT6_P12ihipStream_tbEUlT_E0_NS1_11comp_targetILNS1_3genE2ELNS1_11target_archE906ELNS1_3gpuE6ELNS1_3repE0EEENS1_30default_config_static_selectorELNS0_4arch9wavefront6targetE1EEEvSP_
    .private_segment_fixed_size: 0
    .sgpr_count:     4
    .sgpr_spill_count: 0
    .symbol:         _ZN7rocprim17ROCPRIM_400000_NS6detail17trampoline_kernelINS0_14default_configENS1_21merge_config_selectorIfNS0_10empty_typeEEEZNS1_10merge_implIS3_N6thrust23THRUST_200600_302600_NS6detail15normal_iteratorINS9_10device_ptrIKfEEEESF_NSB_INSC_IfEEEEPS5_SI_SI_NS9_7greaterIfEEEE10hipError_tPvRmT0_T1_T2_T3_T4_T5_mmT6_P12ihipStream_tbEUlT_E0_NS1_11comp_targetILNS1_3genE2ELNS1_11target_archE906ELNS1_3gpuE6ELNS1_3repE0EEENS1_30default_config_static_selectorELNS0_4arch9wavefront6targetE1EEEvSP_.kd
    .uniform_work_group_size: 1
    .uses_dynamic_stack: false
    .vgpr_count:     0
    .vgpr_spill_count: 0
    .wavefront_size: 64
  - .agpr_count:     0
    .args:
      - .offset:         0
        .size:           88
        .value_kind:     by_value
    .group_segment_fixed_size: 0
    .kernarg_segment_align: 8
    .kernarg_segment_size: 88
    .language:       OpenCL C
    .language_version:
      - 2
      - 0
    .max_flat_workgroup_size: 1024
    .name:           _ZN7rocprim17ROCPRIM_400000_NS6detail17trampoline_kernelINS0_14default_configENS1_21merge_config_selectorIfNS0_10empty_typeEEEZNS1_10merge_implIS3_N6thrust23THRUST_200600_302600_NS6detail15normal_iteratorINS9_10device_ptrIKfEEEESF_NSB_INSC_IfEEEEPS5_SI_SI_NS9_7greaterIfEEEE10hipError_tPvRmT0_T1_T2_T3_T4_T5_mmT6_P12ihipStream_tbEUlT_E0_NS1_11comp_targetILNS1_3genE10ELNS1_11target_archE1201ELNS1_3gpuE5ELNS1_3repE0EEENS1_30default_config_static_selectorELNS0_4arch9wavefront6targetE1EEEvSP_
    .private_segment_fixed_size: 0
    .sgpr_count:     4
    .sgpr_spill_count: 0
    .symbol:         _ZN7rocprim17ROCPRIM_400000_NS6detail17trampoline_kernelINS0_14default_configENS1_21merge_config_selectorIfNS0_10empty_typeEEEZNS1_10merge_implIS3_N6thrust23THRUST_200600_302600_NS6detail15normal_iteratorINS9_10device_ptrIKfEEEESF_NSB_INSC_IfEEEEPS5_SI_SI_NS9_7greaterIfEEEE10hipError_tPvRmT0_T1_T2_T3_T4_T5_mmT6_P12ihipStream_tbEUlT_E0_NS1_11comp_targetILNS1_3genE10ELNS1_11target_archE1201ELNS1_3gpuE5ELNS1_3repE0EEENS1_30default_config_static_selectorELNS0_4arch9wavefront6targetE1EEEvSP_.kd
    .uniform_work_group_size: 1
    .uses_dynamic_stack: false
    .vgpr_count:     0
    .vgpr_spill_count: 0
    .wavefront_size: 64
  - .agpr_count:     0
    .args:
      - .offset:         0
        .size:           88
        .value_kind:     by_value
    .group_segment_fixed_size: 0
    .kernarg_segment_align: 8
    .kernarg_segment_size: 88
    .language:       OpenCL C
    .language_version:
      - 2
      - 0
    .max_flat_workgroup_size: 1024
    .name:           _ZN7rocprim17ROCPRIM_400000_NS6detail17trampoline_kernelINS0_14default_configENS1_21merge_config_selectorIfNS0_10empty_typeEEEZNS1_10merge_implIS3_N6thrust23THRUST_200600_302600_NS6detail15normal_iteratorINS9_10device_ptrIKfEEEESF_NSB_INSC_IfEEEEPS5_SI_SI_NS9_7greaterIfEEEE10hipError_tPvRmT0_T1_T2_T3_T4_T5_mmT6_P12ihipStream_tbEUlT_E0_NS1_11comp_targetILNS1_3genE10ELNS1_11target_archE1200ELNS1_3gpuE4ELNS1_3repE0EEENS1_30default_config_static_selectorELNS0_4arch9wavefront6targetE1EEEvSP_
    .private_segment_fixed_size: 0
    .sgpr_count:     4
    .sgpr_spill_count: 0
    .symbol:         _ZN7rocprim17ROCPRIM_400000_NS6detail17trampoline_kernelINS0_14default_configENS1_21merge_config_selectorIfNS0_10empty_typeEEEZNS1_10merge_implIS3_N6thrust23THRUST_200600_302600_NS6detail15normal_iteratorINS9_10device_ptrIKfEEEESF_NSB_INSC_IfEEEEPS5_SI_SI_NS9_7greaterIfEEEE10hipError_tPvRmT0_T1_T2_T3_T4_T5_mmT6_P12ihipStream_tbEUlT_E0_NS1_11comp_targetILNS1_3genE10ELNS1_11target_archE1200ELNS1_3gpuE4ELNS1_3repE0EEENS1_30default_config_static_selectorELNS0_4arch9wavefront6targetE1EEEvSP_.kd
    .uniform_work_group_size: 1
    .uses_dynamic_stack: false
    .vgpr_count:     0
    .vgpr_spill_count: 0
    .wavefront_size: 64
  - .agpr_count:     0
    .args:
      - .offset:         0
        .size:           88
        .value_kind:     by_value
    .group_segment_fixed_size: 0
    .kernarg_segment_align: 8
    .kernarg_segment_size: 88
    .language:       OpenCL C
    .language_version:
      - 2
      - 0
    .max_flat_workgroup_size: 1024
    .name:           _ZN7rocprim17ROCPRIM_400000_NS6detail17trampoline_kernelINS0_14default_configENS1_21merge_config_selectorIfNS0_10empty_typeEEEZNS1_10merge_implIS3_N6thrust23THRUST_200600_302600_NS6detail15normal_iteratorINS9_10device_ptrIKfEEEESF_NSB_INSC_IfEEEEPS5_SI_SI_NS9_7greaterIfEEEE10hipError_tPvRmT0_T1_T2_T3_T4_T5_mmT6_P12ihipStream_tbEUlT_E0_NS1_11comp_targetILNS1_3genE9ELNS1_11target_archE1100ELNS1_3gpuE3ELNS1_3repE0EEENS1_30default_config_static_selectorELNS0_4arch9wavefront6targetE1EEEvSP_
    .private_segment_fixed_size: 0
    .sgpr_count:     4
    .sgpr_spill_count: 0
    .symbol:         _ZN7rocprim17ROCPRIM_400000_NS6detail17trampoline_kernelINS0_14default_configENS1_21merge_config_selectorIfNS0_10empty_typeEEEZNS1_10merge_implIS3_N6thrust23THRUST_200600_302600_NS6detail15normal_iteratorINS9_10device_ptrIKfEEEESF_NSB_INSC_IfEEEEPS5_SI_SI_NS9_7greaterIfEEEE10hipError_tPvRmT0_T1_T2_T3_T4_T5_mmT6_P12ihipStream_tbEUlT_E0_NS1_11comp_targetILNS1_3genE9ELNS1_11target_archE1100ELNS1_3gpuE3ELNS1_3repE0EEENS1_30default_config_static_selectorELNS0_4arch9wavefront6targetE1EEEvSP_.kd
    .uniform_work_group_size: 1
    .uses_dynamic_stack: false
    .vgpr_count:     0
    .vgpr_spill_count: 0
    .wavefront_size: 64
  - .agpr_count:     0
    .args:
      - .offset:         0
        .size:           88
        .value_kind:     by_value
    .group_segment_fixed_size: 0
    .kernarg_segment_align: 8
    .kernarg_segment_size: 88
    .language:       OpenCL C
    .language_version:
      - 2
      - 0
    .max_flat_workgroup_size: 1024
    .name:           _ZN7rocprim17ROCPRIM_400000_NS6detail17trampoline_kernelINS0_14default_configENS1_21merge_config_selectorIfNS0_10empty_typeEEEZNS1_10merge_implIS3_N6thrust23THRUST_200600_302600_NS6detail15normal_iteratorINS9_10device_ptrIKfEEEESF_NSB_INSC_IfEEEEPS5_SI_SI_NS9_7greaterIfEEEE10hipError_tPvRmT0_T1_T2_T3_T4_T5_mmT6_P12ihipStream_tbEUlT_E0_NS1_11comp_targetILNS1_3genE8ELNS1_11target_archE1030ELNS1_3gpuE2ELNS1_3repE0EEENS1_30default_config_static_selectorELNS0_4arch9wavefront6targetE1EEEvSP_
    .private_segment_fixed_size: 0
    .sgpr_count:     4
    .sgpr_spill_count: 0
    .symbol:         _ZN7rocprim17ROCPRIM_400000_NS6detail17trampoline_kernelINS0_14default_configENS1_21merge_config_selectorIfNS0_10empty_typeEEEZNS1_10merge_implIS3_N6thrust23THRUST_200600_302600_NS6detail15normal_iteratorINS9_10device_ptrIKfEEEESF_NSB_INSC_IfEEEEPS5_SI_SI_NS9_7greaterIfEEEE10hipError_tPvRmT0_T1_T2_T3_T4_T5_mmT6_P12ihipStream_tbEUlT_E0_NS1_11comp_targetILNS1_3genE8ELNS1_11target_archE1030ELNS1_3gpuE2ELNS1_3repE0EEENS1_30default_config_static_selectorELNS0_4arch9wavefront6targetE1EEEvSP_.kd
    .uniform_work_group_size: 1
    .uses_dynamic_stack: false
    .vgpr_count:     0
    .vgpr_spill_count: 0
    .wavefront_size: 64
  - .agpr_count:     0
    .args:
      - .offset:         0
        .size:           48
        .value_kind:     by_value
    .group_segment_fixed_size: 0
    .kernarg_segment_align: 8
    .kernarg_segment_size: 48
    .language:       OpenCL C
    .language_version:
      - 2
      - 0
    .max_flat_workgroup_size: 256
    .name:           _ZN7rocprim17ROCPRIM_400000_NS6detail17trampoline_kernelINS0_14default_configENS1_21merge_config_selectorIyNS0_10empty_typeEEEZNS1_10merge_implIS3_N6thrust23THRUST_200600_302600_NS6detail15normal_iteratorINS9_10device_ptrIKyEEEESF_NSB_INSC_IyEEEEPS5_SI_SI_NS9_7greaterIyEEEE10hipError_tPvRmT0_T1_T2_T3_T4_T5_mmT6_P12ihipStream_tbEUlT_E_NS1_11comp_targetILNS1_3genE0ELNS1_11target_archE4294967295ELNS1_3gpuE0ELNS1_3repE0EEENS1_30default_config_static_selectorELNS0_4arch9wavefront6targetE1EEEvSP_
    .private_segment_fixed_size: 0
    .sgpr_count:     4
    .sgpr_spill_count: 0
    .symbol:         _ZN7rocprim17ROCPRIM_400000_NS6detail17trampoline_kernelINS0_14default_configENS1_21merge_config_selectorIyNS0_10empty_typeEEEZNS1_10merge_implIS3_N6thrust23THRUST_200600_302600_NS6detail15normal_iteratorINS9_10device_ptrIKyEEEESF_NSB_INSC_IyEEEEPS5_SI_SI_NS9_7greaterIyEEEE10hipError_tPvRmT0_T1_T2_T3_T4_T5_mmT6_P12ihipStream_tbEUlT_E_NS1_11comp_targetILNS1_3genE0ELNS1_11target_archE4294967295ELNS1_3gpuE0ELNS1_3repE0EEENS1_30default_config_static_selectorELNS0_4arch9wavefront6targetE1EEEvSP_.kd
    .uniform_work_group_size: 1
    .uses_dynamic_stack: false
    .vgpr_count:     0
    .vgpr_spill_count: 0
    .wavefront_size: 64
  - .agpr_count:     0
    .args:
      - .offset:         0
        .size:           48
        .value_kind:     by_value
    .group_segment_fixed_size: 0
    .kernarg_segment_align: 8
    .kernarg_segment_size: 48
    .language:       OpenCL C
    .language_version:
      - 2
      - 0
    .max_flat_workgroup_size: 256
    .name:           _ZN7rocprim17ROCPRIM_400000_NS6detail17trampoline_kernelINS0_14default_configENS1_21merge_config_selectorIyNS0_10empty_typeEEEZNS1_10merge_implIS3_N6thrust23THRUST_200600_302600_NS6detail15normal_iteratorINS9_10device_ptrIKyEEEESF_NSB_INSC_IyEEEEPS5_SI_SI_NS9_7greaterIyEEEE10hipError_tPvRmT0_T1_T2_T3_T4_T5_mmT6_P12ihipStream_tbEUlT_E_NS1_11comp_targetILNS1_3genE5ELNS1_11target_archE942ELNS1_3gpuE9ELNS1_3repE0EEENS1_30default_config_static_selectorELNS0_4arch9wavefront6targetE1EEEvSP_
    .private_segment_fixed_size: 0
    .sgpr_count:     4
    .sgpr_spill_count: 0
    .symbol:         _ZN7rocprim17ROCPRIM_400000_NS6detail17trampoline_kernelINS0_14default_configENS1_21merge_config_selectorIyNS0_10empty_typeEEEZNS1_10merge_implIS3_N6thrust23THRUST_200600_302600_NS6detail15normal_iteratorINS9_10device_ptrIKyEEEESF_NSB_INSC_IyEEEEPS5_SI_SI_NS9_7greaterIyEEEE10hipError_tPvRmT0_T1_T2_T3_T4_T5_mmT6_P12ihipStream_tbEUlT_E_NS1_11comp_targetILNS1_3genE5ELNS1_11target_archE942ELNS1_3gpuE9ELNS1_3repE0EEENS1_30default_config_static_selectorELNS0_4arch9wavefront6targetE1EEEvSP_.kd
    .uniform_work_group_size: 1
    .uses_dynamic_stack: false
    .vgpr_count:     0
    .vgpr_spill_count: 0
    .wavefront_size: 64
  - .agpr_count:     0
    .args:
      - .offset:         0
        .size:           48
        .value_kind:     by_value
      - .offset:         48
        .size:           4
        .value_kind:     hidden_block_count_x
      - .offset:         52
        .size:           4
        .value_kind:     hidden_block_count_y
      - .offset:         56
        .size:           4
        .value_kind:     hidden_block_count_z
      - .offset:         60
        .size:           2
        .value_kind:     hidden_group_size_x
      - .offset:         62
        .size:           2
        .value_kind:     hidden_group_size_y
      - .offset:         64
        .size:           2
        .value_kind:     hidden_group_size_z
      - .offset:         66
        .size:           2
        .value_kind:     hidden_remainder_x
      - .offset:         68
        .size:           2
        .value_kind:     hidden_remainder_y
      - .offset:         70
        .size:           2
        .value_kind:     hidden_remainder_z
      - .offset:         88
        .size:           8
        .value_kind:     hidden_global_offset_x
      - .offset:         96
        .size:           8
        .value_kind:     hidden_global_offset_y
      - .offset:         104
        .size:           8
        .value_kind:     hidden_global_offset_z
      - .offset:         112
        .size:           2
        .value_kind:     hidden_grid_dims
    .group_segment_fixed_size: 0
    .kernarg_segment_align: 8
    .kernarg_segment_size: 304
    .language:       OpenCL C
    .language_version:
      - 2
      - 0
    .max_flat_workgroup_size: 256
    .name:           _ZN7rocprim17ROCPRIM_400000_NS6detail17trampoline_kernelINS0_14default_configENS1_21merge_config_selectorIyNS0_10empty_typeEEEZNS1_10merge_implIS3_N6thrust23THRUST_200600_302600_NS6detail15normal_iteratorINS9_10device_ptrIKyEEEESF_NSB_INSC_IyEEEEPS5_SI_SI_NS9_7greaterIyEEEE10hipError_tPvRmT0_T1_T2_T3_T4_T5_mmT6_P12ihipStream_tbEUlT_E_NS1_11comp_targetILNS1_3genE4ELNS1_11target_archE910ELNS1_3gpuE8ELNS1_3repE0EEENS1_30default_config_static_selectorELNS0_4arch9wavefront6targetE1EEEvSP_
    .private_segment_fixed_size: 0
    .sgpr_count:     18
    .sgpr_spill_count: 0
    .symbol:         _ZN7rocprim17ROCPRIM_400000_NS6detail17trampoline_kernelINS0_14default_configENS1_21merge_config_selectorIyNS0_10empty_typeEEEZNS1_10merge_implIS3_N6thrust23THRUST_200600_302600_NS6detail15normal_iteratorINS9_10device_ptrIKyEEEESF_NSB_INSC_IyEEEEPS5_SI_SI_NS9_7greaterIyEEEE10hipError_tPvRmT0_T1_T2_T3_T4_T5_mmT6_P12ihipStream_tbEUlT_E_NS1_11comp_targetILNS1_3genE4ELNS1_11target_archE910ELNS1_3gpuE8ELNS1_3repE0EEENS1_30default_config_static_selectorELNS0_4arch9wavefront6targetE1EEEvSP_.kd
    .uniform_work_group_size: 1
    .uses_dynamic_stack: false
    .vgpr_count:     16
    .vgpr_spill_count: 0
    .wavefront_size: 64
  - .agpr_count:     0
    .args:
      - .offset:         0
        .size:           48
        .value_kind:     by_value
    .group_segment_fixed_size: 0
    .kernarg_segment_align: 8
    .kernarg_segment_size: 48
    .language:       OpenCL C
    .language_version:
      - 2
      - 0
    .max_flat_workgroup_size: 256
    .name:           _ZN7rocprim17ROCPRIM_400000_NS6detail17trampoline_kernelINS0_14default_configENS1_21merge_config_selectorIyNS0_10empty_typeEEEZNS1_10merge_implIS3_N6thrust23THRUST_200600_302600_NS6detail15normal_iteratorINS9_10device_ptrIKyEEEESF_NSB_INSC_IyEEEEPS5_SI_SI_NS9_7greaterIyEEEE10hipError_tPvRmT0_T1_T2_T3_T4_T5_mmT6_P12ihipStream_tbEUlT_E_NS1_11comp_targetILNS1_3genE3ELNS1_11target_archE908ELNS1_3gpuE7ELNS1_3repE0EEENS1_30default_config_static_selectorELNS0_4arch9wavefront6targetE1EEEvSP_
    .private_segment_fixed_size: 0
    .sgpr_count:     4
    .sgpr_spill_count: 0
    .symbol:         _ZN7rocprim17ROCPRIM_400000_NS6detail17trampoline_kernelINS0_14default_configENS1_21merge_config_selectorIyNS0_10empty_typeEEEZNS1_10merge_implIS3_N6thrust23THRUST_200600_302600_NS6detail15normal_iteratorINS9_10device_ptrIKyEEEESF_NSB_INSC_IyEEEEPS5_SI_SI_NS9_7greaterIyEEEE10hipError_tPvRmT0_T1_T2_T3_T4_T5_mmT6_P12ihipStream_tbEUlT_E_NS1_11comp_targetILNS1_3genE3ELNS1_11target_archE908ELNS1_3gpuE7ELNS1_3repE0EEENS1_30default_config_static_selectorELNS0_4arch9wavefront6targetE1EEEvSP_.kd
    .uniform_work_group_size: 1
    .uses_dynamic_stack: false
    .vgpr_count:     0
    .vgpr_spill_count: 0
    .wavefront_size: 64
  - .agpr_count:     0
    .args:
      - .offset:         0
        .size:           48
        .value_kind:     by_value
    .group_segment_fixed_size: 0
    .kernarg_segment_align: 8
    .kernarg_segment_size: 48
    .language:       OpenCL C
    .language_version:
      - 2
      - 0
    .max_flat_workgroup_size: 256
    .name:           _ZN7rocprim17ROCPRIM_400000_NS6detail17trampoline_kernelINS0_14default_configENS1_21merge_config_selectorIyNS0_10empty_typeEEEZNS1_10merge_implIS3_N6thrust23THRUST_200600_302600_NS6detail15normal_iteratorINS9_10device_ptrIKyEEEESF_NSB_INSC_IyEEEEPS5_SI_SI_NS9_7greaterIyEEEE10hipError_tPvRmT0_T1_T2_T3_T4_T5_mmT6_P12ihipStream_tbEUlT_E_NS1_11comp_targetILNS1_3genE2ELNS1_11target_archE906ELNS1_3gpuE6ELNS1_3repE0EEENS1_30default_config_static_selectorELNS0_4arch9wavefront6targetE1EEEvSP_
    .private_segment_fixed_size: 0
    .sgpr_count:     4
    .sgpr_spill_count: 0
    .symbol:         _ZN7rocprim17ROCPRIM_400000_NS6detail17trampoline_kernelINS0_14default_configENS1_21merge_config_selectorIyNS0_10empty_typeEEEZNS1_10merge_implIS3_N6thrust23THRUST_200600_302600_NS6detail15normal_iteratorINS9_10device_ptrIKyEEEESF_NSB_INSC_IyEEEEPS5_SI_SI_NS9_7greaterIyEEEE10hipError_tPvRmT0_T1_T2_T3_T4_T5_mmT6_P12ihipStream_tbEUlT_E_NS1_11comp_targetILNS1_3genE2ELNS1_11target_archE906ELNS1_3gpuE6ELNS1_3repE0EEENS1_30default_config_static_selectorELNS0_4arch9wavefront6targetE1EEEvSP_.kd
    .uniform_work_group_size: 1
    .uses_dynamic_stack: false
    .vgpr_count:     0
    .vgpr_spill_count: 0
    .wavefront_size: 64
  - .agpr_count:     0
    .args:
      - .offset:         0
        .size:           48
        .value_kind:     by_value
    .group_segment_fixed_size: 0
    .kernarg_segment_align: 8
    .kernarg_segment_size: 48
    .language:       OpenCL C
    .language_version:
      - 2
      - 0
    .max_flat_workgroup_size: 512
    .name:           _ZN7rocprim17ROCPRIM_400000_NS6detail17trampoline_kernelINS0_14default_configENS1_21merge_config_selectorIyNS0_10empty_typeEEEZNS1_10merge_implIS3_N6thrust23THRUST_200600_302600_NS6detail15normal_iteratorINS9_10device_ptrIKyEEEESF_NSB_INSC_IyEEEEPS5_SI_SI_NS9_7greaterIyEEEE10hipError_tPvRmT0_T1_T2_T3_T4_T5_mmT6_P12ihipStream_tbEUlT_E_NS1_11comp_targetILNS1_3genE10ELNS1_11target_archE1201ELNS1_3gpuE5ELNS1_3repE0EEENS1_30default_config_static_selectorELNS0_4arch9wavefront6targetE1EEEvSP_
    .private_segment_fixed_size: 0
    .sgpr_count:     4
    .sgpr_spill_count: 0
    .symbol:         _ZN7rocprim17ROCPRIM_400000_NS6detail17trampoline_kernelINS0_14default_configENS1_21merge_config_selectorIyNS0_10empty_typeEEEZNS1_10merge_implIS3_N6thrust23THRUST_200600_302600_NS6detail15normal_iteratorINS9_10device_ptrIKyEEEESF_NSB_INSC_IyEEEEPS5_SI_SI_NS9_7greaterIyEEEE10hipError_tPvRmT0_T1_T2_T3_T4_T5_mmT6_P12ihipStream_tbEUlT_E_NS1_11comp_targetILNS1_3genE10ELNS1_11target_archE1201ELNS1_3gpuE5ELNS1_3repE0EEENS1_30default_config_static_selectorELNS0_4arch9wavefront6targetE1EEEvSP_.kd
    .uniform_work_group_size: 1
    .uses_dynamic_stack: false
    .vgpr_count:     0
    .vgpr_spill_count: 0
    .wavefront_size: 64
  - .agpr_count:     0
    .args:
      - .offset:         0
        .size:           48
        .value_kind:     by_value
    .group_segment_fixed_size: 0
    .kernarg_segment_align: 8
    .kernarg_segment_size: 48
    .language:       OpenCL C
    .language_version:
      - 2
      - 0
    .max_flat_workgroup_size: 1024
    .name:           _ZN7rocprim17ROCPRIM_400000_NS6detail17trampoline_kernelINS0_14default_configENS1_21merge_config_selectorIyNS0_10empty_typeEEEZNS1_10merge_implIS3_N6thrust23THRUST_200600_302600_NS6detail15normal_iteratorINS9_10device_ptrIKyEEEESF_NSB_INSC_IyEEEEPS5_SI_SI_NS9_7greaterIyEEEE10hipError_tPvRmT0_T1_T2_T3_T4_T5_mmT6_P12ihipStream_tbEUlT_E_NS1_11comp_targetILNS1_3genE10ELNS1_11target_archE1200ELNS1_3gpuE4ELNS1_3repE0EEENS1_30default_config_static_selectorELNS0_4arch9wavefront6targetE1EEEvSP_
    .private_segment_fixed_size: 0
    .sgpr_count:     4
    .sgpr_spill_count: 0
    .symbol:         _ZN7rocprim17ROCPRIM_400000_NS6detail17trampoline_kernelINS0_14default_configENS1_21merge_config_selectorIyNS0_10empty_typeEEEZNS1_10merge_implIS3_N6thrust23THRUST_200600_302600_NS6detail15normal_iteratorINS9_10device_ptrIKyEEEESF_NSB_INSC_IyEEEEPS5_SI_SI_NS9_7greaterIyEEEE10hipError_tPvRmT0_T1_T2_T3_T4_T5_mmT6_P12ihipStream_tbEUlT_E_NS1_11comp_targetILNS1_3genE10ELNS1_11target_archE1200ELNS1_3gpuE4ELNS1_3repE0EEENS1_30default_config_static_selectorELNS0_4arch9wavefront6targetE1EEEvSP_.kd
    .uniform_work_group_size: 1
    .uses_dynamic_stack: false
    .vgpr_count:     0
    .vgpr_spill_count: 0
    .wavefront_size: 64
  - .agpr_count:     0
    .args:
      - .offset:         0
        .size:           48
        .value_kind:     by_value
    .group_segment_fixed_size: 0
    .kernarg_segment_align: 8
    .kernarg_segment_size: 48
    .language:       OpenCL C
    .language_version:
      - 2
      - 0
    .max_flat_workgroup_size: 1024
    .name:           _ZN7rocprim17ROCPRIM_400000_NS6detail17trampoline_kernelINS0_14default_configENS1_21merge_config_selectorIyNS0_10empty_typeEEEZNS1_10merge_implIS3_N6thrust23THRUST_200600_302600_NS6detail15normal_iteratorINS9_10device_ptrIKyEEEESF_NSB_INSC_IyEEEEPS5_SI_SI_NS9_7greaterIyEEEE10hipError_tPvRmT0_T1_T2_T3_T4_T5_mmT6_P12ihipStream_tbEUlT_E_NS1_11comp_targetILNS1_3genE9ELNS1_11target_archE1100ELNS1_3gpuE3ELNS1_3repE0EEENS1_30default_config_static_selectorELNS0_4arch9wavefront6targetE1EEEvSP_
    .private_segment_fixed_size: 0
    .sgpr_count:     4
    .sgpr_spill_count: 0
    .symbol:         _ZN7rocprim17ROCPRIM_400000_NS6detail17trampoline_kernelINS0_14default_configENS1_21merge_config_selectorIyNS0_10empty_typeEEEZNS1_10merge_implIS3_N6thrust23THRUST_200600_302600_NS6detail15normal_iteratorINS9_10device_ptrIKyEEEESF_NSB_INSC_IyEEEEPS5_SI_SI_NS9_7greaterIyEEEE10hipError_tPvRmT0_T1_T2_T3_T4_T5_mmT6_P12ihipStream_tbEUlT_E_NS1_11comp_targetILNS1_3genE9ELNS1_11target_archE1100ELNS1_3gpuE3ELNS1_3repE0EEENS1_30default_config_static_selectorELNS0_4arch9wavefront6targetE1EEEvSP_.kd
    .uniform_work_group_size: 1
    .uses_dynamic_stack: false
    .vgpr_count:     0
    .vgpr_spill_count: 0
    .wavefront_size: 64
  - .agpr_count:     0
    .args:
      - .offset:         0
        .size:           48
        .value_kind:     by_value
    .group_segment_fixed_size: 0
    .kernarg_segment_align: 8
    .kernarg_segment_size: 48
    .language:       OpenCL C
    .language_version:
      - 2
      - 0
    .max_flat_workgroup_size: 256
    .name:           _ZN7rocprim17ROCPRIM_400000_NS6detail17trampoline_kernelINS0_14default_configENS1_21merge_config_selectorIyNS0_10empty_typeEEEZNS1_10merge_implIS3_N6thrust23THRUST_200600_302600_NS6detail15normal_iteratorINS9_10device_ptrIKyEEEESF_NSB_INSC_IyEEEEPS5_SI_SI_NS9_7greaterIyEEEE10hipError_tPvRmT0_T1_T2_T3_T4_T5_mmT6_P12ihipStream_tbEUlT_E_NS1_11comp_targetILNS1_3genE8ELNS1_11target_archE1030ELNS1_3gpuE2ELNS1_3repE0EEENS1_30default_config_static_selectorELNS0_4arch9wavefront6targetE1EEEvSP_
    .private_segment_fixed_size: 0
    .sgpr_count:     4
    .sgpr_spill_count: 0
    .symbol:         _ZN7rocprim17ROCPRIM_400000_NS6detail17trampoline_kernelINS0_14default_configENS1_21merge_config_selectorIyNS0_10empty_typeEEEZNS1_10merge_implIS3_N6thrust23THRUST_200600_302600_NS6detail15normal_iteratorINS9_10device_ptrIKyEEEESF_NSB_INSC_IyEEEEPS5_SI_SI_NS9_7greaterIyEEEE10hipError_tPvRmT0_T1_T2_T3_T4_T5_mmT6_P12ihipStream_tbEUlT_E_NS1_11comp_targetILNS1_3genE8ELNS1_11target_archE1030ELNS1_3gpuE2ELNS1_3repE0EEENS1_30default_config_static_selectorELNS0_4arch9wavefront6targetE1EEEvSP_.kd
    .uniform_work_group_size: 1
    .uses_dynamic_stack: false
    .vgpr_count:     0
    .vgpr_spill_count: 0
    .wavefront_size: 64
  - .agpr_count:     0
    .args:
      - .offset:         0
        .size:           88
        .value_kind:     by_value
    .group_segment_fixed_size: 0
    .kernarg_segment_align: 8
    .kernarg_segment_size: 88
    .language:       OpenCL C
    .language_version:
      - 2
      - 0
    .max_flat_workgroup_size: 256
    .name:           _ZN7rocprim17ROCPRIM_400000_NS6detail17trampoline_kernelINS0_14default_configENS1_21merge_config_selectorIyNS0_10empty_typeEEEZNS1_10merge_implIS3_N6thrust23THRUST_200600_302600_NS6detail15normal_iteratorINS9_10device_ptrIKyEEEESF_NSB_INSC_IyEEEEPS5_SI_SI_NS9_7greaterIyEEEE10hipError_tPvRmT0_T1_T2_T3_T4_T5_mmT6_P12ihipStream_tbEUlT_E0_NS1_11comp_targetILNS1_3genE0ELNS1_11target_archE4294967295ELNS1_3gpuE0ELNS1_3repE0EEENS1_30default_config_static_selectorELNS0_4arch9wavefront6targetE1EEEvSP_
    .private_segment_fixed_size: 0
    .sgpr_count:     4
    .sgpr_spill_count: 0
    .symbol:         _ZN7rocprim17ROCPRIM_400000_NS6detail17trampoline_kernelINS0_14default_configENS1_21merge_config_selectorIyNS0_10empty_typeEEEZNS1_10merge_implIS3_N6thrust23THRUST_200600_302600_NS6detail15normal_iteratorINS9_10device_ptrIKyEEEESF_NSB_INSC_IyEEEEPS5_SI_SI_NS9_7greaterIyEEEE10hipError_tPvRmT0_T1_T2_T3_T4_T5_mmT6_P12ihipStream_tbEUlT_E0_NS1_11comp_targetILNS1_3genE0ELNS1_11target_archE4294967295ELNS1_3gpuE0ELNS1_3repE0EEENS1_30default_config_static_selectorELNS0_4arch9wavefront6targetE1EEEvSP_.kd
    .uniform_work_group_size: 1
    .uses_dynamic_stack: false
    .vgpr_count:     0
    .vgpr_spill_count: 0
    .wavefront_size: 64
  - .agpr_count:     0
    .args:
      - .offset:         0
        .size:           88
        .value_kind:     by_value
    .group_segment_fixed_size: 0
    .kernarg_segment_align: 8
    .kernarg_segment_size: 88
    .language:       OpenCL C
    .language_version:
      - 2
      - 0
    .max_flat_workgroup_size: 256
    .name:           _ZN7rocprim17ROCPRIM_400000_NS6detail17trampoline_kernelINS0_14default_configENS1_21merge_config_selectorIyNS0_10empty_typeEEEZNS1_10merge_implIS3_N6thrust23THRUST_200600_302600_NS6detail15normal_iteratorINS9_10device_ptrIKyEEEESF_NSB_INSC_IyEEEEPS5_SI_SI_NS9_7greaterIyEEEE10hipError_tPvRmT0_T1_T2_T3_T4_T5_mmT6_P12ihipStream_tbEUlT_E0_NS1_11comp_targetILNS1_3genE5ELNS1_11target_archE942ELNS1_3gpuE9ELNS1_3repE0EEENS1_30default_config_static_selectorELNS0_4arch9wavefront6targetE1EEEvSP_
    .private_segment_fixed_size: 0
    .sgpr_count:     4
    .sgpr_spill_count: 0
    .symbol:         _ZN7rocprim17ROCPRIM_400000_NS6detail17trampoline_kernelINS0_14default_configENS1_21merge_config_selectorIyNS0_10empty_typeEEEZNS1_10merge_implIS3_N6thrust23THRUST_200600_302600_NS6detail15normal_iteratorINS9_10device_ptrIKyEEEESF_NSB_INSC_IyEEEEPS5_SI_SI_NS9_7greaterIyEEEE10hipError_tPvRmT0_T1_T2_T3_T4_T5_mmT6_P12ihipStream_tbEUlT_E0_NS1_11comp_targetILNS1_3genE5ELNS1_11target_archE942ELNS1_3gpuE9ELNS1_3repE0EEENS1_30default_config_static_selectorELNS0_4arch9wavefront6targetE1EEEvSP_.kd
    .uniform_work_group_size: 1
    .uses_dynamic_stack: false
    .vgpr_count:     0
    .vgpr_spill_count: 0
    .wavefront_size: 64
  - .agpr_count:     0
    .args:
      - .offset:         0
        .size:           88
        .value_kind:     by_value
    .group_segment_fixed_size: 8448
    .kernarg_segment_align: 8
    .kernarg_segment_size: 88
    .language:       OpenCL C
    .language_version:
      - 2
      - 0
    .max_flat_workgroup_size: 256
    .name:           _ZN7rocprim17ROCPRIM_400000_NS6detail17trampoline_kernelINS0_14default_configENS1_21merge_config_selectorIyNS0_10empty_typeEEEZNS1_10merge_implIS3_N6thrust23THRUST_200600_302600_NS6detail15normal_iteratorINS9_10device_ptrIKyEEEESF_NSB_INSC_IyEEEEPS5_SI_SI_NS9_7greaterIyEEEE10hipError_tPvRmT0_T1_T2_T3_T4_T5_mmT6_P12ihipStream_tbEUlT_E0_NS1_11comp_targetILNS1_3genE4ELNS1_11target_archE910ELNS1_3gpuE8ELNS1_3repE0EEENS1_30default_config_static_selectorELNS0_4arch9wavefront6targetE1EEEvSP_
    .private_segment_fixed_size: 0
    .sgpr_count:     22
    .sgpr_spill_count: 0
    .symbol:         _ZN7rocprim17ROCPRIM_400000_NS6detail17trampoline_kernelINS0_14default_configENS1_21merge_config_selectorIyNS0_10empty_typeEEEZNS1_10merge_implIS3_N6thrust23THRUST_200600_302600_NS6detail15normal_iteratorINS9_10device_ptrIKyEEEESF_NSB_INSC_IyEEEEPS5_SI_SI_NS9_7greaterIyEEEE10hipError_tPvRmT0_T1_T2_T3_T4_T5_mmT6_P12ihipStream_tbEUlT_E0_NS1_11comp_targetILNS1_3genE4ELNS1_11target_archE910ELNS1_3gpuE8ELNS1_3repE0EEENS1_30default_config_static_selectorELNS0_4arch9wavefront6targetE1EEEvSP_.kd
    .uniform_work_group_size: 1
    .uses_dynamic_stack: false
    .vgpr_count:     23
    .vgpr_spill_count: 0
    .wavefront_size: 64
  - .agpr_count:     0
    .args:
      - .offset:         0
        .size:           88
        .value_kind:     by_value
    .group_segment_fixed_size: 0
    .kernarg_segment_align: 8
    .kernarg_segment_size: 88
    .language:       OpenCL C
    .language_version:
      - 2
      - 0
    .max_flat_workgroup_size: 256
    .name:           _ZN7rocprim17ROCPRIM_400000_NS6detail17trampoline_kernelINS0_14default_configENS1_21merge_config_selectorIyNS0_10empty_typeEEEZNS1_10merge_implIS3_N6thrust23THRUST_200600_302600_NS6detail15normal_iteratorINS9_10device_ptrIKyEEEESF_NSB_INSC_IyEEEEPS5_SI_SI_NS9_7greaterIyEEEE10hipError_tPvRmT0_T1_T2_T3_T4_T5_mmT6_P12ihipStream_tbEUlT_E0_NS1_11comp_targetILNS1_3genE3ELNS1_11target_archE908ELNS1_3gpuE7ELNS1_3repE0EEENS1_30default_config_static_selectorELNS0_4arch9wavefront6targetE1EEEvSP_
    .private_segment_fixed_size: 0
    .sgpr_count:     4
    .sgpr_spill_count: 0
    .symbol:         _ZN7rocprim17ROCPRIM_400000_NS6detail17trampoline_kernelINS0_14default_configENS1_21merge_config_selectorIyNS0_10empty_typeEEEZNS1_10merge_implIS3_N6thrust23THRUST_200600_302600_NS6detail15normal_iteratorINS9_10device_ptrIKyEEEESF_NSB_INSC_IyEEEEPS5_SI_SI_NS9_7greaterIyEEEE10hipError_tPvRmT0_T1_T2_T3_T4_T5_mmT6_P12ihipStream_tbEUlT_E0_NS1_11comp_targetILNS1_3genE3ELNS1_11target_archE908ELNS1_3gpuE7ELNS1_3repE0EEENS1_30default_config_static_selectorELNS0_4arch9wavefront6targetE1EEEvSP_.kd
    .uniform_work_group_size: 1
    .uses_dynamic_stack: false
    .vgpr_count:     0
    .vgpr_spill_count: 0
    .wavefront_size: 64
  - .agpr_count:     0
    .args:
      - .offset:         0
        .size:           88
        .value_kind:     by_value
    .group_segment_fixed_size: 0
    .kernarg_segment_align: 8
    .kernarg_segment_size: 88
    .language:       OpenCL C
    .language_version:
      - 2
      - 0
    .max_flat_workgroup_size: 256
    .name:           _ZN7rocprim17ROCPRIM_400000_NS6detail17trampoline_kernelINS0_14default_configENS1_21merge_config_selectorIyNS0_10empty_typeEEEZNS1_10merge_implIS3_N6thrust23THRUST_200600_302600_NS6detail15normal_iteratorINS9_10device_ptrIKyEEEESF_NSB_INSC_IyEEEEPS5_SI_SI_NS9_7greaterIyEEEE10hipError_tPvRmT0_T1_T2_T3_T4_T5_mmT6_P12ihipStream_tbEUlT_E0_NS1_11comp_targetILNS1_3genE2ELNS1_11target_archE906ELNS1_3gpuE6ELNS1_3repE0EEENS1_30default_config_static_selectorELNS0_4arch9wavefront6targetE1EEEvSP_
    .private_segment_fixed_size: 0
    .sgpr_count:     4
    .sgpr_spill_count: 0
    .symbol:         _ZN7rocprim17ROCPRIM_400000_NS6detail17trampoline_kernelINS0_14default_configENS1_21merge_config_selectorIyNS0_10empty_typeEEEZNS1_10merge_implIS3_N6thrust23THRUST_200600_302600_NS6detail15normal_iteratorINS9_10device_ptrIKyEEEESF_NSB_INSC_IyEEEEPS5_SI_SI_NS9_7greaterIyEEEE10hipError_tPvRmT0_T1_T2_T3_T4_T5_mmT6_P12ihipStream_tbEUlT_E0_NS1_11comp_targetILNS1_3genE2ELNS1_11target_archE906ELNS1_3gpuE6ELNS1_3repE0EEENS1_30default_config_static_selectorELNS0_4arch9wavefront6targetE1EEEvSP_.kd
    .uniform_work_group_size: 1
    .uses_dynamic_stack: false
    .vgpr_count:     0
    .vgpr_spill_count: 0
    .wavefront_size: 64
  - .agpr_count:     0
    .args:
      - .offset:         0
        .size:           88
        .value_kind:     by_value
    .group_segment_fixed_size: 0
    .kernarg_segment_align: 8
    .kernarg_segment_size: 88
    .language:       OpenCL C
    .language_version:
      - 2
      - 0
    .max_flat_workgroup_size: 512
    .name:           _ZN7rocprim17ROCPRIM_400000_NS6detail17trampoline_kernelINS0_14default_configENS1_21merge_config_selectorIyNS0_10empty_typeEEEZNS1_10merge_implIS3_N6thrust23THRUST_200600_302600_NS6detail15normal_iteratorINS9_10device_ptrIKyEEEESF_NSB_INSC_IyEEEEPS5_SI_SI_NS9_7greaterIyEEEE10hipError_tPvRmT0_T1_T2_T3_T4_T5_mmT6_P12ihipStream_tbEUlT_E0_NS1_11comp_targetILNS1_3genE10ELNS1_11target_archE1201ELNS1_3gpuE5ELNS1_3repE0EEENS1_30default_config_static_selectorELNS0_4arch9wavefront6targetE1EEEvSP_
    .private_segment_fixed_size: 0
    .sgpr_count:     4
    .sgpr_spill_count: 0
    .symbol:         _ZN7rocprim17ROCPRIM_400000_NS6detail17trampoline_kernelINS0_14default_configENS1_21merge_config_selectorIyNS0_10empty_typeEEEZNS1_10merge_implIS3_N6thrust23THRUST_200600_302600_NS6detail15normal_iteratorINS9_10device_ptrIKyEEEESF_NSB_INSC_IyEEEEPS5_SI_SI_NS9_7greaterIyEEEE10hipError_tPvRmT0_T1_T2_T3_T4_T5_mmT6_P12ihipStream_tbEUlT_E0_NS1_11comp_targetILNS1_3genE10ELNS1_11target_archE1201ELNS1_3gpuE5ELNS1_3repE0EEENS1_30default_config_static_selectorELNS0_4arch9wavefront6targetE1EEEvSP_.kd
    .uniform_work_group_size: 1
    .uses_dynamic_stack: false
    .vgpr_count:     0
    .vgpr_spill_count: 0
    .wavefront_size: 64
  - .agpr_count:     0
    .args:
      - .offset:         0
        .size:           88
        .value_kind:     by_value
    .group_segment_fixed_size: 0
    .kernarg_segment_align: 8
    .kernarg_segment_size: 88
    .language:       OpenCL C
    .language_version:
      - 2
      - 0
    .max_flat_workgroup_size: 1024
    .name:           _ZN7rocprim17ROCPRIM_400000_NS6detail17trampoline_kernelINS0_14default_configENS1_21merge_config_selectorIyNS0_10empty_typeEEEZNS1_10merge_implIS3_N6thrust23THRUST_200600_302600_NS6detail15normal_iteratorINS9_10device_ptrIKyEEEESF_NSB_INSC_IyEEEEPS5_SI_SI_NS9_7greaterIyEEEE10hipError_tPvRmT0_T1_T2_T3_T4_T5_mmT6_P12ihipStream_tbEUlT_E0_NS1_11comp_targetILNS1_3genE10ELNS1_11target_archE1200ELNS1_3gpuE4ELNS1_3repE0EEENS1_30default_config_static_selectorELNS0_4arch9wavefront6targetE1EEEvSP_
    .private_segment_fixed_size: 0
    .sgpr_count:     4
    .sgpr_spill_count: 0
    .symbol:         _ZN7rocprim17ROCPRIM_400000_NS6detail17trampoline_kernelINS0_14default_configENS1_21merge_config_selectorIyNS0_10empty_typeEEEZNS1_10merge_implIS3_N6thrust23THRUST_200600_302600_NS6detail15normal_iteratorINS9_10device_ptrIKyEEEESF_NSB_INSC_IyEEEEPS5_SI_SI_NS9_7greaterIyEEEE10hipError_tPvRmT0_T1_T2_T3_T4_T5_mmT6_P12ihipStream_tbEUlT_E0_NS1_11comp_targetILNS1_3genE10ELNS1_11target_archE1200ELNS1_3gpuE4ELNS1_3repE0EEENS1_30default_config_static_selectorELNS0_4arch9wavefront6targetE1EEEvSP_.kd
    .uniform_work_group_size: 1
    .uses_dynamic_stack: false
    .vgpr_count:     0
    .vgpr_spill_count: 0
    .wavefront_size: 64
  - .agpr_count:     0
    .args:
      - .offset:         0
        .size:           88
        .value_kind:     by_value
    .group_segment_fixed_size: 0
    .kernarg_segment_align: 8
    .kernarg_segment_size: 88
    .language:       OpenCL C
    .language_version:
      - 2
      - 0
    .max_flat_workgroup_size: 1024
    .name:           _ZN7rocprim17ROCPRIM_400000_NS6detail17trampoline_kernelINS0_14default_configENS1_21merge_config_selectorIyNS0_10empty_typeEEEZNS1_10merge_implIS3_N6thrust23THRUST_200600_302600_NS6detail15normal_iteratorINS9_10device_ptrIKyEEEESF_NSB_INSC_IyEEEEPS5_SI_SI_NS9_7greaterIyEEEE10hipError_tPvRmT0_T1_T2_T3_T4_T5_mmT6_P12ihipStream_tbEUlT_E0_NS1_11comp_targetILNS1_3genE9ELNS1_11target_archE1100ELNS1_3gpuE3ELNS1_3repE0EEENS1_30default_config_static_selectorELNS0_4arch9wavefront6targetE1EEEvSP_
    .private_segment_fixed_size: 0
    .sgpr_count:     4
    .sgpr_spill_count: 0
    .symbol:         _ZN7rocprim17ROCPRIM_400000_NS6detail17trampoline_kernelINS0_14default_configENS1_21merge_config_selectorIyNS0_10empty_typeEEEZNS1_10merge_implIS3_N6thrust23THRUST_200600_302600_NS6detail15normal_iteratorINS9_10device_ptrIKyEEEESF_NSB_INSC_IyEEEEPS5_SI_SI_NS9_7greaterIyEEEE10hipError_tPvRmT0_T1_T2_T3_T4_T5_mmT6_P12ihipStream_tbEUlT_E0_NS1_11comp_targetILNS1_3genE9ELNS1_11target_archE1100ELNS1_3gpuE3ELNS1_3repE0EEENS1_30default_config_static_selectorELNS0_4arch9wavefront6targetE1EEEvSP_.kd
    .uniform_work_group_size: 1
    .uses_dynamic_stack: false
    .vgpr_count:     0
    .vgpr_spill_count: 0
    .wavefront_size: 64
  - .agpr_count:     0
    .args:
      - .offset:         0
        .size:           88
        .value_kind:     by_value
    .group_segment_fixed_size: 0
    .kernarg_segment_align: 8
    .kernarg_segment_size: 88
    .language:       OpenCL C
    .language_version:
      - 2
      - 0
    .max_flat_workgroup_size: 256
    .name:           _ZN7rocprim17ROCPRIM_400000_NS6detail17trampoline_kernelINS0_14default_configENS1_21merge_config_selectorIyNS0_10empty_typeEEEZNS1_10merge_implIS3_N6thrust23THRUST_200600_302600_NS6detail15normal_iteratorINS9_10device_ptrIKyEEEESF_NSB_INSC_IyEEEEPS5_SI_SI_NS9_7greaterIyEEEE10hipError_tPvRmT0_T1_T2_T3_T4_T5_mmT6_P12ihipStream_tbEUlT_E0_NS1_11comp_targetILNS1_3genE8ELNS1_11target_archE1030ELNS1_3gpuE2ELNS1_3repE0EEENS1_30default_config_static_selectorELNS0_4arch9wavefront6targetE1EEEvSP_
    .private_segment_fixed_size: 0
    .sgpr_count:     4
    .sgpr_spill_count: 0
    .symbol:         _ZN7rocprim17ROCPRIM_400000_NS6detail17trampoline_kernelINS0_14default_configENS1_21merge_config_selectorIyNS0_10empty_typeEEEZNS1_10merge_implIS3_N6thrust23THRUST_200600_302600_NS6detail15normal_iteratorINS9_10device_ptrIKyEEEESF_NSB_INSC_IyEEEEPS5_SI_SI_NS9_7greaterIyEEEE10hipError_tPvRmT0_T1_T2_T3_T4_T5_mmT6_P12ihipStream_tbEUlT_E0_NS1_11comp_targetILNS1_3genE8ELNS1_11target_archE1030ELNS1_3gpuE2ELNS1_3repE0EEENS1_30default_config_static_selectorELNS0_4arch9wavefront6targetE1EEEvSP_.kd
    .uniform_work_group_size: 1
    .uses_dynamic_stack: false
    .vgpr_count:     0
    .vgpr_spill_count: 0
    .wavefront_size: 64
  - .agpr_count:     0
    .args:
      - .offset:         0
        .size:           48
        .value_kind:     by_value
    .group_segment_fixed_size: 0
    .kernarg_segment_align: 8
    .kernarg_segment_size: 48
    .language:       OpenCL C
    .language_version:
      - 2
      - 0
    .max_flat_workgroup_size: 256
    .name:           _ZN7rocprim17ROCPRIM_400000_NS6detail17trampoline_kernelINS0_14default_configENS1_21merge_config_selectorIjNS0_10empty_typeEEEZNS1_10merge_implIS3_N6thrust23THRUST_200600_302600_NS6detail15normal_iteratorINS9_10device_ptrIKjEEEESF_NSB_INSC_IjEEEEPS5_SI_SI_NS9_7greaterIjEEEE10hipError_tPvRmT0_T1_T2_T3_T4_T5_mmT6_P12ihipStream_tbEUlT_E_NS1_11comp_targetILNS1_3genE0ELNS1_11target_archE4294967295ELNS1_3gpuE0ELNS1_3repE0EEENS1_30default_config_static_selectorELNS0_4arch9wavefront6targetE1EEEvSP_
    .private_segment_fixed_size: 0
    .sgpr_count:     4
    .sgpr_spill_count: 0
    .symbol:         _ZN7rocprim17ROCPRIM_400000_NS6detail17trampoline_kernelINS0_14default_configENS1_21merge_config_selectorIjNS0_10empty_typeEEEZNS1_10merge_implIS3_N6thrust23THRUST_200600_302600_NS6detail15normal_iteratorINS9_10device_ptrIKjEEEESF_NSB_INSC_IjEEEEPS5_SI_SI_NS9_7greaterIjEEEE10hipError_tPvRmT0_T1_T2_T3_T4_T5_mmT6_P12ihipStream_tbEUlT_E_NS1_11comp_targetILNS1_3genE0ELNS1_11target_archE4294967295ELNS1_3gpuE0ELNS1_3repE0EEENS1_30default_config_static_selectorELNS0_4arch9wavefront6targetE1EEEvSP_.kd
    .uniform_work_group_size: 1
    .uses_dynamic_stack: false
    .vgpr_count:     0
    .vgpr_spill_count: 0
    .wavefront_size: 64
  - .agpr_count:     0
    .args:
      - .offset:         0
        .size:           48
        .value_kind:     by_value
    .group_segment_fixed_size: 0
    .kernarg_segment_align: 8
    .kernarg_segment_size: 48
    .language:       OpenCL C
    .language_version:
      - 2
      - 0
    .max_flat_workgroup_size: 256
    .name:           _ZN7rocprim17ROCPRIM_400000_NS6detail17trampoline_kernelINS0_14default_configENS1_21merge_config_selectorIjNS0_10empty_typeEEEZNS1_10merge_implIS3_N6thrust23THRUST_200600_302600_NS6detail15normal_iteratorINS9_10device_ptrIKjEEEESF_NSB_INSC_IjEEEEPS5_SI_SI_NS9_7greaterIjEEEE10hipError_tPvRmT0_T1_T2_T3_T4_T5_mmT6_P12ihipStream_tbEUlT_E_NS1_11comp_targetILNS1_3genE5ELNS1_11target_archE942ELNS1_3gpuE9ELNS1_3repE0EEENS1_30default_config_static_selectorELNS0_4arch9wavefront6targetE1EEEvSP_
    .private_segment_fixed_size: 0
    .sgpr_count:     4
    .sgpr_spill_count: 0
    .symbol:         _ZN7rocprim17ROCPRIM_400000_NS6detail17trampoline_kernelINS0_14default_configENS1_21merge_config_selectorIjNS0_10empty_typeEEEZNS1_10merge_implIS3_N6thrust23THRUST_200600_302600_NS6detail15normal_iteratorINS9_10device_ptrIKjEEEESF_NSB_INSC_IjEEEEPS5_SI_SI_NS9_7greaterIjEEEE10hipError_tPvRmT0_T1_T2_T3_T4_T5_mmT6_P12ihipStream_tbEUlT_E_NS1_11comp_targetILNS1_3genE5ELNS1_11target_archE942ELNS1_3gpuE9ELNS1_3repE0EEENS1_30default_config_static_selectorELNS0_4arch9wavefront6targetE1EEEvSP_.kd
    .uniform_work_group_size: 1
    .uses_dynamic_stack: false
    .vgpr_count:     0
    .vgpr_spill_count: 0
    .wavefront_size: 64
  - .agpr_count:     0
    .args:
      - .offset:         0
        .size:           48
        .value_kind:     by_value
      - .offset:         48
        .size:           4
        .value_kind:     hidden_block_count_x
      - .offset:         52
        .size:           4
        .value_kind:     hidden_block_count_y
      - .offset:         56
        .size:           4
        .value_kind:     hidden_block_count_z
      - .offset:         60
        .size:           2
        .value_kind:     hidden_group_size_x
      - .offset:         62
        .size:           2
        .value_kind:     hidden_group_size_y
      - .offset:         64
        .size:           2
        .value_kind:     hidden_group_size_z
      - .offset:         66
        .size:           2
        .value_kind:     hidden_remainder_x
      - .offset:         68
        .size:           2
        .value_kind:     hidden_remainder_y
      - .offset:         70
        .size:           2
        .value_kind:     hidden_remainder_z
      - .offset:         88
        .size:           8
        .value_kind:     hidden_global_offset_x
      - .offset:         96
        .size:           8
        .value_kind:     hidden_global_offset_y
      - .offset:         104
        .size:           8
        .value_kind:     hidden_global_offset_z
      - .offset:         112
        .size:           2
        .value_kind:     hidden_grid_dims
    .group_segment_fixed_size: 0
    .kernarg_segment_align: 8
    .kernarg_segment_size: 304
    .language:       OpenCL C
    .language_version:
      - 2
      - 0
    .max_flat_workgroup_size: 256
    .name:           _ZN7rocprim17ROCPRIM_400000_NS6detail17trampoline_kernelINS0_14default_configENS1_21merge_config_selectorIjNS0_10empty_typeEEEZNS1_10merge_implIS3_N6thrust23THRUST_200600_302600_NS6detail15normal_iteratorINS9_10device_ptrIKjEEEESF_NSB_INSC_IjEEEEPS5_SI_SI_NS9_7greaterIjEEEE10hipError_tPvRmT0_T1_T2_T3_T4_T5_mmT6_P12ihipStream_tbEUlT_E_NS1_11comp_targetILNS1_3genE4ELNS1_11target_archE910ELNS1_3gpuE8ELNS1_3repE0EEENS1_30default_config_static_selectorELNS0_4arch9wavefront6targetE1EEEvSP_
    .private_segment_fixed_size: 0
    .sgpr_count:     18
    .sgpr_spill_count: 0
    .symbol:         _ZN7rocprim17ROCPRIM_400000_NS6detail17trampoline_kernelINS0_14default_configENS1_21merge_config_selectorIjNS0_10empty_typeEEEZNS1_10merge_implIS3_N6thrust23THRUST_200600_302600_NS6detail15normal_iteratorINS9_10device_ptrIKjEEEESF_NSB_INSC_IjEEEEPS5_SI_SI_NS9_7greaterIjEEEE10hipError_tPvRmT0_T1_T2_T3_T4_T5_mmT6_P12ihipStream_tbEUlT_E_NS1_11comp_targetILNS1_3genE4ELNS1_11target_archE910ELNS1_3gpuE8ELNS1_3repE0EEENS1_30default_config_static_selectorELNS0_4arch9wavefront6targetE1EEEvSP_.kd
    .uniform_work_group_size: 1
    .uses_dynamic_stack: false
    .vgpr_count:     14
    .vgpr_spill_count: 0
    .wavefront_size: 64
  - .agpr_count:     0
    .args:
      - .offset:         0
        .size:           48
        .value_kind:     by_value
    .group_segment_fixed_size: 0
    .kernarg_segment_align: 8
    .kernarg_segment_size: 48
    .language:       OpenCL C
    .language_version:
      - 2
      - 0
    .max_flat_workgroup_size: 256
    .name:           _ZN7rocprim17ROCPRIM_400000_NS6detail17trampoline_kernelINS0_14default_configENS1_21merge_config_selectorIjNS0_10empty_typeEEEZNS1_10merge_implIS3_N6thrust23THRUST_200600_302600_NS6detail15normal_iteratorINS9_10device_ptrIKjEEEESF_NSB_INSC_IjEEEEPS5_SI_SI_NS9_7greaterIjEEEE10hipError_tPvRmT0_T1_T2_T3_T4_T5_mmT6_P12ihipStream_tbEUlT_E_NS1_11comp_targetILNS1_3genE3ELNS1_11target_archE908ELNS1_3gpuE7ELNS1_3repE0EEENS1_30default_config_static_selectorELNS0_4arch9wavefront6targetE1EEEvSP_
    .private_segment_fixed_size: 0
    .sgpr_count:     4
    .sgpr_spill_count: 0
    .symbol:         _ZN7rocprim17ROCPRIM_400000_NS6detail17trampoline_kernelINS0_14default_configENS1_21merge_config_selectorIjNS0_10empty_typeEEEZNS1_10merge_implIS3_N6thrust23THRUST_200600_302600_NS6detail15normal_iteratorINS9_10device_ptrIKjEEEESF_NSB_INSC_IjEEEEPS5_SI_SI_NS9_7greaterIjEEEE10hipError_tPvRmT0_T1_T2_T3_T4_T5_mmT6_P12ihipStream_tbEUlT_E_NS1_11comp_targetILNS1_3genE3ELNS1_11target_archE908ELNS1_3gpuE7ELNS1_3repE0EEENS1_30default_config_static_selectorELNS0_4arch9wavefront6targetE1EEEvSP_.kd
    .uniform_work_group_size: 1
    .uses_dynamic_stack: false
    .vgpr_count:     0
    .vgpr_spill_count: 0
    .wavefront_size: 64
  - .agpr_count:     0
    .args:
      - .offset:         0
        .size:           48
        .value_kind:     by_value
    .group_segment_fixed_size: 0
    .kernarg_segment_align: 8
    .kernarg_segment_size: 48
    .language:       OpenCL C
    .language_version:
      - 2
      - 0
    .max_flat_workgroup_size: 256
    .name:           _ZN7rocprim17ROCPRIM_400000_NS6detail17trampoline_kernelINS0_14default_configENS1_21merge_config_selectorIjNS0_10empty_typeEEEZNS1_10merge_implIS3_N6thrust23THRUST_200600_302600_NS6detail15normal_iteratorINS9_10device_ptrIKjEEEESF_NSB_INSC_IjEEEEPS5_SI_SI_NS9_7greaterIjEEEE10hipError_tPvRmT0_T1_T2_T3_T4_T5_mmT6_P12ihipStream_tbEUlT_E_NS1_11comp_targetILNS1_3genE2ELNS1_11target_archE906ELNS1_3gpuE6ELNS1_3repE0EEENS1_30default_config_static_selectorELNS0_4arch9wavefront6targetE1EEEvSP_
    .private_segment_fixed_size: 0
    .sgpr_count:     4
    .sgpr_spill_count: 0
    .symbol:         _ZN7rocprim17ROCPRIM_400000_NS6detail17trampoline_kernelINS0_14default_configENS1_21merge_config_selectorIjNS0_10empty_typeEEEZNS1_10merge_implIS3_N6thrust23THRUST_200600_302600_NS6detail15normal_iteratorINS9_10device_ptrIKjEEEESF_NSB_INSC_IjEEEEPS5_SI_SI_NS9_7greaterIjEEEE10hipError_tPvRmT0_T1_T2_T3_T4_T5_mmT6_P12ihipStream_tbEUlT_E_NS1_11comp_targetILNS1_3genE2ELNS1_11target_archE906ELNS1_3gpuE6ELNS1_3repE0EEENS1_30default_config_static_selectorELNS0_4arch9wavefront6targetE1EEEvSP_.kd
    .uniform_work_group_size: 1
    .uses_dynamic_stack: false
    .vgpr_count:     0
    .vgpr_spill_count: 0
    .wavefront_size: 64
  - .agpr_count:     0
    .args:
      - .offset:         0
        .size:           48
        .value_kind:     by_value
    .group_segment_fixed_size: 0
    .kernarg_segment_align: 8
    .kernarg_segment_size: 48
    .language:       OpenCL C
    .language_version:
      - 2
      - 0
    .max_flat_workgroup_size: 1024
    .name:           _ZN7rocprim17ROCPRIM_400000_NS6detail17trampoline_kernelINS0_14default_configENS1_21merge_config_selectorIjNS0_10empty_typeEEEZNS1_10merge_implIS3_N6thrust23THRUST_200600_302600_NS6detail15normal_iteratorINS9_10device_ptrIKjEEEESF_NSB_INSC_IjEEEEPS5_SI_SI_NS9_7greaterIjEEEE10hipError_tPvRmT0_T1_T2_T3_T4_T5_mmT6_P12ihipStream_tbEUlT_E_NS1_11comp_targetILNS1_3genE10ELNS1_11target_archE1201ELNS1_3gpuE5ELNS1_3repE0EEENS1_30default_config_static_selectorELNS0_4arch9wavefront6targetE1EEEvSP_
    .private_segment_fixed_size: 0
    .sgpr_count:     4
    .sgpr_spill_count: 0
    .symbol:         _ZN7rocprim17ROCPRIM_400000_NS6detail17trampoline_kernelINS0_14default_configENS1_21merge_config_selectorIjNS0_10empty_typeEEEZNS1_10merge_implIS3_N6thrust23THRUST_200600_302600_NS6detail15normal_iteratorINS9_10device_ptrIKjEEEESF_NSB_INSC_IjEEEEPS5_SI_SI_NS9_7greaterIjEEEE10hipError_tPvRmT0_T1_T2_T3_T4_T5_mmT6_P12ihipStream_tbEUlT_E_NS1_11comp_targetILNS1_3genE10ELNS1_11target_archE1201ELNS1_3gpuE5ELNS1_3repE0EEENS1_30default_config_static_selectorELNS0_4arch9wavefront6targetE1EEEvSP_.kd
    .uniform_work_group_size: 1
    .uses_dynamic_stack: false
    .vgpr_count:     0
    .vgpr_spill_count: 0
    .wavefront_size: 64
  - .agpr_count:     0
    .args:
      - .offset:         0
        .size:           48
        .value_kind:     by_value
    .group_segment_fixed_size: 0
    .kernarg_segment_align: 8
    .kernarg_segment_size: 48
    .language:       OpenCL C
    .language_version:
      - 2
      - 0
    .max_flat_workgroup_size: 1024
    .name:           _ZN7rocprim17ROCPRIM_400000_NS6detail17trampoline_kernelINS0_14default_configENS1_21merge_config_selectorIjNS0_10empty_typeEEEZNS1_10merge_implIS3_N6thrust23THRUST_200600_302600_NS6detail15normal_iteratorINS9_10device_ptrIKjEEEESF_NSB_INSC_IjEEEEPS5_SI_SI_NS9_7greaterIjEEEE10hipError_tPvRmT0_T1_T2_T3_T4_T5_mmT6_P12ihipStream_tbEUlT_E_NS1_11comp_targetILNS1_3genE10ELNS1_11target_archE1200ELNS1_3gpuE4ELNS1_3repE0EEENS1_30default_config_static_selectorELNS0_4arch9wavefront6targetE1EEEvSP_
    .private_segment_fixed_size: 0
    .sgpr_count:     4
    .sgpr_spill_count: 0
    .symbol:         _ZN7rocprim17ROCPRIM_400000_NS6detail17trampoline_kernelINS0_14default_configENS1_21merge_config_selectorIjNS0_10empty_typeEEEZNS1_10merge_implIS3_N6thrust23THRUST_200600_302600_NS6detail15normal_iteratorINS9_10device_ptrIKjEEEESF_NSB_INSC_IjEEEEPS5_SI_SI_NS9_7greaterIjEEEE10hipError_tPvRmT0_T1_T2_T3_T4_T5_mmT6_P12ihipStream_tbEUlT_E_NS1_11comp_targetILNS1_3genE10ELNS1_11target_archE1200ELNS1_3gpuE4ELNS1_3repE0EEENS1_30default_config_static_selectorELNS0_4arch9wavefront6targetE1EEEvSP_.kd
    .uniform_work_group_size: 1
    .uses_dynamic_stack: false
    .vgpr_count:     0
    .vgpr_spill_count: 0
    .wavefront_size: 64
  - .agpr_count:     0
    .args:
      - .offset:         0
        .size:           48
        .value_kind:     by_value
    .group_segment_fixed_size: 0
    .kernarg_segment_align: 8
    .kernarg_segment_size: 48
    .language:       OpenCL C
    .language_version:
      - 2
      - 0
    .max_flat_workgroup_size: 1024
    .name:           _ZN7rocprim17ROCPRIM_400000_NS6detail17trampoline_kernelINS0_14default_configENS1_21merge_config_selectorIjNS0_10empty_typeEEEZNS1_10merge_implIS3_N6thrust23THRUST_200600_302600_NS6detail15normal_iteratorINS9_10device_ptrIKjEEEESF_NSB_INSC_IjEEEEPS5_SI_SI_NS9_7greaterIjEEEE10hipError_tPvRmT0_T1_T2_T3_T4_T5_mmT6_P12ihipStream_tbEUlT_E_NS1_11comp_targetILNS1_3genE9ELNS1_11target_archE1100ELNS1_3gpuE3ELNS1_3repE0EEENS1_30default_config_static_selectorELNS0_4arch9wavefront6targetE1EEEvSP_
    .private_segment_fixed_size: 0
    .sgpr_count:     4
    .sgpr_spill_count: 0
    .symbol:         _ZN7rocprim17ROCPRIM_400000_NS6detail17trampoline_kernelINS0_14default_configENS1_21merge_config_selectorIjNS0_10empty_typeEEEZNS1_10merge_implIS3_N6thrust23THRUST_200600_302600_NS6detail15normal_iteratorINS9_10device_ptrIKjEEEESF_NSB_INSC_IjEEEEPS5_SI_SI_NS9_7greaterIjEEEE10hipError_tPvRmT0_T1_T2_T3_T4_T5_mmT6_P12ihipStream_tbEUlT_E_NS1_11comp_targetILNS1_3genE9ELNS1_11target_archE1100ELNS1_3gpuE3ELNS1_3repE0EEENS1_30default_config_static_selectorELNS0_4arch9wavefront6targetE1EEEvSP_.kd
    .uniform_work_group_size: 1
    .uses_dynamic_stack: false
    .vgpr_count:     0
    .vgpr_spill_count: 0
    .wavefront_size: 64
  - .agpr_count:     0
    .args:
      - .offset:         0
        .size:           48
        .value_kind:     by_value
    .group_segment_fixed_size: 0
    .kernarg_segment_align: 8
    .kernarg_segment_size: 48
    .language:       OpenCL C
    .language_version:
      - 2
      - 0
    .max_flat_workgroup_size: 1024
    .name:           _ZN7rocprim17ROCPRIM_400000_NS6detail17trampoline_kernelINS0_14default_configENS1_21merge_config_selectorIjNS0_10empty_typeEEEZNS1_10merge_implIS3_N6thrust23THRUST_200600_302600_NS6detail15normal_iteratorINS9_10device_ptrIKjEEEESF_NSB_INSC_IjEEEEPS5_SI_SI_NS9_7greaterIjEEEE10hipError_tPvRmT0_T1_T2_T3_T4_T5_mmT6_P12ihipStream_tbEUlT_E_NS1_11comp_targetILNS1_3genE8ELNS1_11target_archE1030ELNS1_3gpuE2ELNS1_3repE0EEENS1_30default_config_static_selectorELNS0_4arch9wavefront6targetE1EEEvSP_
    .private_segment_fixed_size: 0
    .sgpr_count:     4
    .sgpr_spill_count: 0
    .symbol:         _ZN7rocprim17ROCPRIM_400000_NS6detail17trampoline_kernelINS0_14default_configENS1_21merge_config_selectorIjNS0_10empty_typeEEEZNS1_10merge_implIS3_N6thrust23THRUST_200600_302600_NS6detail15normal_iteratorINS9_10device_ptrIKjEEEESF_NSB_INSC_IjEEEEPS5_SI_SI_NS9_7greaterIjEEEE10hipError_tPvRmT0_T1_T2_T3_T4_T5_mmT6_P12ihipStream_tbEUlT_E_NS1_11comp_targetILNS1_3genE8ELNS1_11target_archE1030ELNS1_3gpuE2ELNS1_3repE0EEENS1_30default_config_static_selectorELNS0_4arch9wavefront6targetE1EEEvSP_.kd
    .uniform_work_group_size: 1
    .uses_dynamic_stack: false
    .vgpr_count:     0
    .vgpr_spill_count: 0
    .wavefront_size: 64
  - .agpr_count:     0
    .args:
      - .offset:         0
        .size:           88
        .value_kind:     by_value
    .group_segment_fixed_size: 0
    .kernarg_segment_align: 8
    .kernarg_segment_size: 88
    .language:       OpenCL C
    .language_version:
      - 2
      - 0
    .max_flat_workgroup_size: 256
    .name:           _ZN7rocprim17ROCPRIM_400000_NS6detail17trampoline_kernelINS0_14default_configENS1_21merge_config_selectorIjNS0_10empty_typeEEEZNS1_10merge_implIS3_N6thrust23THRUST_200600_302600_NS6detail15normal_iteratorINS9_10device_ptrIKjEEEESF_NSB_INSC_IjEEEEPS5_SI_SI_NS9_7greaterIjEEEE10hipError_tPvRmT0_T1_T2_T3_T4_T5_mmT6_P12ihipStream_tbEUlT_E0_NS1_11comp_targetILNS1_3genE0ELNS1_11target_archE4294967295ELNS1_3gpuE0ELNS1_3repE0EEENS1_30default_config_static_selectorELNS0_4arch9wavefront6targetE1EEEvSP_
    .private_segment_fixed_size: 0
    .sgpr_count:     4
    .sgpr_spill_count: 0
    .symbol:         _ZN7rocprim17ROCPRIM_400000_NS6detail17trampoline_kernelINS0_14default_configENS1_21merge_config_selectorIjNS0_10empty_typeEEEZNS1_10merge_implIS3_N6thrust23THRUST_200600_302600_NS6detail15normal_iteratorINS9_10device_ptrIKjEEEESF_NSB_INSC_IjEEEEPS5_SI_SI_NS9_7greaterIjEEEE10hipError_tPvRmT0_T1_T2_T3_T4_T5_mmT6_P12ihipStream_tbEUlT_E0_NS1_11comp_targetILNS1_3genE0ELNS1_11target_archE4294967295ELNS1_3gpuE0ELNS1_3repE0EEENS1_30default_config_static_selectorELNS0_4arch9wavefront6targetE1EEEvSP_.kd
    .uniform_work_group_size: 1
    .uses_dynamic_stack: false
    .vgpr_count:     0
    .vgpr_spill_count: 0
    .wavefront_size: 64
  - .agpr_count:     0
    .args:
      - .offset:         0
        .size:           88
        .value_kind:     by_value
    .group_segment_fixed_size: 0
    .kernarg_segment_align: 8
    .kernarg_segment_size: 88
    .language:       OpenCL C
    .language_version:
      - 2
      - 0
    .max_flat_workgroup_size: 256
    .name:           _ZN7rocprim17ROCPRIM_400000_NS6detail17trampoline_kernelINS0_14default_configENS1_21merge_config_selectorIjNS0_10empty_typeEEEZNS1_10merge_implIS3_N6thrust23THRUST_200600_302600_NS6detail15normal_iteratorINS9_10device_ptrIKjEEEESF_NSB_INSC_IjEEEEPS5_SI_SI_NS9_7greaterIjEEEE10hipError_tPvRmT0_T1_T2_T3_T4_T5_mmT6_P12ihipStream_tbEUlT_E0_NS1_11comp_targetILNS1_3genE5ELNS1_11target_archE942ELNS1_3gpuE9ELNS1_3repE0EEENS1_30default_config_static_selectorELNS0_4arch9wavefront6targetE1EEEvSP_
    .private_segment_fixed_size: 0
    .sgpr_count:     4
    .sgpr_spill_count: 0
    .symbol:         _ZN7rocprim17ROCPRIM_400000_NS6detail17trampoline_kernelINS0_14default_configENS1_21merge_config_selectorIjNS0_10empty_typeEEEZNS1_10merge_implIS3_N6thrust23THRUST_200600_302600_NS6detail15normal_iteratorINS9_10device_ptrIKjEEEESF_NSB_INSC_IjEEEEPS5_SI_SI_NS9_7greaterIjEEEE10hipError_tPvRmT0_T1_T2_T3_T4_T5_mmT6_P12ihipStream_tbEUlT_E0_NS1_11comp_targetILNS1_3genE5ELNS1_11target_archE942ELNS1_3gpuE9ELNS1_3repE0EEENS1_30default_config_static_selectorELNS0_4arch9wavefront6targetE1EEEvSP_.kd
    .uniform_work_group_size: 1
    .uses_dynamic_stack: false
    .vgpr_count:     0
    .vgpr_spill_count: 0
    .wavefront_size: 64
  - .agpr_count:     0
    .args:
      - .offset:         0
        .size:           88
        .value_kind:     by_value
    .group_segment_fixed_size: 10256
    .kernarg_segment_align: 8
    .kernarg_segment_size: 88
    .language:       OpenCL C
    .language_version:
      - 2
      - 0
    .max_flat_workgroup_size: 256
    .name:           _ZN7rocprim17ROCPRIM_400000_NS6detail17trampoline_kernelINS0_14default_configENS1_21merge_config_selectorIjNS0_10empty_typeEEEZNS1_10merge_implIS3_N6thrust23THRUST_200600_302600_NS6detail15normal_iteratorINS9_10device_ptrIKjEEEESF_NSB_INSC_IjEEEEPS5_SI_SI_NS9_7greaterIjEEEE10hipError_tPvRmT0_T1_T2_T3_T4_T5_mmT6_P12ihipStream_tbEUlT_E0_NS1_11comp_targetILNS1_3genE4ELNS1_11target_archE910ELNS1_3gpuE8ELNS1_3repE0EEENS1_30default_config_static_selectorELNS0_4arch9wavefront6targetE1EEEvSP_
    .private_segment_fixed_size: 0
    .sgpr_count:     28
    .sgpr_spill_count: 0
    .symbol:         _ZN7rocprim17ROCPRIM_400000_NS6detail17trampoline_kernelINS0_14default_configENS1_21merge_config_selectorIjNS0_10empty_typeEEEZNS1_10merge_implIS3_N6thrust23THRUST_200600_302600_NS6detail15normal_iteratorINS9_10device_ptrIKjEEEESF_NSB_INSC_IjEEEEPS5_SI_SI_NS9_7greaterIjEEEE10hipError_tPvRmT0_T1_T2_T3_T4_T5_mmT6_P12ihipStream_tbEUlT_E0_NS1_11comp_targetILNS1_3genE4ELNS1_11target_archE910ELNS1_3gpuE8ELNS1_3repE0EEENS1_30default_config_static_selectorELNS0_4arch9wavefront6targetE1EEEvSP_.kd
    .uniform_work_group_size: 1
    .uses_dynamic_stack: false
    .vgpr_count:     36
    .vgpr_spill_count: 0
    .wavefront_size: 64
  - .agpr_count:     0
    .args:
      - .offset:         0
        .size:           88
        .value_kind:     by_value
    .group_segment_fixed_size: 0
    .kernarg_segment_align: 8
    .kernarg_segment_size: 88
    .language:       OpenCL C
    .language_version:
      - 2
      - 0
    .max_flat_workgroup_size: 256
    .name:           _ZN7rocprim17ROCPRIM_400000_NS6detail17trampoline_kernelINS0_14default_configENS1_21merge_config_selectorIjNS0_10empty_typeEEEZNS1_10merge_implIS3_N6thrust23THRUST_200600_302600_NS6detail15normal_iteratorINS9_10device_ptrIKjEEEESF_NSB_INSC_IjEEEEPS5_SI_SI_NS9_7greaterIjEEEE10hipError_tPvRmT0_T1_T2_T3_T4_T5_mmT6_P12ihipStream_tbEUlT_E0_NS1_11comp_targetILNS1_3genE3ELNS1_11target_archE908ELNS1_3gpuE7ELNS1_3repE0EEENS1_30default_config_static_selectorELNS0_4arch9wavefront6targetE1EEEvSP_
    .private_segment_fixed_size: 0
    .sgpr_count:     4
    .sgpr_spill_count: 0
    .symbol:         _ZN7rocprim17ROCPRIM_400000_NS6detail17trampoline_kernelINS0_14default_configENS1_21merge_config_selectorIjNS0_10empty_typeEEEZNS1_10merge_implIS3_N6thrust23THRUST_200600_302600_NS6detail15normal_iteratorINS9_10device_ptrIKjEEEESF_NSB_INSC_IjEEEEPS5_SI_SI_NS9_7greaterIjEEEE10hipError_tPvRmT0_T1_T2_T3_T4_T5_mmT6_P12ihipStream_tbEUlT_E0_NS1_11comp_targetILNS1_3genE3ELNS1_11target_archE908ELNS1_3gpuE7ELNS1_3repE0EEENS1_30default_config_static_selectorELNS0_4arch9wavefront6targetE1EEEvSP_.kd
    .uniform_work_group_size: 1
    .uses_dynamic_stack: false
    .vgpr_count:     0
    .vgpr_spill_count: 0
    .wavefront_size: 64
  - .agpr_count:     0
    .args:
      - .offset:         0
        .size:           88
        .value_kind:     by_value
    .group_segment_fixed_size: 0
    .kernarg_segment_align: 8
    .kernarg_segment_size: 88
    .language:       OpenCL C
    .language_version:
      - 2
      - 0
    .max_flat_workgroup_size: 256
    .name:           _ZN7rocprim17ROCPRIM_400000_NS6detail17trampoline_kernelINS0_14default_configENS1_21merge_config_selectorIjNS0_10empty_typeEEEZNS1_10merge_implIS3_N6thrust23THRUST_200600_302600_NS6detail15normal_iteratorINS9_10device_ptrIKjEEEESF_NSB_INSC_IjEEEEPS5_SI_SI_NS9_7greaterIjEEEE10hipError_tPvRmT0_T1_T2_T3_T4_T5_mmT6_P12ihipStream_tbEUlT_E0_NS1_11comp_targetILNS1_3genE2ELNS1_11target_archE906ELNS1_3gpuE6ELNS1_3repE0EEENS1_30default_config_static_selectorELNS0_4arch9wavefront6targetE1EEEvSP_
    .private_segment_fixed_size: 0
    .sgpr_count:     4
    .sgpr_spill_count: 0
    .symbol:         _ZN7rocprim17ROCPRIM_400000_NS6detail17trampoline_kernelINS0_14default_configENS1_21merge_config_selectorIjNS0_10empty_typeEEEZNS1_10merge_implIS3_N6thrust23THRUST_200600_302600_NS6detail15normal_iteratorINS9_10device_ptrIKjEEEESF_NSB_INSC_IjEEEEPS5_SI_SI_NS9_7greaterIjEEEE10hipError_tPvRmT0_T1_T2_T3_T4_T5_mmT6_P12ihipStream_tbEUlT_E0_NS1_11comp_targetILNS1_3genE2ELNS1_11target_archE906ELNS1_3gpuE6ELNS1_3repE0EEENS1_30default_config_static_selectorELNS0_4arch9wavefront6targetE1EEEvSP_.kd
    .uniform_work_group_size: 1
    .uses_dynamic_stack: false
    .vgpr_count:     0
    .vgpr_spill_count: 0
    .wavefront_size: 64
  - .agpr_count:     0
    .args:
      - .offset:         0
        .size:           88
        .value_kind:     by_value
    .group_segment_fixed_size: 0
    .kernarg_segment_align: 8
    .kernarg_segment_size: 88
    .language:       OpenCL C
    .language_version:
      - 2
      - 0
    .max_flat_workgroup_size: 1024
    .name:           _ZN7rocprim17ROCPRIM_400000_NS6detail17trampoline_kernelINS0_14default_configENS1_21merge_config_selectorIjNS0_10empty_typeEEEZNS1_10merge_implIS3_N6thrust23THRUST_200600_302600_NS6detail15normal_iteratorINS9_10device_ptrIKjEEEESF_NSB_INSC_IjEEEEPS5_SI_SI_NS9_7greaterIjEEEE10hipError_tPvRmT0_T1_T2_T3_T4_T5_mmT6_P12ihipStream_tbEUlT_E0_NS1_11comp_targetILNS1_3genE10ELNS1_11target_archE1201ELNS1_3gpuE5ELNS1_3repE0EEENS1_30default_config_static_selectorELNS0_4arch9wavefront6targetE1EEEvSP_
    .private_segment_fixed_size: 0
    .sgpr_count:     4
    .sgpr_spill_count: 0
    .symbol:         _ZN7rocprim17ROCPRIM_400000_NS6detail17trampoline_kernelINS0_14default_configENS1_21merge_config_selectorIjNS0_10empty_typeEEEZNS1_10merge_implIS3_N6thrust23THRUST_200600_302600_NS6detail15normal_iteratorINS9_10device_ptrIKjEEEESF_NSB_INSC_IjEEEEPS5_SI_SI_NS9_7greaterIjEEEE10hipError_tPvRmT0_T1_T2_T3_T4_T5_mmT6_P12ihipStream_tbEUlT_E0_NS1_11comp_targetILNS1_3genE10ELNS1_11target_archE1201ELNS1_3gpuE5ELNS1_3repE0EEENS1_30default_config_static_selectorELNS0_4arch9wavefront6targetE1EEEvSP_.kd
    .uniform_work_group_size: 1
    .uses_dynamic_stack: false
    .vgpr_count:     0
    .vgpr_spill_count: 0
    .wavefront_size: 64
  - .agpr_count:     0
    .args:
      - .offset:         0
        .size:           88
        .value_kind:     by_value
    .group_segment_fixed_size: 0
    .kernarg_segment_align: 8
    .kernarg_segment_size: 88
    .language:       OpenCL C
    .language_version:
      - 2
      - 0
    .max_flat_workgroup_size: 1024
    .name:           _ZN7rocprim17ROCPRIM_400000_NS6detail17trampoline_kernelINS0_14default_configENS1_21merge_config_selectorIjNS0_10empty_typeEEEZNS1_10merge_implIS3_N6thrust23THRUST_200600_302600_NS6detail15normal_iteratorINS9_10device_ptrIKjEEEESF_NSB_INSC_IjEEEEPS5_SI_SI_NS9_7greaterIjEEEE10hipError_tPvRmT0_T1_T2_T3_T4_T5_mmT6_P12ihipStream_tbEUlT_E0_NS1_11comp_targetILNS1_3genE10ELNS1_11target_archE1200ELNS1_3gpuE4ELNS1_3repE0EEENS1_30default_config_static_selectorELNS0_4arch9wavefront6targetE1EEEvSP_
    .private_segment_fixed_size: 0
    .sgpr_count:     4
    .sgpr_spill_count: 0
    .symbol:         _ZN7rocprim17ROCPRIM_400000_NS6detail17trampoline_kernelINS0_14default_configENS1_21merge_config_selectorIjNS0_10empty_typeEEEZNS1_10merge_implIS3_N6thrust23THRUST_200600_302600_NS6detail15normal_iteratorINS9_10device_ptrIKjEEEESF_NSB_INSC_IjEEEEPS5_SI_SI_NS9_7greaterIjEEEE10hipError_tPvRmT0_T1_T2_T3_T4_T5_mmT6_P12ihipStream_tbEUlT_E0_NS1_11comp_targetILNS1_3genE10ELNS1_11target_archE1200ELNS1_3gpuE4ELNS1_3repE0EEENS1_30default_config_static_selectorELNS0_4arch9wavefront6targetE1EEEvSP_.kd
    .uniform_work_group_size: 1
    .uses_dynamic_stack: false
    .vgpr_count:     0
    .vgpr_spill_count: 0
    .wavefront_size: 64
  - .agpr_count:     0
    .args:
      - .offset:         0
        .size:           88
        .value_kind:     by_value
    .group_segment_fixed_size: 0
    .kernarg_segment_align: 8
    .kernarg_segment_size: 88
    .language:       OpenCL C
    .language_version:
      - 2
      - 0
    .max_flat_workgroup_size: 1024
    .name:           _ZN7rocprim17ROCPRIM_400000_NS6detail17trampoline_kernelINS0_14default_configENS1_21merge_config_selectorIjNS0_10empty_typeEEEZNS1_10merge_implIS3_N6thrust23THRUST_200600_302600_NS6detail15normal_iteratorINS9_10device_ptrIKjEEEESF_NSB_INSC_IjEEEEPS5_SI_SI_NS9_7greaterIjEEEE10hipError_tPvRmT0_T1_T2_T3_T4_T5_mmT6_P12ihipStream_tbEUlT_E0_NS1_11comp_targetILNS1_3genE9ELNS1_11target_archE1100ELNS1_3gpuE3ELNS1_3repE0EEENS1_30default_config_static_selectorELNS0_4arch9wavefront6targetE1EEEvSP_
    .private_segment_fixed_size: 0
    .sgpr_count:     4
    .sgpr_spill_count: 0
    .symbol:         _ZN7rocprim17ROCPRIM_400000_NS6detail17trampoline_kernelINS0_14default_configENS1_21merge_config_selectorIjNS0_10empty_typeEEEZNS1_10merge_implIS3_N6thrust23THRUST_200600_302600_NS6detail15normal_iteratorINS9_10device_ptrIKjEEEESF_NSB_INSC_IjEEEEPS5_SI_SI_NS9_7greaterIjEEEE10hipError_tPvRmT0_T1_T2_T3_T4_T5_mmT6_P12ihipStream_tbEUlT_E0_NS1_11comp_targetILNS1_3genE9ELNS1_11target_archE1100ELNS1_3gpuE3ELNS1_3repE0EEENS1_30default_config_static_selectorELNS0_4arch9wavefront6targetE1EEEvSP_.kd
    .uniform_work_group_size: 1
    .uses_dynamic_stack: false
    .vgpr_count:     0
    .vgpr_spill_count: 0
    .wavefront_size: 64
  - .agpr_count:     0
    .args:
      - .offset:         0
        .size:           88
        .value_kind:     by_value
    .group_segment_fixed_size: 0
    .kernarg_segment_align: 8
    .kernarg_segment_size: 88
    .language:       OpenCL C
    .language_version:
      - 2
      - 0
    .max_flat_workgroup_size: 1024
    .name:           _ZN7rocprim17ROCPRIM_400000_NS6detail17trampoline_kernelINS0_14default_configENS1_21merge_config_selectorIjNS0_10empty_typeEEEZNS1_10merge_implIS3_N6thrust23THRUST_200600_302600_NS6detail15normal_iteratorINS9_10device_ptrIKjEEEESF_NSB_INSC_IjEEEEPS5_SI_SI_NS9_7greaterIjEEEE10hipError_tPvRmT0_T1_T2_T3_T4_T5_mmT6_P12ihipStream_tbEUlT_E0_NS1_11comp_targetILNS1_3genE8ELNS1_11target_archE1030ELNS1_3gpuE2ELNS1_3repE0EEENS1_30default_config_static_selectorELNS0_4arch9wavefront6targetE1EEEvSP_
    .private_segment_fixed_size: 0
    .sgpr_count:     4
    .sgpr_spill_count: 0
    .symbol:         _ZN7rocprim17ROCPRIM_400000_NS6detail17trampoline_kernelINS0_14default_configENS1_21merge_config_selectorIjNS0_10empty_typeEEEZNS1_10merge_implIS3_N6thrust23THRUST_200600_302600_NS6detail15normal_iteratorINS9_10device_ptrIKjEEEESF_NSB_INSC_IjEEEEPS5_SI_SI_NS9_7greaterIjEEEE10hipError_tPvRmT0_T1_T2_T3_T4_T5_mmT6_P12ihipStream_tbEUlT_E0_NS1_11comp_targetILNS1_3genE8ELNS1_11target_archE1030ELNS1_3gpuE2ELNS1_3repE0EEENS1_30default_config_static_selectorELNS0_4arch9wavefront6targetE1EEEvSP_.kd
    .uniform_work_group_size: 1
    .uses_dynamic_stack: false
    .vgpr_count:     0
    .vgpr_spill_count: 0
    .wavefront_size: 64
  - .agpr_count:     0
    .args:
      - .offset:         0
        .size:           48
        .value_kind:     by_value
    .group_segment_fixed_size: 0
    .kernarg_segment_align: 8
    .kernarg_segment_size: 48
    .language:       OpenCL C
    .language_version:
      - 2
      - 0
    .max_flat_workgroup_size: 512
    .name:           _ZN7rocprim17ROCPRIM_400000_NS6detail17trampoline_kernelINS0_14default_configENS1_21merge_config_selectorItNS0_10empty_typeEEEZNS1_10merge_implIS3_N6thrust23THRUST_200600_302600_NS6detail15normal_iteratorINS9_10device_ptrIKtEEEESF_NSB_INSC_ItEEEEPS5_SI_SI_NS9_7greaterItEEEE10hipError_tPvRmT0_T1_T2_T3_T4_T5_mmT6_P12ihipStream_tbEUlT_E_NS1_11comp_targetILNS1_3genE0ELNS1_11target_archE4294967295ELNS1_3gpuE0ELNS1_3repE0EEENS1_30default_config_static_selectorELNS0_4arch9wavefront6targetE1EEEvSP_
    .private_segment_fixed_size: 0
    .sgpr_count:     4
    .sgpr_spill_count: 0
    .symbol:         _ZN7rocprim17ROCPRIM_400000_NS6detail17trampoline_kernelINS0_14default_configENS1_21merge_config_selectorItNS0_10empty_typeEEEZNS1_10merge_implIS3_N6thrust23THRUST_200600_302600_NS6detail15normal_iteratorINS9_10device_ptrIKtEEEESF_NSB_INSC_ItEEEEPS5_SI_SI_NS9_7greaterItEEEE10hipError_tPvRmT0_T1_T2_T3_T4_T5_mmT6_P12ihipStream_tbEUlT_E_NS1_11comp_targetILNS1_3genE0ELNS1_11target_archE4294967295ELNS1_3gpuE0ELNS1_3repE0EEENS1_30default_config_static_selectorELNS0_4arch9wavefront6targetE1EEEvSP_.kd
    .uniform_work_group_size: 1
    .uses_dynamic_stack: false
    .vgpr_count:     0
    .vgpr_spill_count: 0
    .wavefront_size: 64
  - .agpr_count:     0
    .args:
      - .offset:         0
        .size:           48
        .value_kind:     by_value
    .group_segment_fixed_size: 0
    .kernarg_segment_align: 8
    .kernarg_segment_size: 48
    .language:       OpenCL C
    .language_version:
      - 2
      - 0
    .max_flat_workgroup_size: 256
    .name:           _ZN7rocprim17ROCPRIM_400000_NS6detail17trampoline_kernelINS0_14default_configENS1_21merge_config_selectorItNS0_10empty_typeEEEZNS1_10merge_implIS3_N6thrust23THRUST_200600_302600_NS6detail15normal_iteratorINS9_10device_ptrIKtEEEESF_NSB_INSC_ItEEEEPS5_SI_SI_NS9_7greaterItEEEE10hipError_tPvRmT0_T1_T2_T3_T4_T5_mmT6_P12ihipStream_tbEUlT_E_NS1_11comp_targetILNS1_3genE5ELNS1_11target_archE942ELNS1_3gpuE9ELNS1_3repE0EEENS1_30default_config_static_selectorELNS0_4arch9wavefront6targetE1EEEvSP_
    .private_segment_fixed_size: 0
    .sgpr_count:     4
    .sgpr_spill_count: 0
    .symbol:         _ZN7rocprim17ROCPRIM_400000_NS6detail17trampoline_kernelINS0_14default_configENS1_21merge_config_selectorItNS0_10empty_typeEEEZNS1_10merge_implIS3_N6thrust23THRUST_200600_302600_NS6detail15normal_iteratorINS9_10device_ptrIKtEEEESF_NSB_INSC_ItEEEEPS5_SI_SI_NS9_7greaterItEEEE10hipError_tPvRmT0_T1_T2_T3_T4_T5_mmT6_P12ihipStream_tbEUlT_E_NS1_11comp_targetILNS1_3genE5ELNS1_11target_archE942ELNS1_3gpuE9ELNS1_3repE0EEENS1_30default_config_static_selectorELNS0_4arch9wavefront6targetE1EEEvSP_.kd
    .uniform_work_group_size: 1
    .uses_dynamic_stack: false
    .vgpr_count:     0
    .vgpr_spill_count: 0
    .wavefront_size: 64
  - .agpr_count:     0
    .args:
      - .offset:         0
        .size:           48
        .value_kind:     by_value
      - .offset:         48
        .size:           4
        .value_kind:     hidden_block_count_x
      - .offset:         52
        .size:           4
        .value_kind:     hidden_block_count_y
      - .offset:         56
        .size:           4
        .value_kind:     hidden_block_count_z
      - .offset:         60
        .size:           2
        .value_kind:     hidden_group_size_x
      - .offset:         62
        .size:           2
        .value_kind:     hidden_group_size_y
      - .offset:         64
        .size:           2
        .value_kind:     hidden_group_size_z
      - .offset:         66
        .size:           2
        .value_kind:     hidden_remainder_x
      - .offset:         68
        .size:           2
        .value_kind:     hidden_remainder_y
      - .offset:         70
        .size:           2
        .value_kind:     hidden_remainder_z
      - .offset:         88
        .size:           8
        .value_kind:     hidden_global_offset_x
      - .offset:         96
        .size:           8
        .value_kind:     hidden_global_offset_y
      - .offset:         104
        .size:           8
        .value_kind:     hidden_global_offset_z
      - .offset:         112
        .size:           2
        .value_kind:     hidden_grid_dims
    .group_segment_fixed_size: 0
    .kernarg_segment_align: 8
    .kernarg_segment_size: 304
    .language:       OpenCL C
    .language_version:
      - 2
      - 0
    .max_flat_workgroup_size: 256
    .name:           _ZN7rocprim17ROCPRIM_400000_NS6detail17trampoline_kernelINS0_14default_configENS1_21merge_config_selectorItNS0_10empty_typeEEEZNS1_10merge_implIS3_N6thrust23THRUST_200600_302600_NS6detail15normal_iteratorINS9_10device_ptrIKtEEEESF_NSB_INSC_ItEEEEPS5_SI_SI_NS9_7greaterItEEEE10hipError_tPvRmT0_T1_T2_T3_T4_T5_mmT6_P12ihipStream_tbEUlT_E_NS1_11comp_targetILNS1_3genE4ELNS1_11target_archE910ELNS1_3gpuE8ELNS1_3repE0EEENS1_30default_config_static_selectorELNS0_4arch9wavefront6targetE1EEEvSP_
    .private_segment_fixed_size: 0
    .sgpr_count:     18
    .sgpr_spill_count: 0
    .symbol:         _ZN7rocprim17ROCPRIM_400000_NS6detail17trampoline_kernelINS0_14default_configENS1_21merge_config_selectorItNS0_10empty_typeEEEZNS1_10merge_implIS3_N6thrust23THRUST_200600_302600_NS6detail15normal_iteratorINS9_10device_ptrIKtEEEESF_NSB_INSC_ItEEEEPS5_SI_SI_NS9_7greaterItEEEE10hipError_tPvRmT0_T1_T2_T3_T4_T5_mmT6_P12ihipStream_tbEUlT_E_NS1_11comp_targetILNS1_3genE4ELNS1_11target_archE910ELNS1_3gpuE8ELNS1_3repE0EEENS1_30default_config_static_selectorELNS0_4arch9wavefront6targetE1EEEvSP_.kd
    .uniform_work_group_size: 1
    .uses_dynamic_stack: false
    .vgpr_count:     15
    .vgpr_spill_count: 0
    .wavefront_size: 64
  - .agpr_count:     0
    .args:
      - .offset:         0
        .size:           48
        .value_kind:     by_value
    .group_segment_fixed_size: 0
    .kernarg_segment_align: 8
    .kernarg_segment_size: 48
    .language:       OpenCL C
    .language_version:
      - 2
      - 0
    .max_flat_workgroup_size: 512
    .name:           _ZN7rocprim17ROCPRIM_400000_NS6detail17trampoline_kernelINS0_14default_configENS1_21merge_config_selectorItNS0_10empty_typeEEEZNS1_10merge_implIS3_N6thrust23THRUST_200600_302600_NS6detail15normal_iteratorINS9_10device_ptrIKtEEEESF_NSB_INSC_ItEEEEPS5_SI_SI_NS9_7greaterItEEEE10hipError_tPvRmT0_T1_T2_T3_T4_T5_mmT6_P12ihipStream_tbEUlT_E_NS1_11comp_targetILNS1_3genE3ELNS1_11target_archE908ELNS1_3gpuE7ELNS1_3repE0EEENS1_30default_config_static_selectorELNS0_4arch9wavefront6targetE1EEEvSP_
    .private_segment_fixed_size: 0
    .sgpr_count:     4
    .sgpr_spill_count: 0
    .symbol:         _ZN7rocprim17ROCPRIM_400000_NS6detail17trampoline_kernelINS0_14default_configENS1_21merge_config_selectorItNS0_10empty_typeEEEZNS1_10merge_implIS3_N6thrust23THRUST_200600_302600_NS6detail15normal_iteratorINS9_10device_ptrIKtEEEESF_NSB_INSC_ItEEEEPS5_SI_SI_NS9_7greaterItEEEE10hipError_tPvRmT0_T1_T2_T3_T4_T5_mmT6_P12ihipStream_tbEUlT_E_NS1_11comp_targetILNS1_3genE3ELNS1_11target_archE908ELNS1_3gpuE7ELNS1_3repE0EEENS1_30default_config_static_selectorELNS0_4arch9wavefront6targetE1EEEvSP_.kd
    .uniform_work_group_size: 1
    .uses_dynamic_stack: false
    .vgpr_count:     0
    .vgpr_spill_count: 0
    .wavefront_size: 64
  - .agpr_count:     0
    .args:
      - .offset:         0
        .size:           48
        .value_kind:     by_value
    .group_segment_fixed_size: 0
    .kernarg_segment_align: 8
    .kernarg_segment_size: 48
    .language:       OpenCL C
    .language_version:
      - 2
      - 0
    .max_flat_workgroup_size: 256
    .name:           _ZN7rocprim17ROCPRIM_400000_NS6detail17trampoline_kernelINS0_14default_configENS1_21merge_config_selectorItNS0_10empty_typeEEEZNS1_10merge_implIS3_N6thrust23THRUST_200600_302600_NS6detail15normal_iteratorINS9_10device_ptrIKtEEEESF_NSB_INSC_ItEEEEPS5_SI_SI_NS9_7greaterItEEEE10hipError_tPvRmT0_T1_T2_T3_T4_T5_mmT6_P12ihipStream_tbEUlT_E_NS1_11comp_targetILNS1_3genE2ELNS1_11target_archE906ELNS1_3gpuE6ELNS1_3repE0EEENS1_30default_config_static_selectorELNS0_4arch9wavefront6targetE1EEEvSP_
    .private_segment_fixed_size: 0
    .sgpr_count:     4
    .sgpr_spill_count: 0
    .symbol:         _ZN7rocprim17ROCPRIM_400000_NS6detail17trampoline_kernelINS0_14default_configENS1_21merge_config_selectorItNS0_10empty_typeEEEZNS1_10merge_implIS3_N6thrust23THRUST_200600_302600_NS6detail15normal_iteratorINS9_10device_ptrIKtEEEESF_NSB_INSC_ItEEEEPS5_SI_SI_NS9_7greaterItEEEE10hipError_tPvRmT0_T1_T2_T3_T4_T5_mmT6_P12ihipStream_tbEUlT_E_NS1_11comp_targetILNS1_3genE2ELNS1_11target_archE906ELNS1_3gpuE6ELNS1_3repE0EEENS1_30default_config_static_selectorELNS0_4arch9wavefront6targetE1EEEvSP_.kd
    .uniform_work_group_size: 1
    .uses_dynamic_stack: false
    .vgpr_count:     0
    .vgpr_spill_count: 0
    .wavefront_size: 64
  - .agpr_count:     0
    .args:
      - .offset:         0
        .size:           48
        .value_kind:     by_value
    .group_segment_fixed_size: 0
    .kernarg_segment_align: 8
    .kernarg_segment_size: 48
    .language:       OpenCL C
    .language_version:
      - 2
      - 0
    .max_flat_workgroup_size: 512
    .name:           _ZN7rocprim17ROCPRIM_400000_NS6detail17trampoline_kernelINS0_14default_configENS1_21merge_config_selectorItNS0_10empty_typeEEEZNS1_10merge_implIS3_N6thrust23THRUST_200600_302600_NS6detail15normal_iteratorINS9_10device_ptrIKtEEEESF_NSB_INSC_ItEEEEPS5_SI_SI_NS9_7greaterItEEEE10hipError_tPvRmT0_T1_T2_T3_T4_T5_mmT6_P12ihipStream_tbEUlT_E_NS1_11comp_targetILNS1_3genE10ELNS1_11target_archE1201ELNS1_3gpuE5ELNS1_3repE0EEENS1_30default_config_static_selectorELNS0_4arch9wavefront6targetE1EEEvSP_
    .private_segment_fixed_size: 0
    .sgpr_count:     4
    .sgpr_spill_count: 0
    .symbol:         _ZN7rocprim17ROCPRIM_400000_NS6detail17trampoline_kernelINS0_14default_configENS1_21merge_config_selectorItNS0_10empty_typeEEEZNS1_10merge_implIS3_N6thrust23THRUST_200600_302600_NS6detail15normal_iteratorINS9_10device_ptrIKtEEEESF_NSB_INSC_ItEEEEPS5_SI_SI_NS9_7greaterItEEEE10hipError_tPvRmT0_T1_T2_T3_T4_T5_mmT6_P12ihipStream_tbEUlT_E_NS1_11comp_targetILNS1_3genE10ELNS1_11target_archE1201ELNS1_3gpuE5ELNS1_3repE0EEENS1_30default_config_static_selectorELNS0_4arch9wavefront6targetE1EEEvSP_.kd
    .uniform_work_group_size: 1
    .uses_dynamic_stack: false
    .vgpr_count:     0
    .vgpr_spill_count: 0
    .wavefront_size: 64
  - .agpr_count:     0
    .args:
      - .offset:         0
        .size:           48
        .value_kind:     by_value
    .group_segment_fixed_size: 0
    .kernarg_segment_align: 8
    .kernarg_segment_size: 48
    .language:       OpenCL C
    .language_version:
      - 2
      - 0
    .max_flat_workgroup_size: 512
    .name:           _ZN7rocprim17ROCPRIM_400000_NS6detail17trampoline_kernelINS0_14default_configENS1_21merge_config_selectorItNS0_10empty_typeEEEZNS1_10merge_implIS3_N6thrust23THRUST_200600_302600_NS6detail15normal_iteratorINS9_10device_ptrIKtEEEESF_NSB_INSC_ItEEEEPS5_SI_SI_NS9_7greaterItEEEE10hipError_tPvRmT0_T1_T2_T3_T4_T5_mmT6_P12ihipStream_tbEUlT_E_NS1_11comp_targetILNS1_3genE10ELNS1_11target_archE1200ELNS1_3gpuE4ELNS1_3repE0EEENS1_30default_config_static_selectorELNS0_4arch9wavefront6targetE1EEEvSP_
    .private_segment_fixed_size: 0
    .sgpr_count:     4
    .sgpr_spill_count: 0
    .symbol:         _ZN7rocprim17ROCPRIM_400000_NS6detail17trampoline_kernelINS0_14default_configENS1_21merge_config_selectorItNS0_10empty_typeEEEZNS1_10merge_implIS3_N6thrust23THRUST_200600_302600_NS6detail15normal_iteratorINS9_10device_ptrIKtEEEESF_NSB_INSC_ItEEEEPS5_SI_SI_NS9_7greaterItEEEE10hipError_tPvRmT0_T1_T2_T3_T4_T5_mmT6_P12ihipStream_tbEUlT_E_NS1_11comp_targetILNS1_3genE10ELNS1_11target_archE1200ELNS1_3gpuE4ELNS1_3repE0EEENS1_30default_config_static_selectorELNS0_4arch9wavefront6targetE1EEEvSP_.kd
    .uniform_work_group_size: 1
    .uses_dynamic_stack: false
    .vgpr_count:     0
    .vgpr_spill_count: 0
    .wavefront_size: 64
  - .agpr_count:     0
    .args:
      - .offset:         0
        .size:           48
        .value_kind:     by_value
    .group_segment_fixed_size: 0
    .kernarg_segment_align: 8
    .kernarg_segment_size: 48
    .language:       OpenCL C
    .language_version:
      - 2
      - 0
    .max_flat_workgroup_size: 512
    .name:           _ZN7rocprim17ROCPRIM_400000_NS6detail17trampoline_kernelINS0_14default_configENS1_21merge_config_selectorItNS0_10empty_typeEEEZNS1_10merge_implIS3_N6thrust23THRUST_200600_302600_NS6detail15normal_iteratorINS9_10device_ptrIKtEEEESF_NSB_INSC_ItEEEEPS5_SI_SI_NS9_7greaterItEEEE10hipError_tPvRmT0_T1_T2_T3_T4_T5_mmT6_P12ihipStream_tbEUlT_E_NS1_11comp_targetILNS1_3genE9ELNS1_11target_archE1100ELNS1_3gpuE3ELNS1_3repE0EEENS1_30default_config_static_selectorELNS0_4arch9wavefront6targetE1EEEvSP_
    .private_segment_fixed_size: 0
    .sgpr_count:     4
    .sgpr_spill_count: 0
    .symbol:         _ZN7rocprim17ROCPRIM_400000_NS6detail17trampoline_kernelINS0_14default_configENS1_21merge_config_selectorItNS0_10empty_typeEEEZNS1_10merge_implIS3_N6thrust23THRUST_200600_302600_NS6detail15normal_iteratorINS9_10device_ptrIKtEEEESF_NSB_INSC_ItEEEEPS5_SI_SI_NS9_7greaterItEEEE10hipError_tPvRmT0_T1_T2_T3_T4_T5_mmT6_P12ihipStream_tbEUlT_E_NS1_11comp_targetILNS1_3genE9ELNS1_11target_archE1100ELNS1_3gpuE3ELNS1_3repE0EEENS1_30default_config_static_selectorELNS0_4arch9wavefront6targetE1EEEvSP_.kd
    .uniform_work_group_size: 1
    .uses_dynamic_stack: false
    .vgpr_count:     0
    .vgpr_spill_count: 0
    .wavefront_size: 64
  - .agpr_count:     0
    .args:
      - .offset:         0
        .size:           48
        .value_kind:     by_value
    .group_segment_fixed_size: 0
    .kernarg_segment_align: 8
    .kernarg_segment_size: 48
    .language:       OpenCL C
    .language_version:
      - 2
      - 0
    .max_flat_workgroup_size: 256
    .name:           _ZN7rocprim17ROCPRIM_400000_NS6detail17trampoline_kernelINS0_14default_configENS1_21merge_config_selectorItNS0_10empty_typeEEEZNS1_10merge_implIS3_N6thrust23THRUST_200600_302600_NS6detail15normal_iteratorINS9_10device_ptrIKtEEEESF_NSB_INSC_ItEEEEPS5_SI_SI_NS9_7greaterItEEEE10hipError_tPvRmT0_T1_T2_T3_T4_T5_mmT6_P12ihipStream_tbEUlT_E_NS1_11comp_targetILNS1_3genE8ELNS1_11target_archE1030ELNS1_3gpuE2ELNS1_3repE0EEENS1_30default_config_static_selectorELNS0_4arch9wavefront6targetE1EEEvSP_
    .private_segment_fixed_size: 0
    .sgpr_count:     4
    .sgpr_spill_count: 0
    .symbol:         _ZN7rocprim17ROCPRIM_400000_NS6detail17trampoline_kernelINS0_14default_configENS1_21merge_config_selectorItNS0_10empty_typeEEEZNS1_10merge_implIS3_N6thrust23THRUST_200600_302600_NS6detail15normal_iteratorINS9_10device_ptrIKtEEEESF_NSB_INSC_ItEEEEPS5_SI_SI_NS9_7greaterItEEEE10hipError_tPvRmT0_T1_T2_T3_T4_T5_mmT6_P12ihipStream_tbEUlT_E_NS1_11comp_targetILNS1_3genE8ELNS1_11target_archE1030ELNS1_3gpuE2ELNS1_3repE0EEENS1_30default_config_static_selectorELNS0_4arch9wavefront6targetE1EEEvSP_.kd
    .uniform_work_group_size: 1
    .uses_dynamic_stack: false
    .vgpr_count:     0
    .vgpr_spill_count: 0
    .wavefront_size: 64
  - .agpr_count:     0
    .args:
      - .offset:         0
        .size:           88
        .value_kind:     by_value
    .group_segment_fixed_size: 0
    .kernarg_segment_align: 8
    .kernarg_segment_size: 88
    .language:       OpenCL C
    .language_version:
      - 2
      - 0
    .max_flat_workgroup_size: 512
    .name:           _ZN7rocprim17ROCPRIM_400000_NS6detail17trampoline_kernelINS0_14default_configENS1_21merge_config_selectorItNS0_10empty_typeEEEZNS1_10merge_implIS3_N6thrust23THRUST_200600_302600_NS6detail15normal_iteratorINS9_10device_ptrIKtEEEESF_NSB_INSC_ItEEEEPS5_SI_SI_NS9_7greaterItEEEE10hipError_tPvRmT0_T1_T2_T3_T4_T5_mmT6_P12ihipStream_tbEUlT_E0_NS1_11comp_targetILNS1_3genE0ELNS1_11target_archE4294967295ELNS1_3gpuE0ELNS1_3repE0EEENS1_30default_config_static_selectorELNS0_4arch9wavefront6targetE1EEEvSP_
    .private_segment_fixed_size: 0
    .sgpr_count:     4
    .sgpr_spill_count: 0
    .symbol:         _ZN7rocprim17ROCPRIM_400000_NS6detail17trampoline_kernelINS0_14default_configENS1_21merge_config_selectorItNS0_10empty_typeEEEZNS1_10merge_implIS3_N6thrust23THRUST_200600_302600_NS6detail15normal_iteratorINS9_10device_ptrIKtEEEESF_NSB_INSC_ItEEEEPS5_SI_SI_NS9_7greaterItEEEE10hipError_tPvRmT0_T1_T2_T3_T4_T5_mmT6_P12ihipStream_tbEUlT_E0_NS1_11comp_targetILNS1_3genE0ELNS1_11target_archE4294967295ELNS1_3gpuE0ELNS1_3repE0EEENS1_30default_config_static_selectorELNS0_4arch9wavefront6targetE1EEEvSP_.kd
    .uniform_work_group_size: 1
    .uses_dynamic_stack: false
    .vgpr_count:     0
    .vgpr_spill_count: 0
    .wavefront_size: 64
  - .agpr_count:     0
    .args:
      - .offset:         0
        .size:           88
        .value_kind:     by_value
    .group_segment_fixed_size: 0
    .kernarg_segment_align: 8
    .kernarg_segment_size: 88
    .language:       OpenCL C
    .language_version:
      - 2
      - 0
    .max_flat_workgroup_size: 256
    .name:           _ZN7rocprim17ROCPRIM_400000_NS6detail17trampoline_kernelINS0_14default_configENS1_21merge_config_selectorItNS0_10empty_typeEEEZNS1_10merge_implIS3_N6thrust23THRUST_200600_302600_NS6detail15normal_iteratorINS9_10device_ptrIKtEEEESF_NSB_INSC_ItEEEEPS5_SI_SI_NS9_7greaterItEEEE10hipError_tPvRmT0_T1_T2_T3_T4_T5_mmT6_P12ihipStream_tbEUlT_E0_NS1_11comp_targetILNS1_3genE5ELNS1_11target_archE942ELNS1_3gpuE9ELNS1_3repE0EEENS1_30default_config_static_selectorELNS0_4arch9wavefront6targetE1EEEvSP_
    .private_segment_fixed_size: 0
    .sgpr_count:     4
    .sgpr_spill_count: 0
    .symbol:         _ZN7rocprim17ROCPRIM_400000_NS6detail17trampoline_kernelINS0_14default_configENS1_21merge_config_selectorItNS0_10empty_typeEEEZNS1_10merge_implIS3_N6thrust23THRUST_200600_302600_NS6detail15normal_iteratorINS9_10device_ptrIKtEEEESF_NSB_INSC_ItEEEEPS5_SI_SI_NS9_7greaterItEEEE10hipError_tPvRmT0_T1_T2_T3_T4_T5_mmT6_P12ihipStream_tbEUlT_E0_NS1_11comp_targetILNS1_3genE5ELNS1_11target_archE942ELNS1_3gpuE9ELNS1_3repE0EEENS1_30default_config_static_selectorELNS0_4arch9wavefront6targetE1EEEvSP_.kd
    .uniform_work_group_size: 1
    .uses_dynamic_stack: false
    .vgpr_count:     0
    .vgpr_spill_count: 0
    .wavefront_size: 64
  - .agpr_count:     0
    .args:
      - .offset:         0
        .size:           88
        .value_kind:     by_value
    .group_segment_fixed_size: 8448
    .kernarg_segment_align: 8
    .kernarg_segment_size: 88
    .language:       OpenCL C
    .language_version:
      - 2
      - 0
    .max_flat_workgroup_size: 256
    .name:           _ZN7rocprim17ROCPRIM_400000_NS6detail17trampoline_kernelINS0_14default_configENS1_21merge_config_selectorItNS0_10empty_typeEEEZNS1_10merge_implIS3_N6thrust23THRUST_200600_302600_NS6detail15normal_iteratorINS9_10device_ptrIKtEEEESF_NSB_INSC_ItEEEEPS5_SI_SI_NS9_7greaterItEEEE10hipError_tPvRmT0_T1_T2_T3_T4_T5_mmT6_P12ihipStream_tbEUlT_E0_NS1_11comp_targetILNS1_3genE4ELNS1_11target_archE910ELNS1_3gpuE8ELNS1_3repE0EEENS1_30default_config_static_selectorELNS0_4arch9wavefront6targetE1EEEvSP_
    .private_segment_fixed_size: 0
    .sgpr_count:     40
    .sgpr_spill_count: 0
    .symbol:         _ZN7rocprim17ROCPRIM_400000_NS6detail17trampoline_kernelINS0_14default_configENS1_21merge_config_selectorItNS0_10empty_typeEEEZNS1_10merge_implIS3_N6thrust23THRUST_200600_302600_NS6detail15normal_iteratorINS9_10device_ptrIKtEEEESF_NSB_INSC_ItEEEEPS5_SI_SI_NS9_7greaterItEEEE10hipError_tPvRmT0_T1_T2_T3_T4_T5_mmT6_P12ihipStream_tbEUlT_E0_NS1_11comp_targetILNS1_3genE4ELNS1_11target_archE910ELNS1_3gpuE8ELNS1_3repE0EEENS1_30default_config_static_selectorELNS0_4arch9wavefront6targetE1EEEvSP_.kd
    .uniform_work_group_size: 1
    .uses_dynamic_stack: false
    .vgpr_count:     50
    .vgpr_spill_count: 0
    .wavefront_size: 64
  - .agpr_count:     0
    .args:
      - .offset:         0
        .size:           88
        .value_kind:     by_value
    .group_segment_fixed_size: 0
    .kernarg_segment_align: 8
    .kernarg_segment_size: 88
    .language:       OpenCL C
    .language_version:
      - 2
      - 0
    .max_flat_workgroup_size: 512
    .name:           _ZN7rocprim17ROCPRIM_400000_NS6detail17trampoline_kernelINS0_14default_configENS1_21merge_config_selectorItNS0_10empty_typeEEEZNS1_10merge_implIS3_N6thrust23THRUST_200600_302600_NS6detail15normal_iteratorINS9_10device_ptrIKtEEEESF_NSB_INSC_ItEEEEPS5_SI_SI_NS9_7greaterItEEEE10hipError_tPvRmT0_T1_T2_T3_T4_T5_mmT6_P12ihipStream_tbEUlT_E0_NS1_11comp_targetILNS1_3genE3ELNS1_11target_archE908ELNS1_3gpuE7ELNS1_3repE0EEENS1_30default_config_static_selectorELNS0_4arch9wavefront6targetE1EEEvSP_
    .private_segment_fixed_size: 0
    .sgpr_count:     4
    .sgpr_spill_count: 0
    .symbol:         _ZN7rocprim17ROCPRIM_400000_NS6detail17trampoline_kernelINS0_14default_configENS1_21merge_config_selectorItNS0_10empty_typeEEEZNS1_10merge_implIS3_N6thrust23THRUST_200600_302600_NS6detail15normal_iteratorINS9_10device_ptrIKtEEEESF_NSB_INSC_ItEEEEPS5_SI_SI_NS9_7greaterItEEEE10hipError_tPvRmT0_T1_T2_T3_T4_T5_mmT6_P12ihipStream_tbEUlT_E0_NS1_11comp_targetILNS1_3genE3ELNS1_11target_archE908ELNS1_3gpuE7ELNS1_3repE0EEENS1_30default_config_static_selectorELNS0_4arch9wavefront6targetE1EEEvSP_.kd
    .uniform_work_group_size: 1
    .uses_dynamic_stack: false
    .vgpr_count:     0
    .vgpr_spill_count: 0
    .wavefront_size: 64
  - .agpr_count:     0
    .args:
      - .offset:         0
        .size:           88
        .value_kind:     by_value
    .group_segment_fixed_size: 0
    .kernarg_segment_align: 8
    .kernarg_segment_size: 88
    .language:       OpenCL C
    .language_version:
      - 2
      - 0
    .max_flat_workgroup_size: 256
    .name:           _ZN7rocprim17ROCPRIM_400000_NS6detail17trampoline_kernelINS0_14default_configENS1_21merge_config_selectorItNS0_10empty_typeEEEZNS1_10merge_implIS3_N6thrust23THRUST_200600_302600_NS6detail15normal_iteratorINS9_10device_ptrIKtEEEESF_NSB_INSC_ItEEEEPS5_SI_SI_NS9_7greaterItEEEE10hipError_tPvRmT0_T1_T2_T3_T4_T5_mmT6_P12ihipStream_tbEUlT_E0_NS1_11comp_targetILNS1_3genE2ELNS1_11target_archE906ELNS1_3gpuE6ELNS1_3repE0EEENS1_30default_config_static_selectorELNS0_4arch9wavefront6targetE1EEEvSP_
    .private_segment_fixed_size: 0
    .sgpr_count:     4
    .sgpr_spill_count: 0
    .symbol:         _ZN7rocprim17ROCPRIM_400000_NS6detail17trampoline_kernelINS0_14default_configENS1_21merge_config_selectorItNS0_10empty_typeEEEZNS1_10merge_implIS3_N6thrust23THRUST_200600_302600_NS6detail15normal_iteratorINS9_10device_ptrIKtEEEESF_NSB_INSC_ItEEEEPS5_SI_SI_NS9_7greaterItEEEE10hipError_tPvRmT0_T1_T2_T3_T4_T5_mmT6_P12ihipStream_tbEUlT_E0_NS1_11comp_targetILNS1_3genE2ELNS1_11target_archE906ELNS1_3gpuE6ELNS1_3repE0EEENS1_30default_config_static_selectorELNS0_4arch9wavefront6targetE1EEEvSP_.kd
    .uniform_work_group_size: 1
    .uses_dynamic_stack: false
    .vgpr_count:     0
    .vgpr_spill_count: 0
    .wavefront_size: 64
  - .agpr_count:     0
    .args:
      - .offset:         0
        .size:           88
        .value_kind:     by_value
    .group_segment_fixed_size: 0
    .kernarg_segment_align: 8
    .kernarg_segment_size: 88
    .language:       OpenCL C
    .language_version:
      - 2
      - 0
    .max_flat_workgroup_size: 512
    .name:           _ZN7rocprim17ROCPRIM_400000_NS6detail17trampoline_kernelINS0_14default_configENS1_21merge_config_selectorItNS0_10empty_typeEEEZNS1_10merge_implIS3_N6thrust23THRUST_200600_302600_NS6detail15normal_iteratorINS9_10device_ptrIKtEEEESF_NSB_INSC_ItEEEEPS5_SI_SI_NS9_7greaterItEEEE10hipError_tPvRmT0_T1_T2_T3_T4_T5_mmT6_P12ihipStream_tbEUlT_E0_NS1_11comp_targetILNS1_3genE10ELNS1_11target_archE1201ELNS1_3gpuE5ELNS1_3repE0EEENS1_30default_config_static_selectorELNS0_4arch9wavefront6targetE1EEEvSP_
    .private_segment_fixed_size: 0
    .sgpr_count:     4
    .sgpr_spill_count: 0
    .symbol:         _ZN7rocprim17ROCPRIM_400000_NS6detail17trampoline_kernelINS0_14default_configENS1_21merge_config_selectorItNS0_10empty_typeEEEZNS1_10merge_implIS3_N6thrust23THRUST_200600_302600_NS6detail15normal_iteratorINS9_10device_ptrIKtEEEESF_NSB_INSC_ItEEEEPS5_SI_SI_NS9_7greaterItEEEE10hipError_tPvRmT0_T1_T2_T3_T4_T5_mmT6_P12ihipStream_tbEUlT_E0_NS1_11comp_targetILNS1_3genE10ELNS1_11target_archE1201ELNS1_3gpuE5ELNS1_3repE0EEENS1_30default_config_static_selectorELNS0_4arch9wavefront6targetE1EEEvSP_.kd
    .uniform_work_group_size: 1
    .uses_dynamic_stack: false
    .vgpr_count:     0
    .vgpr_spill_count: 0
    .wavefront_size: 64
  - .agpr_count:     0
    .args:
      - .offset:         0
        .size:           88
        .value_kind:     by_value
    .group_segment_fixed_size: 0
    .kernarg_segment_align: 8
    .kernarg_segment_size: 88
    .language:       OpenCL C
    .language_version:
      - 2
      - 0
    .max_flat_workgroup_size: 512
    .name:           _ZN7rocprim17ROCPRIM_400000_NS6detail17trampoline_kernelINS0_14default_configENS1_21merge_config_selectorItNS0_10empty_typeEEEZNS1_10merge_implIS3_N6thrust23THRUST_200600_302600_NS6detail15normal_iteratorINS9_10device_ptrIKtEEEESF_NSB_INSC_ItEEEEPS5_SI_SI_NS9_7greaterItEEEE10hipError_tPvRmT0_T1_T2_T3_T4_T5_mmT6_P12ihipStream_tbEUlT_E0_NS1_11comp_targetILNS1_3genE10ELNS1_11target_archE1200ELNS1_3gpuE4ELNS1_3repE0EEENS1_30default_config_static_selectorELNS0_4arch9wavefront6targetE1EEEvSP_
    .private_segment_fixed_size: 0
    .sgpr_count:     4
    .sgpr_spill_count: 0
    .symbol:         _ZN7rocprim17ROCPRIM_400000_NS6detail17trampoline_kernelINS0_14default_configENS1_21merge_config_selectorItNS0_10empty_typeEEEZNS1_10merge_implIS3_N6thrust23THRUST_200600_302600_NS6detail15normal_iteratorINS9_10device_ptrIKtEEEESF_NSB_INSC_ItEEEEPS5_SI_SI_NS9_7greaterItEEEE10hipError_tPvRmT0_T1_T2_T3_T4_T5_mmT6_P12ihipStream_tbEUlT_E0_NS1_11comp_targetILNS1_3genE10ELNS1_11target_archE1200ELNS1_3gpuE4ELNS1_3repE0EEENS1_30default_config_static_selectorELNS0_4arch9wavefront6targetE1EEEvSP_.kd
    .uniform_work_group_size: 1
    .uses_dynamic_stack: false
    .vgpr_count:     0
    .vgpr_spill_count: 0
    .wavefront_size: 64
  - .agpr_count:     0
    .args:
      - .offset:         0
        .size:           88
        .value_kind:     by_value
    .group_segment_fixed_size: 0
    .kernarg_segment_align: 8
    .kernarg_segment_size: 88
    .language:       OpenCL C
    .language_version:
      - 2
      - 0
    .max_flat_workgroup_size: 512
    .name:           _ZN7rocprim17ROCPRIM_400000_NS6detail17trampoline_kernelINS0_14default_configENS1_21merge_config_selectorItNS0_10empty_typeEEEZNS1_10merge_implIS3_N6thrust23THRUST_200600_302600_NS6detail15normal_iteratorINS9_10device_ptrIKtEEEESF_NSB_INSC_ItEEEEPS5_SI_SI_NS9_7greaterItEEEE10hipError_tPvRmT0_T1_T2_T3_T4_T5_mmT6_P12ihipStream_tbEUlT_E0_NS1_11comp_targetILNS1_3genE9ELNS1_11target_archE1100ELNS1_3gpuE3ELNS1_3repE0EEENS1_30default_config_static_selectorELNS0_4arch9wavefront6targetE1EEEvSP_
    .private_segment_fixed_size: 0
    .sgpr_count:     4
    .sgpr_spill_count: 0
    .symbol:         _ZN7rocprim17ROCPRIM_400000_NS6detail17trampoline_kernelINS0_14default_configENS1_21merge_config_selectorItNS0_10empty_typeEEEZNS1_10merge_implIS3_N6thrust23THRUST_200600_302600_NS6detail15normal_iteratorINS9_10device_ptrIKtEEEESF_NSB_INSC_ItEEEEPS5_SI_SI_NS9_7greaterItEEEE10hipError_tPvRmT0_T1_T2_T3_T4_T5_mmT6_P12ihipStream_tbEUlT_E0_NS1_11comp_targetILNS1_3genE9ELNS1_11target_archE1100ELNS1_3gpuE3ELNS1_3repE0EEENS1_30default_config_static_selectorELNS0_4arch9wavefront6targetE1EEEvSP_.kd
    .uniform_work_group_size: 1
    .uses_dynamic_stack: false
    .vgpr_count:     0
    .vgpr_spill_count: 0
    .wavefront_size: 64
  - .agpr_count:     0
    .args:
      - .offset:         0
        .size:           88
        .value_kind:     by_value
    .group_segment_fixed_size: 0
    .kernarg_segment_align: 8
    .kernarg_segment_size: 88
    .language:       OpenCL C
    .language_version:
      - 2
      - 0
    .max_flat_workgroup_size: 256
    .name:           _ZN7rocprim17ROCPRIM_400000_NS6detail17trampoline_kernelINS0_14default_configENS1_21merge_config_selectorItNS0_10empty_typeEEEZNS1_10merge_implIS3_N6thrust23THRUST_200600_302600_NS6detail15normal_iteratorINS9_10device_ptrIKtEEEESF_NSB_INSC_ItEEEEPS5_SI_SI_NS9_7greaterItEEEE10hipError_tPvRmT0_T1_T2_T3_T4_T5_mmT6_P12ihipStream_tbEUlT_E0_NS1_11comp_targetILNS1_3genE8ELNS1_11target_archE1030ELNS1_3gpuE2ELNS1_3repE0EEENS1_30default_config_static_selectorELNS0_4arch9wavefront6targetE1EEEvSP_
    .private_segment_fixed_size: 0
    .sgpr_count:     4
    .sgpr_spill_count: 0
    .symbol:         _ZN7rocprim17ROCPRIM_400000_NS6detail17trampoline_kernelINS0_14default_configENS1_21merge_config_selectorItNS0_10empty_typeEEEZNS1_10merge_implIS3_N6thrust23THRUST_200600_302600_NS6detail15normal_iteratorINS9_10device_ptrIKtEEEESF_NSB_INSC_ItEEEEPS5_SI_SI_NS9_7greaterItEEEE10hipError_tPvRmT0_T1_T2_T3_T4_T5_mmT6_P12ihipStream_tbEUlT_E0_NS1_11comp_targetILNS1_3genE8ELNS1_11target_archE1030ELNS1_3gpuE2ELNS1_3repE0EEENS1_30default_config_static_selectorELNS0_4arch9wavefront6targetE1EEEvSP_.kd
    .uniform_work_group_size: 1
    .uses_dynamic_stack: false
    .vgpr_count:     0
    .vgpr_spill_count: 0
    .wavefront_size: 64
  - .agpr_count:     0
    .args:
      - .offset:         0
        .size:           48
        .value_kind:     by_value
    .group_segment_fixed_size: 0
    .kernarg_segment_align: 8
    .kernarg_segment_size: 48
    .language:       OpenCL C
    .language_version:
      - 2
      - 0
    .max_flat_workgroup_size: 256
    .name:           _ZN7rocprim17ROCPRIM_400000_NS6detail17trampoline_kernelINS0_14default_configENS1_21merge_config_selectorIxNS0_10empty_typeEEEZNS1_10merge_implIS3_N6thrust23THRUST_200600_302600_NS6detail15normal_iteratorINS9_10device_ptrIKxEEEESF_NSB_INSC_IxEEEEPS5_SI_SI_NS9_7greaterIxEEEE10hipError_tPvRmT0_T1_T2_T3_T4_T5_mmT6_P12ihipStream_tbEUlT_E_NS1_11comp_targetILNS1_3genE0ELNS1_11target_archE4294967295ELNS1_3gpuE0ELNS1_3repE0EEENS1_30default_config_static_selectorELNS0_4arch9wavefront6targetE1EEEvSP_
    .private_segment_fixed_size: 0
    .sgpr_count:     4
    .sgpr_spill_count: 0
    .symbol:         _ZN7rocprim17ROCPRIM_400000_NS6detail17trampoline_kernelINS0_14default_configENS1_21merge_config_selectorIxNS0_10empty_typeEEEZNS1_10merge_implIS3_N6thrust23THRUST_200600_302600_NS6detail15normal_iteratorINS9_10device_ptrIKxEEEESF_NSB_INSC_IxEEEEPS5_SI_SI_NS9_7greaterIxEEEE10hipError_tPvRmT0_T1_T2_T3_T4_T5_mmT6_P12ihipStream_tbEUlT_E_NS1_11comp_targetILNS1_3genE0ELNS1_11target_archE4294967295ELNS1_3gpuE0ELNS1_3repE0EEENS1_30default_config_static_selectorELNS0_4arch9wavefront6targetE1EEEvSP_.kd
    .uniform_work_group_size: 1
    .uses_dynamic_stack: false
    .vgpr_count:     0
    .vgpr_spill_count: 0
    .wavefront_size: 64
  - .agpr_count:     0
    .args:
      - .offset:         0
        .size:           48
        .value_kind:     by_value
    .group_segment_fixed_size: 0
    .kernarg_segment_align: 8
    .kernarg_segment_size: 48
    .language:       OpenCL C
    .language_version:
      - 2
      - 0
    .max_flat_workgroup_size: 256
    .name:           _ZN7rocprim17ROCPRIM_400000_NS6detail17trampoline_kernelINS0_14default_configENS1_21merge_config_selectorIxNS0_10empty_typeEEEZNS1_10merge_implIS3_N6thrust23THRUST_200600_302600_NS6detail15normal_iteratorINS9_10device_ptrIKxEEEESF_NSB_INSC_IxEEEEPS5_SI_SI_NS9_7greaterIxEEEE10hipError_tPvRmT0_T1_T2_T3_T4_T5_mmT6_P12ihipStream_tbEUlT_E_NS1_11comp_targetILNS1_3genE5ELNS1_11target_archE942ELNS1_3gpuE9ELNS1_3repE0EEENS1_30default_config_static_selectorELNS0_4arch9wavefront6targetE1EEEvSP_
    .private_segment_fixed_size: 0
    .sgpr_count:     4
    .sgpr_spill_count: 0
    .symbol:         _ZN7rocprim17ROCPRIM_400000_NS6detail17trampoline_kernelINS0_14default_configENS1_21merge_config_selectorIxNS0_10empty_typeEEEZNS1_10merge_implIS3_N6thrust23THRUST_200600_302600_NS6detail15normal_iteratorINS9_10device_ptrIKxEEEESF_NSB_INSC_IxEEEEPS5_SI_SI_NS9_7greaterIxEEEE10hipError_tPvRmT0_T1_T2_T3_T4_T5_mmT6_P12ihipStream_tbEUlT_E_NS1_11comp_targetILNS1_3genE5ELNS1_11target_archE942ELNS1_3gpuE9ELNS1_3repE0EEENS1_30default_config_static_selectorELNS0_4arch9wavefront6targetE1EEEvSP_.kd
    .uniform_work_group_size: 1
    .uses_dynamic_stack: false
    .vgpr_count:     0
    .vgpr_spill_count: 0
    .wavefront_size: 64
  - .agpr_count:     0
    .args:
      - .offset:         0
        .size:           48
        .value_kind:     by_value
      - .offset:         48
        .size:           4
        .value_kind:     hidden_block_count_x
      - .offset:         52
        .size:           4
        .value_kind:     hidden_block_count_y
      - .offset:         56
        .size:           4
        .value_kind:     hidden_block_count_z
      - .offset:         60
        .size:           2
        .value_kind:     hidden_group_size_x
      - .offset:         62
        .size:           2
        .value_kind:     hidden_group_size_y
      - .offset:         64
        .size:           2
        .value_kind:     hidden_group_size_z
      - .offset:         66
        .size:           2
        .value_kind:     hidden_remainder_x
      - .offset:         68
        .size:           2
        .value_kind:     hidden_remainder_y
      - .offset:         70
        .size:           2
        .value_kind:     hidden_remainder_z
      - .offset:         88
        .size:           8
        .value_kind:     hidden_global_offset_x
      - .offset:         96
        .size:           8
        .value_kind:     hidden_global_offset_y
      - .offset:         104
        .size:           8
        .value_kind:     hidden_global_offset_z
      - .offset:         112
        .size:           2
        .value_kind:     hidden_grid_dims
    .group_segment_fixed_size: 0
    .kernarg_segment_align: 8
    .kernarg_segment_size: 304
    .language:       OpenCL C
    .language_version:
      - 2
      - 0
    .max_flat_workgroup_size: 256
    .name:           _ZN7rocprim17ROCPRIM_400000_NS6detail17trampoline_kernelINS0_14default_configENS1_21merge_config_selectorIxNS0_10empty_typeEEEZNS1_10merge_implIS3_N6thrust23THRUST_200600_302600_NS6detail15normal_iteratorINS9_10device_ptrIKxEEEESF_NSB_INSC_IxEEEEPS5_SI_SI_NS9_7greaterIxEEEE10hipError_tPvRmT0_T1_T2_T3_T4_T5_mmT6_P12ihipStream_tbEUlT_E_NS1_11comp_targetILNS1_3genE4ELNS1_11target_archE910ELNS1_3gpuE8ELNS1_3repE0EEENS1_30default_config_static_selectorELNS0_4arch9wavefront6targetE1EEEvSP_
    .private_segment_fixed_size: 0
    .sgpr_count:     18
    .sgpr_spill_count: 0
    .symbol:         _ZN7rocprim17ROCPRIM_400000_NS6detail17trampoline_kernelINS0_14default_configENS1_21merge_config_selectorIxNS0_10empty_typeEEEZNS1_10merge_implIS3_N6thrust23THRUST_200600_302600_NS6detail15normal_iteratorINS9_10device_ptrIKxEEEESF_NSB_INSC_IxEEEEPS5_SI_SI_NS9_7greaterIxEEEE10hipError_tPvRmT0_T1_T2_T3_T4_T5_mmT6_P12ihipStream_tbEUlT_E_NS1_11comp_targetILNS1_3genE4ELNS1_11target_archE910ELNS1_3gpuE8ELNS1_3repE0EEENS1_30default_config_static_selectorELNS0_4arch9wavefront6targetE1EEEvSP_.kd
    .uniform_work_group_size: 1
    .uses_dynamic_stack: false
    .vgpr_count:     16
    .vgpr_spill_count: 0
    .wavefront_size: 64
  - .agpr_count:     0
    .args:
      - .offset:         0
        .size:           48
        .value_kind:     by_value
    .group_segment_fixed_size: 0
    .kernarg_segment_align: 8
    .kernarg_segment_size: 48
    .language:       OpenCL C
    .language_version:
      - 2
      - 0
    .max_flat_workgroup_size: 256
    .name:           _ZN7rocprim17ROCPRIM_400000_NS6detail17trampoline_kernelINS0_14default_configENS1_21merge_config_selectorIxNS0_10empty_typeEEEZNS1_10merge_implIS3_N6thrust23THRUST_200600_302600_NS6detail15normal_iteratorINS9_10device_ptrIKxEEEESF_NSB_INSC_IxEEEEPS5_SI_SI_NS9_7greaterIxEEEE10hipError_tPvRmT0_T1_T2_T3_T4_T5_mmT6_P12ihipStream_tbEUlT_E_NS1_11comp_targetILNS1_3genE3ELNS1_11target_archE908ELNS1_3gpuE7ELNS1_3repE0EEENS1_30default_config_static_selectorELNS0_4arch9wavefront6targetE1EEEvSP_
    .private_segment_fixed_size: 0
    .sgpr_count:     4
    .sgpr_spill_count: 0
    .symbol:         _ZN7rocprim17ROCPRIM_400000_NS6detail17trampoline_kernelINS0_14default_configENS1_21merge_config_selectorIxNS0_10empty_typeEEEZNS1_10merge_implIS3_N6thrust23THRUST_200600_302600_NS6detail15normal_iteratorINS9_10device_ptrIKxEEEESF_NSB_INSC_IxEEEEPS5_SI_SI_NS9_7greaterIxEEEE10hipError_tPvRmT0_T1_T2_T3_T4_T5_mmT6_P12ihipStream_tbEUlT_E_NS1_11comp_targetILNS1_3genE3ELNS1_11target_archE908ELNS1_3gpuE7ELNS1_3repE0EEENS1_30default_config_static_selectorELNS0_4arch9wavefront6targetE1EEEvSP_.kd
    .uniform_work_group_size: 1
    .uses_dynamic_stack: false
    .vgpr_count:     0
    .vgpr_spill_count: 0
    .wavefront_size: 64
  - .agpr_count:     0
    .args:
      - .offset:         0
        .size:           48
        .value_kind:     by_value
    .group_segment_fixed_size: 0
    .kernarg_segment_align: 8
    .kernarg_segment_size: 48
    .language:       OpenCL C
    .language_version:
      - 2
      - 0
    .max_flat_workgroup_size: 256
    .name:           _ZN7rocprim17ROCPRIM_400000_NS6detail17trampoline_kernelINS0_14default_configENS1_21merge_config_selectorIxNS0_10empty_typeEEEZNS1_10merge_implIS3_N6thrust23THRUST_200600_302600_NS6detail15normal_iteratorINS9_10device_ptrIKxEEEESF_NSB_INSC_IxEEEEPS5_SI_SI_NS9_7greaterIxEEEE10hipError_tPvRmT0_T1_T2_T3_T4_T5_mmT6_P12ihipStream_tbEUlT_E_NS1_11comp_targetILNS1_3genE2ELNS1_11target_archE906ELNS1_3gpuE6ELNS1_3repE0EEENS1_30default_config_static_selectorELNS0_4arch9wavefront6targetE1EEEvSP_
    .private_segment_fixed_size: 0
    .sgpr_count:     4
    .sgpr_spill_count: 0
    .symbol:         _ZN7rocprim17ROCPRIM_400000_NS6detail17trampoline_kernelINS0_14default_configENS1_21merge_config_selectorIxNS0_10empty_typeEEEZNS1_10merge_implIS3_N6thrust23THRUST_200600_302600_NS6detail15normal_iteratorINS9_10device_ptrIKxEEEESF_NSB_INSC_IxEEEEPS5_SI_SI_NS9_7greaterIxEEEE10hipError_tPvRmT0_T1_T2_T3_T4_T5_mmT6_P12ihipStream_tbEUlT_E_NS1_11comp_targetILNS1_3genE2ELNS1_11target_archE906ELNS1_3gpuE6ELNS1_3repE0EEENS1_30default_config_static_selectorELNS0_4arch9wavefront6targetE1EEEvSP_.kd
    .uniform_work_group_size: 1
    .uses_dynamic_stack: false
    .vgpr_count:     0
    .vgpr_spill_count: 0
    .wavefront_size: 64
  - .agpr_count:     0
    .args:
      - .offset:         0
        .size:           48
        .value_kind:     by_value
    .group_segment_fixed_size: 0
    .kernarg_segment_align: 8
    .kernarg_segment_size: 48
    .language:       OpenCL C
    .language_version:
      - 2
      - 0
    .max_flat_workgroup_size: 512
    .name:           _ZN7rocprim17ROCPRIM_400000_NS6detail17trampoline_kernelINS0_14default_configENS1_21merge_config_selectorIxNS0_10empty_typeEEEZNS1_10merge_implIS3_N6thrust23THRUST_200600_302600_NS6detail15normal_iteratorINS9_10device_ptrIKxEEEESF_NSB_INSC_IxEEEEPS5_SI_SI_NS9_7greaterIxEEEE10hipError_tPvRmT0_T1_T2_T3_T4_T5_mmT6_P12ihipStream_tbEUlT_E_NS1_11comp_targetILNS1_3genE10ELNS1_11target_archE1201ELNS1_3gpuE5ELNS1_3repE0EEENS1_30default_config_static_selectorELNS0_4arch9wavefront6targetE1EEEvSP_
    .private_segment_fixed_size: 0
    .sgpr_count:     4
    .sgpr_spill_count: 0
    .symbol:         _ZN7rocprim17ROCPRIM_400000_NS6detail17trampoline_kernelINS0_14default_configENS1_21merge_config_selectorIxNS0_10empty_typeEEEZNS1_10merge_implIS3_N6thrust23THRUST_200600_302600_NS6detail15normal_iteratorINS9_10device_ptrIKxEEEESF_NSB_INSC_IxEEEEPS5_SI_SI_NS9_7greaterIxEEEE10hipError_tPvRmT0_T1_T2_T3_T4_T5_mmT6_P12ihipStream_tbEUlT_E_NS1_11comp_targetILNS1_3genE10ELNS1_11target_archE1201ELNS1_3gpuE5ELNS1_3repE0EEENS1_30default_config_static_selectorELNS0_4arch9wavefront6targetE1EEEvSP_.kd
    .uniform_work_group_size: 1
    .uses_dynamic_stack: false
    .vgpr_count:     0
    .vgpr_spill_count: 0
    .wavefront_size: 64
  - .agpr_count:     0
    .args:
      - .offset:         0
        .size:           48
        .value_kind:     by_value
    .group_segment_fixed_size: 0
    .kernarg_segment_align: 8
    .kernarg_segment_size: 48
    .language:       OpenCL C
    .language_version:
      - 2
      - 0
    .max_flat_workgroup_size: 1024
    .name:           _ZN7rocprim17ROCPRIM_400000_NS6detail17trampoline_kernelINS0_14default_configENS1_21merge_config_selectorIxNS0_10empty_typeEEEZNS1_10merge_implIS3_N6thrust23THRUST_200600_302600_NS6detail15normal_iteratorINS9_10device_ptrIKxEEEESF_NSB_INSC_IxEEEEPS5_SI_SI_NS9_7greaterIxEEEE10hipError_tPvRmT0_T1_T2_T3_T4_T5_mmT6_P12ihipStream_tbEUlT_E_NS1_11comp_targetILNS1_3genE10ELNS1_11target_archE1200ELNS1_3gpuE4ELNS1_3repE0EEENS1_30default_config_static_selectorELNS0_4arch9wavefront6targetE1EEEvSP_
    .private_segment_fixed_size: 0
    .sgpr_count:     4
    .sgpr_spill_count: 0
    .symbol:         _ZN7rocprim17ROCPRIM_400000_NS6detail17trampoline_kernelINS0_14default_configENS1_21merge_config_selectorIxNS0_10empty_typeEEEZNS1_10merge_implIS3_N6thrust23THRUST_200600_302600_NS6detail15normal_iteratorINS9_10device_ptrIKxEEEESF_NSB_INSC_IxEEEEPS5_SI_SI_NS9_7greaterIxEEEE10hipError_tPvRmT0_T1_T2_T3_T4_T5_mmT6_P12ihipStream_tbEUlT_E_NS1_11comp_targetILNS1_3genE10ELNS1_11target_archE1200ELNS1_3gpuE4ELNS1_3repE0EEENS1_30default_config_static_selectorELNS0_4arch9wavefront6targetE1EEEvSP_.kd
    .uniform_work_group_size: 1
    .uses_dynamic_stack: false
    .vgpr_count:     0
    .vgpr_spill_count: 0
    .wavefront_size: 64
  - .agpr_count:     0
    .args:
      - .offset:         0
        .size:           48
        .value_kind:     by_value
    .group_segment_fixed_size: 0
    .kernarg_segment_align: 8
    .kernarg_segment_size: 48
    .language:       OpenCL C
    .language_version:
      - 2
      - 0
    .max_flat_workgroup_size: 1024
    .name:           _ZN7rocprim17ROCPRIM_400000_NS6detail17trampoline_kernelINS0_14default_configENS1_21merge_config_selectorIxNS0_10empty_typeEEEZNS1_10merge_implIS3_N6thrust23THRUST_200600_302600_NS6detail15normal_iteratorINS9_10device_ptrIKxEEEESF_NSB_INSC_IxEEEEPS5_SI_SI_NS9_7greaterIxEEEE10hipError_tPvRmT0_T1_T2_T3_T4_T5_mmT6_P12ihipStream_tbEUlT_E_NS1_11comp_targetILNS1_3genE9ELNS1_11target_archE1100ELNS1_3gpuE3ELNS1_3repE0EEENS1_30default_config_static_selectorELNS0_4arch9wavefront6targetE1EEEvSP_
    .private_segment_fixed_size: 0
    .sgpr_count:     4
    .sgpr_spill_count: 0
    .symbol:         _ZN7rocprim17ROCPRIM_400000_NS6detail17trampoline_kernelINS0_14default_configENS1_21merge_config_selectorIxNS0_10empty_typeEEEZNS1_10merge_implIS3_N6thrust23THRUST_200600_302600_NS6detail15normal_iteratorINS9_10device_ptrIKxEEEESF_NSB_INSC_IxEEEEPS5_SI_SI_NS9_7greaterIxEEEE10hipError_tPvRmT0_T1_T2_T3_T4_T5_mmT6_P12ihipStream_tbEUlT_E_NS1_11comp_targetILNS1_3genE9ELNS1_11target_archE1100ELNS1_3gpuE3ELNS1_3repE0EEENS1_30default_config_static_selectorELNS0_4arch9wavefront6targetE1EEEvSP_.kd
    .uniform_work_group_size: 1
    .uses_dynamic_stack: false
    .vgpr_count:     0
    .vgpr_spill_count: 0
    .wavefront_size: 64
  - .agpr_count:     0
    .args:
      - .offset:         0
        .size:           48
        .value_kind:     by_value
    .group_segment_fixed_size: 0
    .kernarg_segment_align: 8
    .kernarg_segment_size: 48
    .language:       OpenCL C
    .language_version:
      - 2
      - 0
    .max_flat_workgroup_size: 256
    .name:           _ZN7rocprim17ROCPRIM_400000_NS6detail17trampoline_kernelINS0_14default_configENS1_21merge_config_selectorIxNS0_10empty_typeEEEZNS1_10merge_implIS3_N6thrust23THRUST_200600_302600_NS6detail15normal_iteratorINS9_10device_ptrIKxEEEESF_NSB_INSC_IxEEEEPS5_SI_SI_NS9_7greaterIxEEEE10hipError_tPvRmT0_T1_T2_T3_T4_T5_mmT6_P12ihipStream_tbEUlT_E_NS1_11comp_targetILNS1_3genE8ELNS1_11target_archE1030ELNS1_3gpuE2ELNS1_3repE0EEENS1_30default_config_static_selectorELNS0_4arch9wavefront6targetE1EEEvSP_
    .private_segment_fixed_size: 0
    .sgpr_count:     4
    .sgpr_spill_count: 0
    .symbol:         _ZN7rocprim17ROCPRIM_400000_NS6detail17trampoline_kernelINS0_14default_configENS1_21merge_config_selectorIxNS0_10empty_typeEEEZNS1_10merge_implIS3_N6thrust23THRUST_200600_302600_NS6detail15normal_iteratorINS9_10device_ptrIKxEEEESF_NSB_INSC_IxEEEEPS5_SI_SI_NS9_7greaterIxEEEE10hipError_tPvRmT0_T1_T2_T3_T4_T5_mmT6_P12ihipStream_tbEUlT_E_NS1_11comp_targetILNS1_3genE8ELNS1_11target_archE1030ELNS1_3gpuE2ELNS1_3repE0EEENS1_30default_config_static_selectorELNS0_4arch9wavefront6targetE1EEEvSP_.kd
    .uniform_work_group_size: 1
    .uses_dynamic_stack: false
    .vgpr_count:     0
    .vgpr_spill_count: 0
    .wavefront_size: 64
  - .agpr_count:     0
    .args:
      - .offset:         0
        .size:           88
        .value_kind:     by_value
    .group_segment_fixed_size: 0
    .kernarg_segment_align: 8
    .kernarg_segment_size: 88
    .language:       OpenCL C
    .language_version:
      - 2
      - 0
    .max_flat_workgroup_size: 256
    .name:           _ZN7rocprim17ROCPRIM_400000_NS6detail17trampoline_kernelINS0_14default_configENS1_21merge_config_selectorIxNS0_10empty_typeEEEZNS1_10merge_implIS3_N6thrust23THRUST_200600_302600_NS6detail15normal_iteratorINS9_10device_ptrIKxEEEESF_NSB_INSC_IxEEEEPS5_SI_SI_NS9_7greaterIxEEEE10hipError_tPvRmT0_T1_T2_T3_T4_T5_mmT6_P12ihipStream_tbEUlT_E0_NS1_11comp_targetILNS1_3genE0ELNS1_11target_archE4294967295ELNS1_3gpuE0ELNS1_3repE0EEENS1_30default_config_static_selectorELNS0_4arch9wavefront6targetE1EEEvSP_
    .private_segment_fixed_size: 0
    .sgpr_count:     4
    .sgpr_spill_count: 0
    .symbol:         _ZN7rocprim17ROCPRIM_400000_NS6detail17trampoline_kernelINS0_14default_configENS1_21merge_config_selectorIxNS0_10empty_typeEEEZNS1_10merge_implIS3_N6thrust23THRUST_200600_302600_NS6detail15normal_iteratorINS9_10device_ptrIKxEEEESF_NSB_INSC_IxEEEEPS5_SI_SI_NS9_7greaterIxEEEE10hipError_tPvRmT0_T1_T2_T3_T4_T5_mmT6_P12ihipStream_tbEUlT_E0_NS1_11comp_targetILNS1_3genE0ELNS1_11target_archE4294967295ELNS1_3gpuE0ELNS1_3repE0EEENS1_30default_config_static_selectorELNS0_4arch9wavefront6targetE1EEEvSP_.kd
    .uniform_work_group_size: 1
    .uses_dynamic_stack: false
    .vgpr_count:     0
    .vgpr_spill_count: 0
    .wavefront_size: 64
  - .agpr_count:     0
    .args:
      - .offset:         0
        .size:           88
        .value_kind:     by_value
    .group_segment_fixed_size: 0
    .kernarg_segment_align: 8
    .kernarg_segment_size: 88
    .language:       OpenCL C
    .language_version:
      - 2
      - 0
    .max_flat_workgroup_size: 256
    .name:           _ZN7rocprim17ROCPRIM_400000_NS6detail17trampoline_kernelINS0_14default_configENS1_21merge_config_selectorIxNS0_10empty_typeEEEZNS1_10merge_implIS3_N6thrust23THRUST_200600_302600_NS6detail15normal_iteratorINS9_10device_ptrIKxEEEESF_NSB_INSC_IxEEEEPS5_SI_SI_NS9_7greaterIxEEEE10hipError_tPvRmT0_T1_T2_T3_T4_T5_mmT6_P12ihipStream_tbEUlT_E0_NS1_11comp_targetILNS1_3genE5ELNS1_11target_archE942ELNS1_3gpuE9ELNS1_3repE0EEENS1_30default_config_static_selectorELNS0_4arch9wavefront6targetE1EEEvSP_
    .private_segment_fixed_size: 0
    .sgpr_count:     4
    .sgpr_spill_count: 0
    .symbol:         _ZN7rocprim17ROCPRIM_400000_NS6detail17trampoline_kernelINS0_14default_configENS1_21merge_config_selectorIxNS0_10empty_typeEEEZNS1_10merge_implIS3_N6thrust23THRUST_200600_302600_NS6detail15normal_iteratorINS9_10device_ptrIKxEEEESF_NSB_INSC_IxEEEEPS5_SI_SI_NS9_7greaterIxEEEE10hipError_tPvRmT0_T1_T2_T3_T4_T5_mmT6_P12ihipStream_tbEUlT_E0_NS1_11comp_targetILNS1_3genE5ELNS1_11target_archE942ELNS1_3gpuE9ELNS1_3repE0EEENS1_30default_config_static_selectorELNS0_4arch9wavefront6targetE1EEEvSP_.kd
    .uniform_work_group_size: 1
    .uses_dynamic_stack: false
    .vgpr_count:     0
    .vgpr_spill_count: 0
    .wavefront_size: 64
  - .agpr_count:     0
    .args:
      - .offset:         0
        .size:           88
        .value_kind:     by_value
    .group_segment_fixed_size: 8448
    .kernarg_segment_align: 8
    .kernarg_segment_size: 88
    .language:       OpenCL C
    .language_version:
      - 2
      - 0
    .max_flat_workgroup_size: 256
    .name:           _ZN7rocprim17ROCPRIM_400000_NS6detail17trampoline_kernelINS0_14default_configENS1_21merge_config_selectorIxNS0_10empty_typeEEEZNS1_10merge_implIS3_N6thrust23THRUST_200600_302600_NS6detail15normal_iteratorINS9_10device_ptrIKxEEEESF_NSB_INSC_IxEEEEPS5_SI_SI_NS9_7greaterIxEEEE10hipError_tPvRmT0_T1_T2_T3_T4_T5_mmT6_P12ihipStream_tbEUlT_E0_NS1_11comp_targetILNS1_3genE4ELNS1_11target_archE910ELNS1_3gpuE8ELNS1_3repE0EEENS1_30default_config_static_selectorELNS0_4arch9wavefront6targetE1EEEvSP_
    .private_segment_fixed_size: 0
    .sgpr_count:     22
    .sgpr_spill_count: 0
    .symbol:         _ZN7rocprim17ROCPRIM_400000_NS6detail17trampoline_kernelINS0_14default_configENS1_21merge_config_selectorIxNS0_10empty_typeEEEZNS1_10merge_implIS3_N6thrust23THRUST_200600_302600_NS6detail15normal_iteratorINS9_10device_ptrIKxEEEESF_NSB_INSC_IxEEEEPS5_SI_SI_NS9_7greaterIxEEEE10hipError_tPvRmT0_T1_T2_T3_T4_T5_mmT6_P12ihipStream_tbEUlT_E0_NS1_11comp_targetILNS1_3genE4ELNS1_11target_archE910ELNS1_3gpuE8ELNS1_3repE0EEENS1_30default_config_static_selectorELNS0_4arch9wavefront6targetE1EEEvSP_.kd
    .uniform_work_group_size: 1
    .uses_dynamic_stack: false
    .vgpr_count:     23
    .vgpr_spill_count: 0
    .wavefront_size: 64
  - .agpr_count:     0
    .args:
      - .offset:         0
        .size:           88
        .value_kind:     by_value
    .group_segment_fixed_size: 0
    .kernarg_segment_align: 8
    .kernarg_segment_size: 88
    .language:       OpenCL C
    .language_version:
      - 2
      - 0
    .max_flat_workgroup_size: 256
    .name:           _ZN7rocprim17ROCPRIM_400000_NS6detail17trampoline_kernelINS0_14default_configENS1_21merge_config_selectorIxNS0_10empty_typeEEEZNS1_10merge_implIS3_N6thrust23THRUST_200600_302600_NS6detail15normal_iteratorINS9_10device_ptrIKxEEEESF_NSB_INSC_IxEEEEPS5_SI_SI_NS9_7greaterIxEEEE10hipError_tPvRmT0_T1_T2_T3_T4_T5_mmT6_P12ihipStream_tbEUlT_E0_NS1_11comp_targetILNS1_3genE3ELNS1_11target_archE908ELNS1_3gpuE7ELNS1_3repE0EEENS1_30default_config_static_selectorELNS0_4arch9wavefront6targetE1EEEvSP_
    .private_segment_fixed_size: 0
    .sgpr_count:     4
    .sgpr_spill_count: 0
    .symbol:         _ZN7rocprim17ROCPRIM_400000_NS6detail17trampoline_kernelINS0_14default_configENS1_21merge_config_selectorIxNS0_10empty_typeEEEZNS1_10merge_implIS3_N6thrust23THRUST_200600_302600_NS6detail15normal_iteratorINS9_10device_ptrIKxEEEESF_NSB_INSC_IxEEEEPS5_SI_SI_NS9_7greaterIxEEEE10hipError_tPvRmT0_T1_T2_T3_T4_T5_mmT6_P12ihipStream_tbEUlT_E0_NS1_11comp_targetILNS1_3genE3ELNS1_11target_archE908ELNS1_3gpuE7ELNS1_3repE0EEENS1_30default_config_static_selectorELNS0_4arch9wavefront6targetE1EEEvSP_.kd
    .uniform_work_group_size: 1
    .uses_dynamic_stack: false
    .vgpr_count:     0
    .vgpr_spill_count: 0
    .wavefront_size: 64
  - .agpr_count:     0
    .args:
      - .offset:         0
        .size:           88
        .value_kind:     by_value
    .group_segment_fixed_size: 0
    .kernarg_segment_align: 8
    .kernarg_segment_size: 88
    .language:       OpenCL C
    .language_version:
      - 2
      - 0
    .max_flat_workgroup_size: 256
    .name:           _ZN7rocprim17ROCPRIM_400000_NS6detail17trampoline_kernelINS0_14default_configENS1_21merge_config_selectorIxNS0_10empty_typeEEEZNS1_10merge_implIS3_N6thrust23THRUST_200600_302600_NS6detail15normal_iteratorINS9_10device_ptrIKxEEEESF_NSB_INSC_IxEEEEPS5_SI_SI_NS9_7greaterIxEEEE10hipError_tPvRmT0_T1_T2_T3_T4_T5_mmT6_P12ihipStream_tbEUlT_E0_NS1_11comp_targetILNS1_3genE2ELNS1_11target_archE906ELNS1_3gpuE6ELNS1_3repE0EEENS1_30default_config_static_selectorELNS0_4arch9wavefront6targetE1EEEvSP_
    .private_segment_fixed_size: 0
    .sgpr_count:     4
    .sgpr_spill_count: 0
    .symbol:         _ZN7rocprim17ROCPRIM_400000_NS6detail17trampoline_kernelINS0_14default_configENS1_21merge_config_selectorIxNS0_10empty_typeEEEZNS1_10merge_implIS3_N6thrust23THRUST_200600_302600_NS6detail15normal_iteratorINS9_10device_ptrIKxEEEESF_NSB_INSC_IxEEEEPS5_SI_SI_NS9_7greaterIxEEEE10hipError_tPvRmT0_T1_T2_T3_T4_T5_mmT6_P12ihipStream_tbEUlT_E0_NS1_11comp_targetILNS1_3genE2ELNS1_11target_archE906ELNS1_3gpuE6ELNS1_3repE0EEENS1_30default_config_static_selectorELNS0_4arch9wavefront6targetE1EEEvSP_.kd
    .uniform_work_group_size: 1
    .uses_dynamic_stack: false
    .vgpr_count:     0
    .vgpr_spill_count: 0
    .wavefront_size: 64
  - .agpr_count:     0
    .args:
      - .offset:         0
        .size:           88
        .value_kind:     by_value
    .group_segment_fixed_size: 0
    .kernarg_segment_align: 8
    .kernarg_segment_size: 88
    .language:       OpenCL C
    .language_version:
      - 2
      - 0
    .max_flat_workgroup_size: 512
    .name:           _ZN7rocprim17ROCPRIM_400000_NS6detail17trampoline_kernelINS0_14default_configENS1_21merge_config_selectorIxNS0_10empty_typeEEEZNS1_10merge_implIS3_N6thrust23THRUST_200600_302600_NS6detail15normal_iteratorINS9_10device_ptrIKxEEEESF_NSB_INSC_IxEEEEPS5_SI_SI_NS9_7greaterIxEEEE10hipError_tPvRmT0_T1_T2_T3_T4_T5_mmT6_P12ihipStream_tbEUlT_E0_NS1_11comp_targetILNS1_3genE10ELNS1_11target_archE1201ELNS1_3gpuE5ELNS1_3repE0EEENS1_30default_config_static_selectorELNS0_4arch9wavefront6targetE1EEEvSP_
    .private_segment_fixed_size: 0
    .sgpr_count:     4
    .sgpr_spill_count: 0
    .symbol:         _ZN7rocprim17ROCPRIM_400000_NS6detail17trampoline_kernelINS0_14default_configENS1_21merge_config_selectorIxNS0_10empty_typeEEEZNS1_10merge_implIS3_N6thrust23THRUST_200600_302600_NS6detail15normal_iteratorINS9_10device_ptrIKxEEEESF_NSB_INSC_IxEEEEPS5_SI_SI_NS9_7greaterIxEEEE10hipError_tPvRmT0_T1_T2_T3_T4_T5_mmT6_P12ihipStream_tbEUlT_E0_NS1_11comp_targetILNS1_3genE10ELNS1_11target_archE1201ELNS1_3gpuE5ELNS1_3repE0EEENS1_30default_config_static_selectorELNS0_4arch9wavefront6targetE1EEEvSP_.kd
    .uniform_work_group_size: 1
    .uses_dynamic_stack: false
    .vgpr_count:     0
    .vgpr_spill_count: 0
    .wavefront_size: 64
  - .agpr_count:     0
    .args:
      - .offset:         0
        .size:           88
        .value_kind:     by_value
    .group_segment_fixed_size: 0
    .kernarg_segment_align: 8
    .kernarg_segment_size: 88
    .language:       OpenCL C
    .language_version:
      - 2
      - 0
    .max_flat_workgroup_size: 1024
    .name:           _ZN7rocprim17ROCPRIM_400000_NS6detail17trampoline_kernelINS0_14default_configENS1_21merge_config_selectorIxNS0_10empty_typeEEEZNS1_10merge_implIS3_N6thrust23THRUST_200600_302600_NS6detail15normal_iteratorINS9_10device_ptrIKxEEEESF_NSB_INSC_IxEEEEPS5_SI_SI_NS9_7greaterIxEEEE10hipError_tPvRmT0_T1_T2_T3_T4_T5_mmT6_P12ihipStream_tbEUlT_E0_NS1_11comp_targetILNS1_3genE10ELNS1_11target_archE1200ELNS1_3gpuE4ELNS1_3repE0EEENS1_30default_config_static_selectorELNS0_4arch9wavefront6targetE1EEEvSP_
    .private_segment_fixed_size: 0
    .sgpr_count:     4
    .sgpr_spill_count: 0
    .symbol:         _ZN7rocprim17ROCPRIM_400000_NS6detail17trampoline_kernelINS0_14default_configENS1_21merge_config_selectorIxNS0_10empty_typeEEEZNS1_10merge_implIS3_N6thrust23THRUST_200600_302600_NS6detail15normal_iteratorINS9_10device_ptrIKxEEEESF_NSB_INSC_IxEEEEPS5_SI_SI_NS9_7greaterIxEEEE10hipError_tPvRmT0_T1_T2_T3_T4_T5_mmT6_P12ihipStream_tbEUlT_E0_NS1_11comp_targetILNS1_3genE10ELNS1_11target_archE1200ELNS1_3gpuE4ELNS1_3repE0EEENS1_30default_config_static_selectorELNS0_4arch9wavefront6targetE1EEEvSP_.kd
    .uniform_work_group_size: 1
    .uses_dynamic_stack: false
    .vgpr_count:     0
    .vgpr_spill_count: 0
    .wavefront_size: 64
  - .agpr_count:     0
    .args:
      - .offset:         0
        .size:           88
        .value_kind:     by_value
    .group_segment_fixed_size: 0
    .kernarg_segment_align: 8
    .kernarg_segment_size: 88
    .language:       OpenCL C
    .language_version:
      - 2
      - 0
    .max_flat_workgroup_size: 1024
    .name:           _ZN7rocprim17ROCPRIM_400000_NS6detail17trampoline_kernelINS0_14default_configENS1_21merge_config_selectorIxNS0_10empty_typeEEEZNS1_10merge_implIS3_N6thrust23THRUST_200600_302600_NS6detail15normal_iteratorINS9_10device_ptrIKxEEEESF_NSB_INSC_IxEEEEPS5_SI_SI_NS9_7greaterIxEEEE10hipError_tPvRmT0_T1_T2_T3_T4_T5_mmT6_P12ihipStream_tbEUlT_E0_NS1_11comp_targetILNS1_3genE9ELNS1_11target_archE1100ELNS1_3gpuE3ELNS1_3repE0EEENS1_30default_config_static_selectorELNS0_4arch9wavefront6targetE1EEEvSP_
    .private_segment_fixed_size: 0
    .sgpr_count:     4
    .sgpr_spill_count: 0
    .symbol:         _ZN7rocprim17ROCPRIM_400000_NS6detail17trampoline_kernelINS0_14default_configENS1_21merge_config_selectorIxNS0_10empty_typeEEEZNS1_10merge_implIS3_N6thrust23THRUST_200600_302600_NS6detail15normal_iteratorINS9_10device_ptrIKxEEEESF_NSB_INSC_IxEEEEPS5_SI_SI_NS9_7greaterIxEEEE10hipError_tPvRmT0_T1_T2_T3_T4_T5_mmT6_P12ihipStream_tbEUlT_E0_NS1_11comp_targetILNS1_3genE9ELNS1_11target_archE1100ELNS1_3gpuE3ELNS1_3repE0EEENS1_30default_config_static_selectorELNS0_4arch9wavefront6targetE1EEEvSP_.kd
    .uniform_work_group_size: 1
    .uses_dynamic_stack: false
    .vgpr_count:     0
    .vgpr_spill_count: 0
    .wavefront_size: 64
  - .agpr_count:     0
    .args:
      - .offset:         0
        .size:           88
        .value_kind:     by_value
    .group_segment_fixed_size: 0
    .kernarg_segment_align: 8
    .kernarg_segment_size: 88
    .language:       OpenCL C
    .language_version:
      - 2
      - 0
    .max_flat_workgroup_size: 256
    .name:           _ZN7rocprim17ROCPRIM_400000_NS6detail17trampoline_kernelINS0_14default_configENS1_21merge_config_selectorIxNS0_10empty_typeEEEZNS1_10merge_implIS3_N6thrust23THRUST_200600_302600_NS6detail15normal_iteratorINS9_10device_ptrIKxEEEESF_NSB_INSC_IxEEEEPS5_SI_SI_NS9_7greaterIxEEEE10hipError_tPvRmT0_T1_T2_T3_T4_T5_mmT6_P12ihipStream_tbEUlT_E0_NS1_11comp_targetILNS1_3genE8ELNS1_11target_archE1030ELNS1_3gpuE2ELNS1_3repE0EEENS1_30default_config_static_selectorELNS0_4arch9wavefront6targetE1EEEvSP_
    .private_segment_fixed_size: 0
    .sgpr_count:     4
    .sgpr_spill_count: 0
    .symbol:         _ZN7rocprim17ROCPRIM_400000_NS6detail17trampoline_kernelINS0_14default_configENS1_21merge_config_selectorIxNS0_10empty_typeEEEZNS1_10merge_implIS3_N6thrust23THRUST_200600_302600_NS6detail15normal_iteratorINS9_10device_ptrIKxEEEESF_NSB_INSC_IxEEEEPS5_SI_SI_NS9_7greaterIxEEEE10hipError_tPvRmT0_T1_T2_T3_T4_T5_mmT6_P12ihipStream_tbEUlT_E0_NS1_11comp_targetILNS1_3genE8ELNS1_11target_archE1030ELNS1_3gpuE2ELNS1_3repE0EEENS1_30default_config_static_selectorELNS0_4arch9wavefront6targetE1EEEvSP_.kd
    .uniform_work_group_size: 1
    .uses_dynamic_stack: false
    .vgpr_count:     0
    .vgpr_spill_count: 0
    .wavefront_size: 64
  - .agpr_count:     0
    .args:
      - .offset:         0
        .size:           48
        .value_kind:     by_value
    .group_segment_fixed_size: 0
    .kernarg_segment_align: 8
    .kernarg_segment_size: 48
    .language:       OpenCL C
    .language_version:
      - 2
      - 0
    .max_flat_workgroup_size: 256
    .name:           _ZN7rocprim17ROCPRIM_400000_NS6detail17trampoline_kernelINS0_14default_configENS1_21merge_config_selectorIiNS0_10empty_typeEEEZNS1_10merge_implIS3_N6thrust23THRUST_200600_302600_NS6detail15normal_iteratorINS9_10device_ptrIKiEEEESF_NSB_INSC_IiEEEEPS5_SI_SI_NS9_7greaterIiEEEE10hipError_tPvRmT0_T1_T2_T3_T4_T5_mmT6_P12ihipStream_tbEUlT_E_NS1_11comp_targetILNS1_3genE0ELNS1_11target_archE4294967295ELNS1_3gpuE0ELNS1_3repE0EEENS1_30default_config_static_selectorELNS0_4arch9wavefront6targetE1EEEvSP_
    .private_segment_fixed_size: 0
    .sgpr_count:     4
    .sgpr_spill_count: 0
    .symbol:         _ZN7rocprim17ROCPRIM_400000_NS6detail17trampoline_kernelINS0_14default_configENS1_21merge_config_selectorIiNS0_10empty_typeEEEZNS1_10merge_implIS3_N6thrust23THRUST_200600_302600_NS6detail15normal_iteratorINS9_10device_ptrIKiEEEESF_NSB_INSC_IiEEEEPS5_SI_SI_NS9_7greaterIiEEEE10hipError_tPvRmT0_T1_T2_T3_T4_T5_mmT6_P12ihipStream_tbEUlT_E_NS1_11comp_targetILNS1_3genE0ELNS1_11target_archE4294967295ELNS1_3gpuE0ELNS1_3repE0EEENS1_30default_config_static_selectorELNS0_4arch9wavefront6targetE1EEEvSP_.kd
    .uniform_work_group_size: 1
    .uses_dynamic_stack: false
    .vgpr_count:     0
    .vgpr_spill_count: 0
    .wavefront_size: 64
  - .agpr_count:     0
    .args:
      - .offset:         0
        .size:           48
        .value_kind:     by_value
    .group_segment_fixed_size: 0
    .kernarg_segment_align: 8
    .kernarg_segment_size: 48
    .language:       OpenCL C
    .language_version:
      - 2
      - 0
    .max_flat_workgroup_size: 256
    .name:           _ZN7rocprim17ROCPRIM_400000_NS6detail17trampoline_kernelINS0_14default_configENS1_21merge_config_selectorIiNS0_10empty_typeEEEZNS1_10merge_implIS3_N6thrust23THRUST_200600_302600_NS6detail15normal_iteratorINS9_10device_ptrIKiEEEESF_NSB_INSC_IiEEEEPS5_SI_SI_NS9_7greaterIiEEEE10hipError_tPvRmT0_T1_T2_T3_T4_T5_mmT6_P12ihipStream_tbEUlT_E_NS1_11comp_targetILNS1_3genE5ELNS1_11target_archE942ELNS1_3gpuE9ELNS1_3repE0EEENS1_30default_config_static_selectorELNS0_4arch9wavefront6targetE1EEEvSP_
    .private_segment_fixed_size: 0
    .sgpr_count:     4
    .sgpr_spill_count: 0
    .symbol:         _ZN7rocprim17ROCPRIM_400000_NS6detail17trampoline_kernelINS0_14default_configENS1_21merge_config_selectorIiNS0_10empty_typeEEEZNS1_10merge_implIS3_N6thrust23THRUST_200600_302600_NS6detail15normal_iteratorINS9_10device_ptrIKiEEEESF_NSB_INSC_IiEEEEPS5_SI_SI_NS9_7greaterIiEEEE10hipError_tPvRmT0_T1_T2_T3_T4_T5_mmT6_P12ihipStream_tbEUlT_E_NS1_11comp_targetILNS1_3genE5ELNS1_11target_archE942ELNS1_3gpuE9ELNS1_3repE0EEENS1_30default_config_static_selectorELNS0_4arch9wavefront6targetE1EEEvSP_.kd
    .uniform_work_group_size: 1
    .uses_dynamic_stack: false
    .vgpr_count:     0
    .vgpr_spill_count: 0
    .wavefront_size: 64
  - .agpr_count:     0
    .args:
      - .offset:         0
        .size:           48
        .value_kind:     by_value
      - .offset:         48
        .size:           4
        .value_kind:     hidden_block_count_x
      - .offset:         52
        .size:           4
        .value_kind:     hidden_block_count_y
      - .offset:         56
        .size:           4
        .value_kind:     hidden_block_count_z
      - .offset:         60
        .size:           2
        .value_kind:     hidden_group_size_x
      - .offset:         62
        .size:           2
        .value_kind:     hidden_group_size_y
      - .offset:         64
        .size:           2
        .value_kind:     hidden_group_size_z
      - .offset:         66
        .size:           2
        .value_kind:     hidden_remainder_x
      - .offset:         68
        .size:           2
        .value_kind:     hidden_remainder_y
      - .offset:         70
        .size:           2
        .value_kind:     hidden_remainder_z
      - .offset:         88
        .size:           8
        .value_kind:     hidden_global_offset_x
      - .offset:         96
        .size:           8
        .value_kind:     hidden_global_offset_y
      - .offset:         104
        .size:           8
        .value_kind:     hidden_global_offset_z
      - .offset:         112
        .size:           2
        .value_kind:     hidden_grid_dims
    .group_segment_fixed_size: 0
    .kernarg_segment_align: 8
    .kernarg_segment_size: 304
    .language:       OpenCL C
    .language_version:
      - 2
      - 0
    .max_flat_workgroup_size: 256
    .name:           _ZN7rocprim17ROCPRIM_400000_NS6detail17trampoline_kernelINS0_14default_configENS1_21merge_config_selectorIiNS0_10empty_typeEEEZNS1_10merge_implIS3_N6thrust23THRUST_200600_302600_NS6detail15normal_iteratorINS9_10device_ptrIKiEEEESF_NSB_INSC_IiEEEEPS5_SI_SI_NS9_7greaterIiEEEE10hipError_tPvRmT0_T1_T2_T3_T4_T5_mmT6_P12ihipStream_tbEUlT_E_NS1_11comp_targetILNS1_3genE4ELNS1_11target_archE910ELNS1_3gpuE8ELNS1_3repE0EEENS1_30default_config_static_selectorELNS0_4arch9wavefront6targetE1EEEvSP_
    .private_segment_fixed_size: 0
    .sgpr_count:     18
    .sgpr_spill_count: 0
    .symbol:         _ZN7rocprim17ROCPRIM_400000_NS6detail17trampoline_kernelINS0_14default_configENS1_21merge_config_selectorIiNS0_10empty_typeEEEZNS1_10merge_implIS3_N6thrust23THRUST_200600_302600_NS6detail15normal_iteratorINS9_10device_ptrIKiEEEESF_NSB_INSC_IiEEEEPS5_SI_SI_NS9_7greaterIiEEEE10hipError_tPvRmT0_T1_T2_T3_T4_T5_mmT6_P12ihipStream_tbEUlT_E_NS1_11comp_targetILNS1_3genE4ELNS1_11target_archE910ELNS1_3gpuE8ELNS1_3repE0EEENS1_30default_config_static_selectorELNS0_4arch9wavefront6targetE1EEEvSP_.kd
    .uniform_work_group_size: 1
    .uses_dynamic_stack: false
    .vgpr_count:     14
    .vgpr_spill_count: 0
    .wavefront_size: 64
  - .agpr_count:     0
    .args:
      - .offset:         0
        .size:           48
        .value_kind:     by_value
    .group_segment_fixed_size: 0
    .kernarg_segment_align: 8
    .kernarg_segment_size: 48
    .language:       OpenCL C
    .language_version:
      - 2
      - 0
    .max_flat_workgroup_size: 256
    .name:           _ZN7rocprim17ROCPRIM_400000_NS6detail17trampoline_kernelINS0_14default_configENS1_21merge_config_selectorIiNS0_10empty_typeEEEZNS1_10merge_implIS3_N6thrust23THRUST_200600_302600_NS6detail15normal_iteratorINS9_10device_ptrIKiEEEESF_NSB_INSC_IiEEEEPS5_SI_SI_NS9_7greaterIiEEEE10hipError_tPvRmT0_T1_T2_T3_T4_T5_mmT6_P12ihipStream_tbEUlT_E_NS1_11comp_targetILNS1_3genE3ELNS1_11target_archE908ELNS1_3gpuE7ELNS1_3repE0EEENS1_30default_config_static_selectorELNS0_4arch9wavefront6targetE1EEEvSP_
    .private_segment_fixed_size: 0
    .sgpr_count:     4
    .sgpr_spill_count: 0
    .symbol:         _ZN7rocprim17ROCPRIM_400000_NS6detail17trampoline_kernelINS0_14default_configENS1_21merge_config_selectorIiNS0_10empty_typeEEEZNS1_10merge_implIS3_N6thrust23THRUST_200600_302600_NS6detail15normal_iteratorINS9_10device_ptrIKiEEEESF_NSB_INSC_IiEEEEPS5_SI_SI_NS9_7greaterIiEEEE10hipError_tPvRmT0_T1_T2_T3_T4_T5_mmT6_P12ihipStream_tbEUlT_E_NS1_11comp_targetILNS1_3genE3ELNS1_11target_archE908ELNS1_3gpuE7ELNS1_3repE0EEENS1_30default_config_static_selectorELNS0_4arch9wavefront6targetE1EEEvSP_.kd
    .uniform_work_group_size: 1
    .uses_dynamic_stack: false
    .vgpr_count:     0
    .vgpr_spill_count: 0
    .wavefront_size: 64
  - .agpr_count:     0
    .args:
      - .offset:         0
        .size:           48
        .value_kind:     by_value
    .group_segment_fixed_size: 0
    .kernarg_segment_align: 8
    .kernarg_segment_size: 48
    .language:       OpenCL C
    .language_version:
      - 2
      - 0
    .max_flat_workgroup_size: 256
    .name:           _ZN7rocprim17ROCPRIM_400000_NS6detail17trampoline_kernelINS0_14default_configENS1_21merge_config_selectorIiNS0_10empty_typeEEEZNS1_10merge_implIS3_N6thrust23THRUST_200600_302600_NS6detail15normal_iteratorINS9_10device_ptrIKiEEEESF_NSB_INSC_IiEEEEPS5_SI_SI_NS9_7greaterIiEEEE10hipError_tPvRmT0_T1_T2_T3_T4_T5_mmT6_P12ihipStream_tbEUlT_E_NS1_11comp_targetILNS1_3genE2ELNS1_11target_archE906ELNS1_3gpuE6ELNS1_3repE0EEENS1_30default_config_static_selectorELNS0_4arch9wavefront6targetE1EEEvSP_
    .private_segment_fixed_size: 0
    .sgpr_count:     4
    .sgpr_spill_count: 0
    .symbol:         _ZN7rocprim17ROCPRIM_400000_NS6detail17trampoline_kernelINS0_14default_configENS1_21merge_config_selectorIiNS0_10empty_typeEEEZNS1_10merge_implIS3_N6thrust23THRUST_200600_302600_NS6detail15normal_iteratorINS9_10device_ptrIKiEEEESF_NSB_INSC_IiEEEEPS5_SI_SI_NS9_7greaterIiEEEE10hipError_tPvRmT0_T1_T2_T3_T4_T5_mmT6_P12ihipStream_tbEUlT_E_NS1_11comp_targetILNS1_3genE2ELNS1_11target_archE906ELNS1_3gpuE6ELNS1_3repE0EEENS1_30default_config_static_selectorELNS0_4arch9wavefront6targetE1EEEvSP_.kd
    .uniform_work_group_size: 1
    .uses_dynamic_stack: false
    .vgpr_count:     0
    .vgpr_spill_count: 0
    .wavefront_size: 64
  - .agpr_count:     0
    .args:
      - .offset:         0
        .size:           48
        .value_kind:     by_value
    .group_segment_fixed_size: 0
    .kernarg_segment_align: 8
    .kernarg_segment_size: 48
    .language:       OpenCL C
    .language_version:
      - 2
      - 0
    .max_flat_workgroup_size: 1024
    .name:           _ZN7rocprim17ROCPRIM_400000_NS6detail17trampoline_kernelINS0_14default_configENS1_21merge_config_selectorIiNS0_10empty_typeEEEZNS1_10merge_implIS3_N6thrust23THRUST_200600_302600_NS6detail15normal_iteratorINS9_10device_ptrIKiEEEESF_NSB_INSC_IiEEEEPS5_SI_SI_NS9_7greaterIiEEEE10hipError_tPvRmT0_T1_T2_T3_T4_T5_mmT6_P12ihipStream_tbEUlT_E_NS1_11comp_targetILNS1_3genE10ELNS1_11target_archE1201ELNS1_3gpuE5ELNS1_3repE0EEENS1_30default_config_static_selectorELNS0_4arch9wavefront6targetE1EEEvSP_
    .private_segment_fixed_size: 0
    .sgpr_count:     4
    .sgpr_spill_count: 0
    .symbol:         _ZN7rocprim17ROCPRIM_400000_NS6detail17trampoline_kernelINS0_14default_configENS1_21merge_config_selectorIiNS0_10empty_typeEEEZNS1_10merge_implIS3_N6thrust23THRUST_200600_302600_NS6detail15normal_iteratorINS9_10device_ptrIKiEEEESF_NSB_INSC_IiEEEEPS5_SI_SI_NS9_7greaterIiEEEE10hipError_tPvRmT0_T1_T2_T3_T4_T5_mmT6_P12ihipStream_tbEUlT_E_NS1_11comp_targetILNS1_3genE10ELNS1_11target_archE1201ELNS1_3gpuE5ELNS1_3repE0EEENS1_30default_config_static_selectorELNS0_4arch9wavefront6targetE1EEEvSP_.kd
    .uniform_work_group_size: 1
    .uses_dynamic_stack: false
    .vgpr_count:     0
    .vgpr_spill_count: 0
    .wavefront_size: 64
  - .agpr_count:     0
    .args:
      - .offset:         0
        .size:           48
        .value_kind:     by_value
    .group_segment_fixed_size: 0
    .kernarg_segment_align: 8
    .kernarg_segment_size: 48
    .language:       OpenCL C
    .language_version:
      - 2
      - 0
    .max_flat_workgroup_size: 1024
    .name:           _ZN7rocprim17ROCPRIM_400000_NS6detail17trampoline_kernelINS0_14default_configENS1_21merge_config_selectorIiNS0_10empty_typeEEEZNS1_10merge_implIS3_N6thrust23THRUST_200600_302600_NS6detail15normal_iteratorINS9_10device_ptrIKiEEEESF_NSB_INSC_IiEEEEPS5_SI_SI_NS9_7greaterIiEEEE10hipError_tPvRmT0_T1_T2_T3_T4_T5_mmT6_P12ihipStream_tbEUlT_E_NS1_11comp_targetILNS1_3genE10ELNS1_11target_archE1200ELNS1_3gpuE4ELNS1_3repE0EEENS1_30default_config_static_selectorELNS0_4arch9wavefront6targetE1EEEvSP_
    .private_segment_fixed_size: 0
    .sgpr_count:     4
    .sgpr_spill_count: 0
    .symbol:         _ZN7rocprim17ROCPRIM_400000_NS6detail17trampoline_kernelINS0_14default_configENS1_21merge_config_selectorIiNS0_10empty_typeEEEZNS1_10merge_implIS3_N6thrust23THRUST_200600_302600_NS6detail15normal_iteratorINS9_10device_ptrIKiEEEESF_NSB_INSC_IiEEEEPS5_SI_SI_NS9_7greaterIiEEEE10hipError_tPvRmT0_T1_T2_T3_T4_T5_mmT6_P12ihipStream_tbEUlT_E_NS1_11comp_targetILNS1_3genE10ELNS1_11target_archE1200ELNS1_3gpuE4ELNS1_3repE0EEENS1_30default_config_static_selectorELNS0_4arch9wavefront6targetE1EEEvSP_.kd
    .uniform_work_group_size: 1
    .uses_dynamic_stack: false
    .vgpr_count:     0
    .vgpr_spill_count: 0
    .wavefront_size: 64
  - .agpr_count:     0
    .args:
      - .offset:         0
        .size:           48
        .value_kind:     by_value
    .group_segment_fixed_size: 0
    .kernarg_segment_align: 8
    .kernarg_segment_size: 48
    .language:       OpenCL C
    .language_version:
      - 2
      - 0
    .max_flat_workgroup_size: 1024
    .name:           _ZN7rocprim17ROCPRIM_400000_NS6detail17trampoline_kernelINS0_14default_configENS1_21merge_config_selectorIiNS0_10empty_typeEEEZNS1_10merge_implIS3_N6thrust23THRUST_200600_302600_NS6detail15normal_iteratorINS9_10device_ptrIKiEEEESF_NSB_INSC_IiEEEEPS5_SI_SI_NS9_7greaterIiEEEE10hipError_tPvRmT0_T1_T2_T3_T4_T5_mmT6_P12ihipStream_tbEUlT_E_NS1_11comp_targetILNS1_3genE9ELNS1_11target_archE1100ELNS1_3gpuE3ELNS1_3repE0EEENS1_30default_config_static_selectorELNS0_4arch9wavefront6targetE1EEEvSP_
    .private_segment_fixed_size: 0
    .sgpr_count:     4
    .sgpr_spill_count: 0
    .symbol:         _ZN7rocprim17ROCPRIM_400000_NS6detail17trampoline_kernelINS0_14default_configENS1_21merge_config_selectorIiNS0_10empty_typeEEEZNS1_10merge_implIS3_N6thrust23THRUST_200600_302600_NS6detail15normal_iteratorINS9_10device_ptrIKiEEEESF_NSB_INSC_IiEEEEPS5_SI_SI_NS9_7greaterIiEEEE10hipError_tPvRmT0_T1_T2_T3_T4_T5_mmT6_P12ihipStream_tbEUlT_E_NS1_11comp_targetILNS1_3genE9ELNS1_11target_archE1100ELNS1_3gpuE3ELNS1_3repE0EEENS1_30default_config_static_selectorELNS0_4arch9wavefront6targetE1EEEvSP_.kd
    .uniform_work_group_size: 1
    .uses_dynamic_stack: false
    .vgpr_count:     0
    .vgpr_spill_count: 0
    .wavefront_size: 64
  - .agpr_count:     0
    .args:
      - .offset:         0
        .size:           48
        .value_kind:     by_value
    .group_segment_fixed_size: 0
    .kernarg_segment_align: 8
    .kernarg_segment_size: 48
    .language:       OpenCL C
    .language_version:
      - 2
      - 0
    .max_flat_workgroup_size: 1024
    .name:           _ZN7rocprim17ROCPRIM_400000_NS6detail17trampoline_kernelINS0_14default_configENS1_21merge_config_selectorIiNS0_10empty_typeEEEZNS1_10merge_implIS3_N6thrust23THRUST_200600_302600_NS6detail15normal_iteratorINS9_10device_ptrIKiEEEESF_NSB_INSC_IiEEEEPS5_SI_SI_NS9_7greaterIiEEEE10hipError_tPvRmT0_T1_T2_T3_T4_T5_mmT6_P12ihipStream_tbEUlT_E_NS1_11comp_targetILNS1_3genE8ELNS1_11target_archE1030ELNS1_3gpuE2ELNS1_3repE0EEENS1_30default_config_static_selectorELNS0_4arch9wavefront6targetE1EEEvSP_
    .private_segment_fixed_size: 0
    .sgpr_count:     4
    .sgpr_spill_count: 0
    .symbol:         _ZN7rocprim17ROCPRIM_400000_NS6detail17trampoline_kernelINS0_14default_configENS1_21merge_config_selectorIiNS0_10empty_typeEEEZNS1_10merge_implIS3_N6thrust23THRUST_200600_302600_NS6detail15normal_iteratorINS9_10device_ptrIKiEEEESF_NSB_INSC_IiEEEEPS5_SI_SI_NS9_7greaterIiEEEE10hipError_tPvRmT0_T1_T2_T3_T4_T5_mmT6_P12ihipStream_tbEUlT_E_NS1_11comp_targetILNS1_3genE8ELNS1_11target_archE1030ELNS1_3gpuE2ELNS1_3repE0EEENS1_30default_config_static_selectorELNS0_4arch9wavefront6targetE1EEEvSP_.kd
    .uniform_work_group_size: 1
    .uses_dynamic_stack: false
    .vgpr_count:     0
    .vgpr_spill_count: 0
    .wavefront_size: 64
  - .agpr_count:     0
    .args:
      - .offset:         0
        .size:           88
        .value_kind:     by_value
    .group_segment_fixed_size: 0
    .kernarg_segment_align: 8
    .kernarg_segment_size: 88
    .language:       OpenCL C
    .language_version:
      - 2
      - 0
    .max_flat_workgroup_size: 256
    .name:           _ZN7rocprim17ROCPRIM_400000_NS6detail17trampoline_kernelINS0_14default_configENS1_21merge_config_selectorIiNS0_10empty_typeEEEZNS1_10merge_implIS3_N6thrust23THRUST_200600_302600_NS6detail15normal_iteratorINS9_10device_ptrIKiEEEESF_NSB_INSC_IiEEEEPS5_SI_SI_NS9_7greaterIiEEEE10hipError_tPvRmT0_T1_T2_T3_T4_T5_mmT6_P12ihipStream_tbEUlT_E0_NS1_11comp_targetILNS1_3genE0ELNS1_11target_archE4294967295ELNS1_3gpuE0ELNS1_3repE0EEENS1_30default_config_static_selectorELNS0_4arch9wavefront6targetE1EEEvSP_
    .private_segment_fixed_size: 0
    .sgpr_count:     4
    .sgpr_spill_count: 0
    .symbol:         _ZN7rocprim17ROCPRIM_400000_NS6detail17trampoline_kernelINS0_14default_configENS1_21merge_config_selectorIiNS0_10empty_typeEEEZNS1_10merge_implIS3_N6thrust23THRUST_200600_302600_NS6detail15normal_iteratorINS9_10device_ptrIKiEEEESF_NSB_INSC_IiEEEEPS5_SI_SI_NS9_7greaterIiEEEE10hipError_tPvRmT0_T1_T2_T3_T4_T5_mmT6_P12ihipStream_tbEUlT_E0_NS1_11comp_targetILNS1_3genE0ELNS1_11target_archE4294967295ELNS1_3gpuE0ELNS1_3repE0EEENS1_30default_config_static_selectorELNS0_4arch9wavefront6targetE1EEEvSP_.kd
    .uniform_work_group_size: 1
    .uses_dynamic_stack: false
    .vgpr_count:     0
    .vgpr_spill_count: 0
    .wavefront_size: 64
  - .agpr_count:     0
    .args:
      - .offset:         0
        .size:           88
        .value_kind:     by_value
    .group_segment_fixed_size: 0
    .kernarg_segment_align: 8
    .kernarg_segment_size: 88
    .language:       OpenCL C
    .language_version:
      - 2
      - 0
    .max_flat_workgroup_size: 256
    .name:           _ZN7rocprim17ROCPRIM_400000_NS6detail17trampoline_kernelINS0_14default_configENS1_21merge_config_selectorIiNS0_10empty_typeEEEZNS1_10merge_implIS3_N6thrust23THRUST_200600_302600_NS6detail15normal_iteratorINS9_10device_ptrIKiEEEESF_NSB_INSC_IiEEEEPS5_SI_SI_NS9_7greaterIiEEEE10hipError_tPvRmT0_T1_T2_T3_T4_T5_mmT6_P12ihipStream_tbEUlT_E0_NS1_11comp_targetILNS1_3genE5ELNS1_11target_archE942ELNS1_3gpuE9ELNS1_3repE0EEENS1_30default_config_static_selectorELNS0_4arch9wavefront6targetE1EEEvSP_
    .private_segment_fixed_size: 0
    .sgpr_count:     4
    .sgpr_spill_count: 0
    .symbol:         _ZN7rocprim17ROCPRIM_400000_NS6detail17trampoline_kernelINS0_14default_configENS1_21merge_config_selectorIiNS0_10empty_typeEEEZNS1_10merge_implIS3_N6thrust23THRUST_200600_302600_NS6detail15normal_iteratorINS9_10device_ptrIKiEEEESF_NSB_INSC_IiEEEEPS5_SI_SI_NS9_7greaterIiEEEE10hipError_tPvRmT0_T1_T2_T3_T4_T5_mmT6_P12ihipStream_tbEUlT_E0_NS1_11comp_targetILNS1_3genE5ELNS1_11target_archE942ELNS1_3gpuE9ELNS1_3repE0EEENS1_30default_config_static_selectorELNS0_4arch9wavefront6targetE1EEEvSP_.kd
    .uniform_work_group_size: 1
    .uses_dynamic_stack: false
    .vgpr_count:     0
    .vgpr_spill_count: 0
    .wavefront_size: 64
  - .agpr_count:     0
    .args:
      - .offset:         0
        .size:           88
        .value_kind:     by_value
    .group_segment_fixed_size: 10256
    .kernarg_segment_align: 8
    .kernarg_segment_size: 88
    .language:       OpenCL C
    .language_version:
      - 2
      - 0
    .max_flat_workgroup_size: 256
    .name:           _ZN7rocprim17ROCPRIM_400000_NS6detail17trampoline_kernelINS0_14default_configENS1_21merge_config_selectorIiNS0_10empty_typeEEEZNS1_10merge_implIS3_N6thrust23THRUST_200600_302600_NS6detail15normal_iteratorINS9_10device_ptrIKiEEEESF_NSB_INSC_IiEEEEPS5_SI_SI_NS9_7greaterIiEEEE10hipError_tPvRmT0_T1_T2_T3_T4_T5_mmT6_P12ihipStream_tbEUlT_E0_NS1_11comp_targetILNS1_3genE4ELNS1_11target_archE910ELNS1_3gpuE8ELNS1_3repE0EEENS1_30default_config_static_selectorELNS0_4arch9wavefront6targetE1EEEvSP_
    .private_segment_fixed_size: 0
    .sgpr_count:     28
    .sgpr_spill_count: 0
    .symbol:         _ZN7rocprim17ROCPRIM_400000_NS6detail17trampoline_kernelINS0_14default_configENS1_21merge_config_selectorIiNS0_10empty_typeEEEZNS1_10merge_implIS3_N6thrust23THRUST_200600_302600_NS6detail15normal_iteratorINS9_10device_ptrIKiEEEESF_NSB_INSC_IiEEEEPS5_SI_SI_NS9_7greaterIiEEEE10hipError_tPvRmT0_T1_T2_T3_T4_T5_mmT6_P12ihipStream_tbEUlT_E0_NS1_11comp_targetILNS1_3genE4ELNS1_11target_archE910ELNS1_3gpuE8ELNS1_3repE0EEENS1_30default_config_static_selectorELNS0_4arch9wavefront6targetE1EEEvSP_.kd
    .uniform_work_group_size: 1
    .uses_dynamic_stack: false
    .vgpr_count:     36
    .vgpr_spill_count: 0
    .wavefront_size: 64
  - .agpr_count:     0
    .args:
      - .offset:         0
        .size:           88
        .value_kind:     by_value
    .group_segment_fixed_size: 0
    .kernarg_segment_align: 8
    .kernarg_segment_size: 88
    .language:       OpenCL C
    .language_version:
      - 2
      - 0
    .max_flat_workgroup_size: 256
    .name:           _ZN7rocprim17ROCPRIM_400000_NS6detail17trampoline_kernelINS0_14default_configENS1_21merge_config_selectorIiNS0_10empty_typeEEEZNS1_10merge_implIS3_N6thrust23THRUST_200600_302600_NS6detail15normal_iteratorINS9_10device_ptrIKiEEEESF_NSB_INSC_IiEEEEPS5_SI_SI_NS9_7greaterIiEEEE10hipError_tPvRmT0_T1_T2_T3_T4_T5_mmT6_P12ihipStream_tbEUlT_E0_NS1_11comp_targetILNS1_3genE3ELNS1_11target_archE908ELNS1_3gpuE7ELNS1_3repE0EEENS1_30default_config_static_selectorELNS0_4arch9wavefront6targetE1EEEvSP_
    .private_segment_fixed_size: 0
    .sgpr_count:     4
    .sgpr_spill_count: 0
    .symbol:         _ZN7rocprim17ROCPRIM_400000_NS6detail17trampoline_kernelINS0_14default_configENS1_21merge_config_selectorIiNS0_10empty_typeEEEZNS1_10merge_implIS3_N6thrust23THRUST_200600_302600_NS6detail15normal_iteratorINS9_10device_ptrIKiEEEESF_NSB_INSC_IiEEEEPS5_SI_SI_NS9_7greaterIiEEEE10hipError_tPvRmT0_T1_T2_T3_T4_T5_mmT6_P12ihipStream_tbEUlT_E0_NS1_11comp_targetILNS1_3genE3ELNS1_11target_archE908ELNS1_3gpuE7ELNS1_3repE0EEENS1_30default_config_static_selectorELNS0_4arch9wavefront6targetE1EEEvSP_.kd
    .uniform_work_group_size: 1
    .uses_dynamic_stack: false
    .vgpr_count:     0
    .vgpr_spill_count: 0
    .wavefront_size: 64
  - .agpr_count:     0
    .args:
      - .offset:         0
        .size:           88
        .value_kind:     by_value
    .group_segment_fixed_size: 0
    .kernarg_segment_align: 8
    .kernarg_segment_size: 88
    .language:       OpenCL C
    .language_version:
      - 2
      - 0
    .max_flat_workgroup_size: 256
    .name:           _ZN7rocprim17ROCPRIM_400000_NS6detail17trampoline_kernelINS0_14default_configENS1_21merge_config_selectorIiNS0_10empty_typeEEEZNS1_10merge_implIS3_N6thrust23THRUST_200600_302600_NS6detail15normal_iteratorINS9_10device_ptrIKiEEEESF_NSB_INSC_IiEEEEPS5_SI_SI_NS9_7greaterIiEEEE10hipError_tPvRmT0_T1_T2_T3_T4_T5_mmT6_P12ihipStream_tbEUlT_E0_NS1_11comp_targetILNS1_3genE2ELNS1_11target_archE906ELNS1_3gpuE6ELNS1_3repE0EEENS1_30default_config_static_selectorELNS0_4arch9wavefront6targetE1EEEvSP_
    .private_segment_fixed_size: 0
    .sgpr_count:     4
    .sgpr_spill_count: 0
    .symbol:         _ZN7rocprim17ROCPRIM_400000_NS6detail17trampoline_kernelINS0_14default_configENS1_21merge_config_selectorIiNS0_10empty_typeEEEZNS1_10merge_implIS3_N6thrust23THRUST_200600_302600_NS6detail15normal_iteratorINS9_10device_ptrIKiEEEESF_NSB_INSC_IiEEEEPS5_SI_SI_NS9_7greaterIiEEEE10hipError_tPvRmT0_T1_T2_T3_T4_T5_mmT6_P12ihipStream_tbEUlT_E0_NS1_11comp_targetILNS1_3genE2ELNS1_11target_archE906ELNS1_3gpuE6ELNS1_3repE0EEENS1_30default_config_static_selectorELNS0_4arch9wavefront6targetE1EEEvSP_.kd
    .uniform_work_group_size: 1
    .uses_dynamic_stack: false
    .vgpr_count:     0
    .vgpr_spill_count: 0
    .wavefront_size: 64
  - .agpr_count:     0
    .args:
      - .offset:         0
        .size:           88
        .value_kind:     by_value
    .group_segment_fixed_size: 0
    .kernarg_segment_align: 8
    .kernarg_segment_size: 88
    .language:       OpenCL C
    .language_version:
      - 2
      - 0
    .max_flat_workgroup_size: 1024
    .name:           _ZN7rocprim17ROCPRIM_400000_NS6detail17trampoline_kernelINS0_14default_configENS1_21merge_config_selectorIiNS0_10empty_typeEEEZNS1_10merge_implIS3_N6thrust23THRUST_200600_302600_NS6detail15normal_iteratorINS9_10device_ptrIKiEEEESF_NSB_INSC_IiEEEEPS5_SI_SI_NS9_7greaterIiEEEE10hipError_tPvRmT0_T1_T2_T3_T4_T5_mmT6_P12ihipStream_tbEUlT_E0_NS1_11comp_targetILNS1_3genE10ELNS1_11target_archE1201ELNS1_3gpuE5ELNS1_3repE0EEENS1_30default_config_static_selectorELNS0_4arch9wavefront6targetE1EEEvSP_
    .private_segment_fixed_size: 0
    .sgpr_count:     4
    .sgpr_spill_count: 0
    .symbol:         _ZN7rocprim17ROCPRIM_400000_NS6detail17trampoline_kernelINS0_14default_configENS1_21merge_config_selectorIiNS0_10empty_typeEEEZNS1_10merge_implIS3_N6thrust23THRUST_200600_302600_NS6detail15normal_iteratorINS9_10device_ptrIKiEEEESF_NSB_INSC_IiEEEEPS5_SI_SI_NS9_7greaterIiEEEE10hipError_tPvRmT0_T1_T2_T3_T4_T5_mmT6_P12ihipStream_tbEUlT_E0_NS1_11comp_targetILNS1_3genE10ELNS1_11target_archE1201ELNS1_3gpuE5ELNS1_3repE0EEENS1_30default_config_static_selectorELNS0_4arch9wavefront6targetE1EEEvSP_.kd
    .uniform_work_group_size: 1
    .uses_dynamic_stack: false
    .vgpr_count:     0
    .vgpr_spill_count: 0
    .wavefront_size: 64
  - .agpr_count:     0
    .args:
      - .offset:         0
        .size:           88
        .value_kind:     by_value
    .group_segment_fixed_size: 0
    .kernarg_segment_align: 8
    .kernarg_segment_size: 88
    .language:       OpenCL C
    .language_version:
      - 2
      - 0
    .max_flat_workgroup_size: 1024
    .name:           _ZN7rocprim17ROCPRIM_400000_NS6detail17trampoline_kernelINS0_14default_configENS1_21merge_config_selectorIiNS0_10empty_typeEEEZNS1_10merge_implIS3_N6thrust23THRUST_200600_302600_NS6detail15normal_iteratorINS9_10device_ptrIKiEEEESF_NSB_INSC_IiEEEEPS5_SI_SI_NS9_7greaterIiEEEE10hipError_tPvRmT0_T1_T2_T3_T4_T5_mmT6_P12ihipStream_tbEUlT_E0_NS1_11comp_targetILNS1_3genE10ELNS1_11target_archE1200ELNS1_3gpuE4ELNS1_3repE0EEENS1_30default_config_static_selectorELNS0_4arch9wavefront6targetE1EEEvSP_
    .private_segment_fixed_size: 0
    .sgpr_count:     4
    .sgpr_spill_count: 0
    .symbol:         _ZN7rocprim17ROCPRIM_400000_NS6detail17trampoline_kernelINS0_14default_configENS1_21merge_config_selectorIiNS0_10empty_typeEEEZNS1_10merge_implIS3_N6thrust23THRUST_200600_302600_NS6detail15normal_iteratorINS9_10device_ptrIKiEEEESF_NSB_INSC_IiEEEEPS5_SI_SI_NS9_7greaterIiEEEE10hipError_tPvRmT0_T1_T2_T3_T4_T5_mmT6_P12ihipStream_tbEUlT_E0_NS1_11comp_targetILNS1_3genE10ELNS1_11target_archE1200ELNS1_3gpuE4ELNS1_3repE0EEENS1_30default_config_static_selectorELNS0_4arch9wavefront6targetE1EEEvSP_.kd
    .uniform_work_group_size: 1
    .uses_dynamic_stack: false
    .vgpr_count:     0
    .vgpr_spill_count: 0
    .wavefront_size: 64
  - .agpr_count:     0
    .args:
      - .offset:         0
        .size:           88
        .value_kind:     by_value
    .group_segment_fixed_size: 0
    .kernarg_segment_align: 8
    .kernarg_segment_size: 88
    .language:       OpenCL C
    .language_version:
      - 2
      - 0
    .max_flat_workgroup_size: 1024
    .name:           _ZN7rocprim17ROCPRIM_400000_NS6detail17trampoline_kernelINS0_14default_configENS1_21merge_config_selectorIiNS0_10empty_typeEEEZNS1_10merge_implIS3_N6thrust23THRUST_200600_302600_NS6detail15normal_iteratorINS9_10device_ptrIKiEEEESF_NSB_INSC_IiEEEEPS5_SI_SI_NS9_7greaterIiEEEE10hipError_tPvRmT0_T1_T2_T3_T4_T5_mmT6_P12ihipStream_tbEUlT_E0_NS1_11comp_targetILNS1_3genE9ELNS1_11target_archE1100ELNS1_3gpuE3ELNS1_3repE0EEENS1_30default_config_static_selectorELNS0_4arch9wavefront6targetE1EEEvSP_
    .private_segment_fixed_size: 0
    .sgpr_count:     4
    .sgpr_spill_count: 0
    .symbol:         _ZN7rocprim17ROCPRIM_400000_NS6detail17trampoline_kernelINS0_14default_configENS1_21merge_config_selectorIiNS0_10empty_typeEEEZNS1_10merge_implIS3_N6thrust23THRUST_200600_302600_NS6detail15normal_iteratorINS9_10device_ptrIKiEEEESF_NSB_INSC_IiEEEEPS5_SI_SI_NS9_7greaterIiEEEE10hipError_tPvRmT0_T1_T2_T3_T4_T5_mmT6_P12ihipStream_tbEUlT_E0_NS1_11comp_targetILNS1_3genE9ELNS1_11target_archE1100ELNS1_3gpuE3ELNS1_3repE0EEENS1_30default_config_static_selectorELNS0_4arch9wavefront6targetE1EEEvSP_.kd
    .uniform_work_group_size: 1
    .uses_dynamic_stack: false
    .vgpr_count:     0
    .vgpr_spill_count: 0
    .wavefront_size: 64
  - .agpr_count:     0
    .args:
      - .offset:         0
        .size:           88
        .value_kind:     by_value
    .group_segment_fixed_size: 0
    .kernarg_segment_align: 8
    .kernarg_segment_size: 88
    .language:       OpenCL C
    .language_version:
      - 2
      - 0
    .max_flat_workgroup_size: 1024
    .name:           _ZN7rocprim17ROCPRIM_400000_NS6detail17trampoline_kernelINS0_14default_configENS1_21merge_config_selectorIiNS0_10empty_typeEEEZNS1_10merge_implIS3_N6thrust23THRUST_200600_302600_NS6detail15normal_iteratorINS9_10device_ptrIKiEEEESF_NSB_INSC_IiEEEEPS5_SI_SI_NS9_7greaterIiEEEE10hipError_tPvRmT0_T1_T2_T3_T4_T5_mmT6_P12ihipStream_tbEUlT_E0_NS1_11comp_targetILNS1_3genE8ELNS1_11target_archE1030ELNS1_3gpuE2ELNS1_3repE0EEENS1_30default_config_static_selectorELNS0_4arch9wavefront6targetE1EEEvSP_
    .private_segment_fixed_size: 0
    .sgpr_count:     4
    .sgpr_spill_count: 0
    .symbol:         _ZN7rocprim17ROCPRIM_400000_NS6detail17trampoline_kernelINS0_14default_configENS1_21merge_config_selectorIiNS0_10empty_typeEEEZNS1_10merge_implIS3_N6thrust23THRUST_200600_302600_NS6detail15normal_iteratorINS9_10device_ptrIKiEEEESF_NSB_INSC_IiEEEEPS5_SI_SI_NS9_7greaterIiEEEE10hipError_tPvRmT0_T1_T2_T3_T4_T5_mmT6_P12ihipStream_tbEUlT_E0_NS1_11comp_targetILNS1_3genE8ELNS1_11target_archE1030ELNS1_3gpuE2ELNS1_3repE0EEENS1_30default_config_static_selectorELNS0_4arch9wavefront6targetE1EEEvSP_.kd
    .uniform_work_group_size: 1
    .uses_dynamic_stack: false
    .vgpr_count:     0
    .vgpr_spill_count: 0
    .wavefront_size: 64
  - .agpr_count:     0
    .args:
      - .offset:         0
        .size:           48
        .value_kind:     by_value
    .group_segment_fixed_size: 0
    .kernarg_segment_align: 8
    .kernarg_segment_size: 48
    .language:       OpenCL C
    .language_version:
      - 2
      - 0
    .max_flat_workgroup_size: 512
    .name:           _ZN7rocprim17ROCPRIM_400000_NS6detail17trampoline_kernelINS0_14default_configENS1_21merge_config_selectorIsNS0_10empty_typeEEEZNS1_10merge_implIS3_N6thrust23THRUST_200600_302600_NS6detail15normal_iteratorINS9_10device_ptrIKsEEEESF_NSB_INSC_IsEEEEPS5_SI_SI_NS9_7greaterIsEEEE10hipError_tPvRmT0_T1_T2_T3_T4_T5_mmT6_P12ihipStream_tbEUlT_E_NS1_11comp_targetILNS1_3genE0ELNS1_11target_archE4294967295ELNS1_3gpuE0ELNS1_3repE0EEENS1_30default_config_static_selectorELNS0_4arch9wavefront6targetE1EEEvSP_
    .private_segment_fixed_size: 0
    .sgpr_count:     4
    .sgpr_spill_count: 0
    .symbol:         _ZN7rocprim17ROCPRIM_400000_NS6detail17trampoline_kernelINS0_14default_configENS1_21merge_config_selectorIsNS0_10empty_typeEEEZNS1_10merge_implIS3_N6thrust23THRUST_200600_302600_NS6detail15normal_iteratorINS9_10device_ptrIKsEEEESF_NSB_INSC_IsEEEEPS5_SI_SI_NS9_7greaterIsEEEE10hipError_tPvRmT0_T1_T2_T3_T4_T5_mmT6_P12ihipStream_tbEUlT_E_NS1_11comp_targetILNS1_3genE0ELNS1_11target_archE4294967295ELNS1_3gpuE0ELNS1_3repE0EEENS1_30default_config_static_selectorELNS0_4arch9wavefront6targetE1EEEvSP_.kd
    .uniform_work_group_size: 1
    .uses_dynamic_stack: false
    .vgpr_count:     0
    .vgpr_spill_count: 0
    .wavefront_size: 64
  - .agpr_count:     0
    .args:
      - .offset:         0
        .size:           48
        .value_kind:     by_value
    .group_segment_fixed_size: 0
    .kernarg_segment_align: 8
    .kernarg_segment_size: 48
    .language:       OpenCL C
    .language_version:
      - 2
      - 0
    .max_flat_workgroup_size: 256
    .name:           _ZN7rocprim17ROCPRIM_400000_NS6detail17trampoline_kernelINS0_14default_configENS1_21merge_config_selectorIsNS0_10empty_typeEEEZNS1_10merge_implIS3_N6thrust23THRUST_200600_302600_NS6detail15normal_iteratorINS9_10device_ptrIKsEEEESF_NSB_INSC_IsEEEEPS5_SI_SI_NS9_7greaterIsEEEE10hipError_tPvRmT0_T1_T2_T3_T4_T5_mmT6_P12ihipStream_tbEUlT_E_NS1_11comp_targetILNS1_3genE5ELNS1_11target_archE942ELNS1_3gpuE9ELNS1_3repE0EEENS1_30default_config_static_selectorELNS0_4arch9wavefront6targetE1EEEvSP_
    .private_segment_fixed_size: 0
    .sgpr_count:     4
    .sgpr_spill_count: 0
    .symbol:         _ZN7rocprim17ROCPRIM_400000_NS6detail17trampoline_kernelINS0_14default_configENS1_21merge_config_selectorIsNS0_10empty_typeEEEZNS1_10merge_implIS3_N6thrust23THRUST_200600_302600_NS6detail15normal_iteratorINS9_10device_ptrIKsEEEESF_NSB_INSC_IsEEEEPS5_SI_SI_NS9_7greaterIsEEEE10hipError_tPvRmT0_T1_T2_T3_T4_T5_mmT6_P12ihipStream_tbEUlT_E_NS1_11comp_targetILNS1_3genE5ELNS1_11target_archE942ELNS1_3gpuE9ELNS1_3repE0EEENS1_30default_config_static_selectorELNS0_4arch9wavefront6targetE1EEEvSP_.kd
    .uniform_work_group_size: 1
    .uses_dynamic_stack: false
    .vgpr_count:     0
    .vgpr_spill_count: 0
    .wavefront_size: 64
  - .agpr_count:     0
    .args:
      - .offset:         0
        .size:           48
        .value_kind:     by_value
      - .offset:         48
        .size:           4
        .value_kind:     hidden_block_count_x
      - .offset:         52
        .size:           4
        .value_kind:     hidden_block_count_y
      - .offset:         56
        .size:           4
        .value_kind:     hidden_block_count_z
      - .offset:         60
        .size:           2
        .value_kind:     hidden_group_size_x
      - .offset:         62
        .size:           2
        .value_kind:     hidden_group_size_y
      - .offset:         64
        .size:           2
        .value_kind:     hidden_group_size_z
      - .offset:         66
        .size:           2
        .value_kind:     hidden_remainder_x
      - .offset:         68
        .size:           2
        .value_kind:     hidden_remainder_y
      - .offset:         70
        .size:           2
        .value_kind:     hidden_remainder_z
      - .offset:         88
        .size:           8
        .value_kind:     hidden_global_offset_x
      - .offset:         96
        .size:           8
        .value_kind:     hidden_global_offset_y
      - .offset:         104
        .size:           8
        .value_kind:     hidden_global_offset_z
      - .offset:         112
        .size:           2
        .value_kind:     hidden_grid_dims
    .group_segment_fixed_size: 0
    .kernarg_segment_align: 8
    .kernarg_segment_size: 304
    .language:       OpenCL C
    .language_version:
      - 2
      - 0
    .max_flat_workgroup_size: 256
    .name:           _ZN7rocprim17ROCPRIM_400000_NS6detail17trampoline_kernelINS0_14default_configENS1_21merge_config_selectorIsNS0_10empty_typeEEEZNS1_10merge_implIS3_N6thrust23THRUST_200600_302600_NS6detail15normal_iteratorINS9_10device_ptrIKsEEEESF_NSB_INSC_IsEEEEPS5_SI_SI_NS9_7greaterIsEEEE10hipError_tPvRmT0_T1_T2_T3_T4_T5_mmT6_P12ihipStream_tbEUlT_E_NS1_11comp_targetILNS1_3genE4ELNS1_11target_archE910ELNS1_3gpuE8ELNS1_3repE0EEENS1_30default_config_static_selectorELNS0_4arch9wavefront6targetE1EEEvSP_
    .private_segment_fixed_size: 0
    .sgpr_count:     18
    .sgpr_spill_count: 0
    .symbol:         _ZN7rocprim17ROCPRIM_400000_NS6detail17trampoline_kernelINS0_14default_configENS1_21merge_config_selectorIsNS0_10empty_typeEEEZNS1_10merge_implIS3_N6thrust23THRUST_200600_302600_NS6detail15normal_iteratorINS9_10device_ptrIKsEEEESF_NSB_INSC_IsEEEEPS5_SI_SI_NS9_7greaterIsEEEE10hipError_tPvRmT0_T1_T2_T3_T4_T5_mmT6_P12ihipStream_tbEUlT_E_NS1_11comp_targetILNS1_3genE4ELNS1_11target_archE910ELNS1_3gpuE8ELNS1_3repE0EEENS1_30default_config_static_selectorELNS0_4arch9wavefront6targetE1EEEvSP_.kd
    .uniform_work_group_size: 1
    .uses_dynamic_stack: false
    .vgpr_count:     15
    .vgpr_spill_count: 0
    .wavefront_size: 64
  - .agpr_count:     0
    .args:
      - .offset:         0
        .size:           48
        .value_kind:     by_value
    .group_segment_fixed_size: 0
    .kernarg_segment_align: 8
    .kernarg_segment_size: 48
    .language:       OpenCL C
    .language_version:
      - 2
      - 0
    .max_flat_workgroup_size: 512
    .name:           _ZN7rocprim17ROCPRIM_400000_NS6detail17trampoline_kernelINS0_14default_configENS1_21merge_config_selectorIsNS0_10empty_typeEEEZNS1_10merge_implIS3_N6thrust23THRUST_200600_302600_NS6detail15normal_iteratorINS9_10device_ptrIKsEEEESF_NSB_INSC_IsEEEEPS5_SI_SI_NS9_7greaterIsEEEE10hipError_tPvRmT0_T1_T2_T3_T4_T5_mmT6_P12ihipStream_tbEUlT_E_NS1_11comp_targetILNS1_3genE3ELNS1_11target_archE908ELNS1_3gpuE7ELNS1_3repE0EEENS1_30default_config_static_selectorELNS0_4arch9wavefront6targetE1EEEvSP_
    .private_segment_fixed_size: 0
    .sgpr_count:     4
    .sgpr_spill_count: 0
    .symbol:         _ZN7rocprim17ROCPRIM_400000_NS6detail17trampoline_kernelINS0_14default_configENS1_21merge_config_selectorIsNS0_10empty_typeEEEZNS1_10merge_implIS3_N6thrust23THRUST_200600_302600_NS6detail15normal_iteratorINS9_10device_ptrIKsEEEESF_NSB_INSC_IsEEEEPS5_SI_SI_NS9_7greaterIsEEEE10hipError_tPvRmT0_T1_T2_T3_T4_T5_mmT6_P12ihipStream_tbEUlT_E_NS1_11comp_targetILNS1_3genE3ELNS1_11target_archE908ELNS1_3gpuE7ELNS1_3repE0EEENS1_30default_config_static_selectorELNS0_4arch9wavefront6targetE1EEEvSP_.kd
    .uniform_work_group_size: 1
    .uses_dynamic_stack: false
    .vgpr_count:     0
    .vgpr_spill_count: 0
    .wavefront_size: 64
  - .agpr_count:     0
    .args:
      - .offset:         0
        .size:           48
        .value_kind:     by_value
    .group_segment_fixed_size: 0
    .kernarg_segment_align: 8
    .kernarg_segment_size: 48
    .language:       OpenCL C
    .language_version:
      - 2
      - 0
    .max_flat_workgroup_size: 256
    .name:           _ZN7rocprim17ROCPRIM_400000_NS6detail17trampoline_kernelINS0_14default_configENS1_21merge_config_selectorIsNS0_10empty_typeEEEZNS1_10merge_implIS3_N6thrust23THRUST_200600_302600_NS6detail15normal_iteratorINS9_10device_ptrIKsEEEESF_NSB_INSC_IsEEEEPS5_SI_SI_NS9_7greaterIsEEEE10hipError_tPvRmT0_T1_T2_T3_T4_T5_mmT6_P12ihipStream_tbEUlT_E_NS1_11comp_targetILNS1_3genE2ELNS1_11target_archE906ELNS1_3gpuE6ELNS1_3repE0EEENS1_30default_config_static_selectorELNS0_4arch9wavefront6targetE1EEEvSP_
    .private_segment_fixed_size: 0
    .sgpr_count:     4
    .sgpr_spill_count: 0
    .symbol:         _ZN7rocprim17ROCPRIM_400000_NS6detail17trampoline_kernelINS0_14default_configENS1_21merge_config_selectorIsNS0_10empty_typeEEEZNS1_10merge_implIS3_N6thrust23THRUST_200600_302600_NS6detail15normal_iteratorINS9_10device_ptrIKsEEEESF_NSB_INSC_IsEEEEPS5_SI_SI_NS9_7greaterIsEEEE10hipError_tPvRmT0_T1_T2_T3_T4_T5_mmT6_P12ihipStream_tbEUlT_E_NS1_11comp_targetILNS1_3genE2ELNS1_11target_archE906ELNS1_3gpuE6ELNS1_3repE0EEENS1_30default_config_static_selectorELNS0_4arch9wavefront6targetE1EEEvSP_.kd
    .uniform_work_group_size: 1
    .uses_dynamic_stack: false
    .vgpr_count:     0
    .vgpr_spill_count: 0
    .wavefront_size: 64
  - .agpr_count:     0
    .args:
      - .offset:         0
        .size:           48
        .value_kind:     by_value
    .group_segment_fixed_size: 0
    .kernarg_segment_align: 8
    .kernarg_segment_size: 48
    .language:       OpenCL C
    .language_version:
      - 2
      - 0
    .max_flat_workgroup_size: 512
    .name:           _ZN7rocprim17ROCPRIM_400000_NS6detail17trampoline_kernelINS0_14default_configENS1_21merge_config_selectorIsNS0_10empty_typeEEEZNS1_10merge_implIS3_N6thrust23THRUST_200600_302600_NS6detail15normal_iteratorINS9_10device_ptrIKsEEEESF_NSB_INSC_IsEEEEPS5_SI_SI_NS9_7greaterIsEEEE10hipError_tPvRmT0_T1_T2_T3_T4_T5_mmT6_P12ihipStream_tbEUlT_E_NS1_11comp_targetILNS1_3genE10ELNS1_11target_archE1201ELNS1_3gpuE5ELNS1_3repE0EEENS1_30default_config_static_selectorELNS0_4arch9wavefront6targetE1EEEvSP_
    .private_segment_fixed_size: 0
    .sgpr_count:     4
    .sgpr_spill_count: 0
    .symbol:         _ZN7rocprim17ROCPRIM_400000_NS6detail17trampoline_kernelINS0_14default_configENS1_21merge_config_selectorIsNS0_10empty_typeEEEZNS1_10merge_implIS3_N6thrust23THRUST_200600_302600_NS6detail15normal_iteratorINS9_10device_ptrIKsEEEESF_NSB_INSC_IsEEEEPS5_SI_SI_NS9_7greaterIsEEEE10hipError_tPvRmT0_T1_T2_T3_T4_T5_mmT6_P12ihipStream_tbEUlT_E_NS1_11comp_targetILNS1_3genE10ELNS1_11target_archE1201ELNS1_3gpuE5ELNS1_3repE0EEENS1_30default_config_static_selectorELNS0_4arch9wavefront6targetE1EEEvSP_.kd
    .uniform_work_group_size: 1
    .uses_dynamic_stack: false
    .vgpr_count:     0
    .vgpr_spill_count: 0
    .wavefront_size: 64
  - .agpr_count:     0
    .args:
      - .offset:         0
        .size:           48
        .value_kind:     by_value
    .group_segment_fixed_size: 0
    .kernarg_segment_align: 8
    .kernarg_segment_size: 48
    .language:       OpenCL C
    .language_version:
      - 2
      - 0
    .max_flat_workgroup_size: 512
    .name:           _ZN7rocprim17ROCPRIM_400000_NS6detail17trampoline_kernelINS0_14default_configENS1_21merge_config_selectorIsNS0_10empty_typeEEEZNS1_10merge_implIS3_N6thrust23THRUST_200600_302600_NS6detail15normal_iteratorINS9_10device_ptrIKsEEEESF_NSB_INSC_IsEEEEPS5_SI_SI_NS9_7greaterIsEEEE10hipError_tPvRmT0_T1_T2_T3_T4_T5_mmT6_P12ihipStream_tbEUlT_E_NS1_11comp_targetILNS1_3genE10ELNS1_11target_archE1200ELNS1_3gpuE4ELNS1_3repE0EEENS1_30default_config_static_selectorELNS0_4arch9wavefront6targetE1EEEvSP_
    .private_segment_fixed_size: 0
    .sgpr_count:     4
    .sgpr_spill_count: 0
    .symbol:         _ZN7rocprim17ROCPRIM_400000_NS6detail17trampoline_kernelINS0_14default_configENS1_21merge_config_selectorIsNS0_10empty_typeEEEZNS1_10merge_implIS3_N6thrust23THRUST_200600_302600_NS6detail15normal_iteratorINS9_10device_ptrIKsEEEESF_NSB_INSC_IsEEEEPS5_SI_SI_NS9_7greaterIsEEEE10hipError_tPvRmT0_T1_T2_T3_T4_T5_mmT6_P12ihipStream_tbEUlT_E_NS1_11comp_targetILNS1_3genE10ELNS1_11target_archE1200ELNS1_3gpuE4ELNS1_3repE0EEENS1_30default_config_static_selectorELNS0_4arch9wavefront6targetE1EEEvSP_.kd
    .uniform_work_group_size: 1
    .uses_dynamic_stack: false
    .vgpr_count:     0
    .vgpr_spill_count: 0
    .wavefront_size: 64
  - .agpr_count:     0
    .args:
      - .offset:         0
        .size:           48
        .value_kind:     by_value
    .group_segment_fixed_size: 0
    .kernarg_segment_align: 8
    .kernarg_segment_size: 48
    .language:       OpenCL C
    .language_version:
      - 2
      - 0
    .max_flat_workgroup_size: 512
    .name:           _ZN7rocprim17ROCPRIM_400000_NS6detail17trampoline_kernelINS0_14default_configENS1_21merge_config_selectorIsNS0_10empty_typeEEEZNS1_10merge_implIS3_N6thrust23THRUST_200600_302600_NS6detail15normal_iteratorINS9_10device_ptrIKsEEEESF_NSB_INSC_IsEEEEPS5_SI_SI_NS9_7greaterIsEEEE10hipError_tPvRmT0_T1_T2_T3_T4_T5_mmT6_P12ihipStream_tbEUlT_E_NS1_11comp_targetILNS1_3genE9ELNS1_11target_archE1100ELNS1_3gpuE3ELNS1_3repE0EEENS1_30default_config_static_selectorELNS0_4arch9wavefront6targetE1EEEvSP_
    .private_segment_fixed_size: 0
    .sgpr_count:     4
    .sgpr_spill_count: 0
    .symbol:         _ZN7rocprim17ROCPRIM_400000_NS6detail17trampoline_kernelINS0_14default_configENS1_21merge_config_selectorIsNS0_10empty_typeEEEZNS1_10merge_implIS3_N6thrust23THRUST_200600_302600_NS6detail15normal_iteratorINS9_10device_ptrIKsEEEESF_NSB_INSC_IsEEEEPS5_SI_SI_NS9_7greaterIsEEEE10hipError_tPvRmT0_T1_T2_T3_T4_T5_mmT6_P12ihipStream_tbEUlT_E_NS1_11comp_targetILNS1_3genE9ELNS1_11target_archE1100ELNS1_3gpuE3ELNS1_3repE0EEENS1_30default_config_static_selectorELNS0_4arch9wavefront6targetE1EEEvSP_.kd
    .uniform_work_group_size: 1
    .uses_dynamic_stack: false
    .vgpr_count:     0
    .vgpr_spill_count: 0
    .wavefront_size: 64
  - .agpr_count:     0
    .args:
      - .offset:         0
        .size:           48
        .value_kind:     by_value
    .group_segment_fixed_size: 0
    .kernarg_segment_align: 8
    .kernarg_segment_size: 48
    .language:       OpenCL C
    .language_version:
      - 2
      - 0
    .max_flat_workgroup_size: 256
    .name:           _ZN7rocprim17ROCPRIM_400000_NS6detail17trampoline_kernelINS0_14default_configENS1_21merge_config_selectorIsNS0_10empty_typeEEEZNS1_10merge_implIS3_N6thrust23THRUST_200600_302600_NS6detail15normal_iteratorINS9_10device_ptrIKsEEEESF_NSB_INSC_IsEEEEPS5_SI_SI_NS9_7greaterIsEEEE10hipError_tPvRmT0_T1_T2_T3_T4_T5_mmT6_P12ihipStream_tbEUlT_E_NS1_11comp_targetILNS1_3genE8ELNS1_11target_archE1030ELNS1_3gpuE2ELNS1_3repE0EEENS1_30default_config_static_selectorELNS0_4arch9wavefront6targetE1EEEvSP_
    .private_segment_fixed_size: 0
    .sgpr_count:     4
    .sgpr_spill_count: 0
    .symbol:         _ZN7rocprim17ROCPRIM_400000_NS6detail17trampoline_kernelINS0_14default_configENS1_21merge_config_selectorIsNS0_10empty_typeEEEZNS1_10merge_implIS3_N6thrust23THRUST_200600_302600_NS6detail15normal_iteratorINS9_10device_ptrIKsEEEESF_NSB_INSC_IsEEEEPS5_SI_SI_NS9_7greaterIsEEEE10hipError_tPvRmT0_T1_T2_T3_T4_T5_mmT6_P12ihipStream_tbEUlT_E_NS1_11comp_targetILNS1_3genE8ELNS1_11target_archE1030ELNS1_3gpuE2ELNS1_3repE0EEENS1_30default_config_static_selectorELNS0_4arch9wavefront6targetE1EEEvSP_.kd
    .uniform_work_group_size: 1
    .uses_dynamic_stack: false
    .vgpr_count:     0
    .vgpr_spill_count: 0
    .wavefront_size: 64
  - .agpr_count:     0
    .args:
      - .offset:         0
        .size:           88
        .value_kind:     by_value
    .group_segment_fixed_size: 0
    .kernarg_segment_align: 8
    .kernarg_segment_size: 88
    .language:       OpenCL C
    .language_version:
      - 2
      - 0
    .max_flat_workgroup_size: 512
    .name:           _ZN7rocprim17ROCPRIM_400000_NS6detail17trampoline_kernelINS0_14default_configENS1_21merge_config_selectorIsNS0_10empty_typeEEEZNS1_10merge_implIS3_N6thrust23THRUST_200600_302600_NS6detail15normal_iteratorINS9_10device_ptrIKsEEEESF_NSB_INSC_IsEEEEPS5_SI_SI_NS9_7greaterIsEEEE10hipError_tPvRmT0_T1_T2_T3_T4_T5_mmT6_P12ihipStream_tbEUlT_E0_NS1_11comp_targetILNS1_3genE0ELNS1_11target_archE4294967295ELNS1_3gpuE0ELNS1_3repE0EEENS1_30default_config_static_selectorELNS0_4arch9wavefront6targetE1EEEvSP_
    .private_segment_fixed_size: 0
    .sgpr_count:     4
    .sgpr_spill_count: 0
    .symbol:         _ZN7rocprim17ROCPRIM_400000_NS6detail17trampoline_kernelINS0_14default_configENS1_21merge_config_selectorIsNS0_10empty_typeEEEZNS1_10merge_implIS3_N6thrust23THRUST_200600_302600_NS6detail15normal_iteratorINS9_10device_ptrIKsEEEESF_NSB_INSC_IsEEEEPS5_SI_SI_NS9_7greaterIsEEEE10hipError_tPvRmT0_T1_T2_T3_T4_T5_mmT6_P12ihipStream_tbEUlT_E0_NS1_11comp_targetILNS1_3genE0ELNS1_11target_archE4294967295ELNS1_3gpuE0ELNS1_3repE0EEENS1_30default_config_static_selectorELNS0_4arch9wavefront6targetE1EEEvSP_.kd
    .uniform_work_group_size: 1
    .uses_dynamic_stack: false
    .vgpr_count:     0
    .vgpr_spill_count: 0
    .wavefront_size: 64
  - .agpr_count:     0
    .args:
      - .offset:         0
        .size:           88
        .value_kind:     by_value
    .group_segment_fixed_size: 0
    .kernarg_segment_align: 8
    .kernarg_segment_size: 88
    .language:       OpenCL C
    .language_version:
      - 2
      - 0
    .max_flat_workgroup_size: 256
    .name:           _ZN7rocprim17ROCPRIM_400000_NS6detail17trampoline_kernelINS0_14default_configENS1_21merge_config_selectorIsNS0_10empty_typeEEEZNS1_10merge_implIS3_N6thrust23THRUST_200600_302600_NS6detail15normal_iteratorINS9_10device_ptrIKsEEEESF_NSB_INSC_IsEEEEPS5_SI_SI_NS9_7greaterIsEEEE10hipError_tPvRmT0_T1_T2_T3_T4_T5_mmT6_P12ihipStream_tbEUlT_E0_NS1_11comp_targetILNS1_3genE5ELNS1_11target_archE942ELNS1_3gpuE9ELNS1_3repE0EEENS1_30default_config_static_selectorELNS0_4arch9wavefront6targetE1EEEvSP_
    .private_segment_fixed_size: 0
    .sgpr_count:     4
    .sgpr_spill_count: 0
    .symbol:         _ZN7rocprim17ROCPRIM_400000_NS6detail17trampoline_kernelINS0_14default_configENS1_21merge_config_selectorIsNS0_10empty_typeEEEZNS1_10merge_implIS3_N6thrust23THRUST_200600_302600_NS6detail15normal_iteratorINS9_10device_ptrIKsEEEESF_NSB_INSC_IsEEEEPS5_SI_SI_NS9_7greaterIsEEEE10hipError_tPvRmT0_T1_T2_T3_T4_T5_mmT6_P12ihipStream_tbEUlT_E0_NS1_11comp_targetILNS1_3genE5ELNS1_11target_archE942ELNS1_3gpuE9ELNS1_3repE0EEENS1_30default_config_static_selectorELNS0_4arch9wavefront6targetE1EEEvSP_.kd
    .uniform_work_group_size: 1
    .uses_dynamic_stack: false
    .vgpr_count:     0
    .vgpr_spill_count: 0
    .wavefront_size: 64
  - .agpr_count:     0
    .args:
      - .offset:         0
        .size:           88
        .value_kind:     by_value
    .group_segment_fixed_size: 8448
    .kernarg_segment_align: 8
    .kernarg_segment_size: 88
    .language:       OpenCL C
    .language_version:
      - 2
      - 0
    .max_flat_workgroup_size: 256
    .name:           _ZN7rocprim17ROCPRIM_400000_NS6detail17trampoline_kernelINS0_14default_configENS1_21merge_config_selectorIsNS0_10empty_typeEEEZNS1_10merge_implIS3_N6thrust23THRUST_200600_302600_NS6detail15normal_iteratorINS9_10device_ptrIKsEEEESF_NSB_INSC_IsEEEEPS5_SI_SI_NS9_7greaterIsEEEE10hipError_tPvRmT0_T1_T2_T3_T4_T5_mmT6_P12ihipStream_tbEUlT_E0_NS1_11comp_targetILNS1_3genE4ELNS1_11target_archE910ELNS1_3gpuE8ELNS1_3repE0EEENS1_30default_config_static_selectorELNS0_4arch9wavefront6targetE1EEEvSP_
    .private_segment_fixed_size: 0
    .sgpr_count:     40
    .sgpr_spill_count: 0
    .symbol:         _ZN7rocprim17ROCPRIM_400000_NS6detail17trampoline_kernelINS0_14default_configENS1_21merge_config_selectorIsNS0_10empty_typeEEEZNS1_10merge_implIS3_N6thrust23THRUST_200600_302600_NS6detail15normal_iteratorINS9_10device_ptrIKsEEEESF_NSB_INSC_IsEEEEPS5_SI_SI_NS9_7greaterIsEEEE10hipError_tPvRmT0_T1_T2_T3_T4_T5_mmT6_P12ihipStream_tbEUlT_E0_NS1_11comp_targetILNS1_3genE4ELNS1_11target_archE910ELNS1_3gpuE8ELNS1_3repE0EEENS1_30default_config_static_selectorELNS0_4arch9wavefront6targetE1EEEvSP_.kd
    .uniform_work_group_size: 1
    .uses_dynamic_stack: false
    .vgpr_count:     50
    .vgpr_spill_count: 0
    .wavefront_size: 64
  - .agpr_count:     0
    .args:
      - .offset:         0
        .size:           88
        .value_kind:     by_value
    .group_segment_fixed_size: 0
    .kernarg_segment_align: 8
    .kernarg_segment_size: 88
    .language:       OpenCL C
    .language_version:
      - 2
      - 0
    .max_flat_workgroup_size: 512
    .name:           _ZN7rocprim17ROCPRIM_400000_NS6detail17trampoline_kernelINS0_14default_configENS1_21merge_config_selectorIsNS0_10empty_typeEEEZNS1_10merge_implIS3_N6thrust23THRUST_200600_302600_NS6detail15normal_iteratorINS9_10device_ptrIKsEEEESF_NSB_INSC_IsEEEEPS5_SI_SI_NS9_7greaterIsEEEE10hipError_tPvRmT0_T1_T2_T3_T4_T5_mmT6_P12ihipStream_tbEUlT_E0_NS1_11comp_targetILNS1_3genE3ELNS1_11target_archE908ELNS1_3gpuE7ELNS1_3repE0EEENS1_30default_config_static_selectorELNS0_4arch9wavefront6targetE1EEEvSP_
    .private_segment_fixed_size: 0
    .sgpr_count:     4
    .sgpr_spill_count: 0
    .symbol:         _ZN7rocprim17ROCPRIM_400000_NS6detail17trampoline_kernelINS0_14default_configENS1_21merge_config_selectorIsNS0_10empty_typeEEEZNS1_10merge_implIS3_N6thrust23THRUST_200600_302600_NS6detail15normal_iteratorINS9_10device_ptrIKsEEEESF_NSB_INSC_IsEEEEPS5_SI_SI_NS9_7greaterIsEEEE10hipError_tPvRmT0_T1_T2_T3_T4_T5_mmT6_P12ihipStream_tbEUlT_E0_NS1_11comp_targetILNS1_3genE3ELNS1_11target_archE908ELNS1_3gpuE7ELNS1_3repE0EEENS1_30default_config_static_selectorELNS0_4arch9wavefront6targetE1EEEvSP_.kd
    .uniform_work_group_size: 1
    .uses_dynamic_stack: false
    .vgpr_count:     0
    .vgpr_spill_count: 0
    .wavefront_size: 64
  - .agpr_count:     0
    .args:
      - .offset:         0
        .size:           88
        .value_kind:     by_value
    .group_segment_fixed_size: 0
    .kernarg_segment_align: 8
    .kernarg_segment_size: 88
    .language:       OpenCL C
    .language_version:
      - 2
      - 0
    .max_flat_workgroup_size: 256
    .name:           _ZN7rocprim17ROCPRIM_400000_NS6detail17trampoline_kernelINS0_14default_configENS1_21merge_config_selectorIsNS0_10empty_typeEEEZNS1_10merge_implIS3_N6thrust23THRUST_200600_302600_NS6detail15normal_iteratorINS9_10device_ptrIKsEEEESF_NSB_INSC_IsEEEEPS5_SI_SI_NS9_7greaterIsEEEE10hipError_tPvRmT0_T1_T2_T3_T4_T5_mmT6_P12ihipStream_tbEUlT_E0_NS1_11comp_targetILNS1_3genE2ELNS1_11target_archE906ELNS1_3gpuE6ELNS1_3repE0EEENS1_30default_config_static_selectorELNS0_4arch9wavefront6targetE1EEEvSP_
    .private_segment_fixed_size: 0
    .sgpr_count:     4
    .sgpr_spill_count: 0
    .symbol:         _ZN7rocprim17ROCPRIM_400000_NS6detail17trampoline_kernelINS0_14default_configENS1_21merge_config_selectorIsNS0_10empty_typeEEEZNS1_10merge_implIS3_N6thrust23THRUST_200600_302600_NS6detail15normal_iteratorINS9_10device_ptrIKsEEEESF_NSB_INSC_IsEEEEPS5_SI_SI_NS9_7greaterIsEEEE10hipError_tPvRmT0_T1_T2_T3_T4_T5_mmT6_P12ihipStream_tbEUlT_E0_NS1_11comp_targetILNS1_3genE2ELNS1_11target_archE906ELNS1_3gpuE6ELNS1_3repE0EEENS1_30default_config_static_selectorELNS0_4arch9wavefront6targetE1EEEvSP_.kd
    .uniform_work_group_size: 1
    .uses_dynamic_stack: false
    .vgpr_count:     0
    .vgpr_spill_count: 0
    .wavefront_size: 64
  - .agpr_count:     0
    .args:
      - .offset:         0
        .size:           88
        .value_kind:     by_value
    .group_segment_fixed_size: 0
    .kernarg_segment_align: 8
    .kernarg_segment_size: 88
    .language:       OpenCL C
    .language_version:
      - 2
      - 0
    .max_flat_workgroup_size: 512
    .name:           _ZN7rocprim17ROCPRIM_400000_NS6detail17trampoline_kernelINS0_14default_configENS1_21merge_config_selectorIsNS0_10empty_typeEEEZNS1_10merge_implIS3_N6thrust23THRUST_200600_302600_NS6detail15normal_iteratorINS9_10device_ptrIKsEEEESF_NSB_INSC_IsEEEEPS5_SI_SI_NS9_7greaterIsEEEE10hipError_tPvRmT0_T1_T2_T3_T4_T5_mmT6_P12ihipStream_tbEUlT_E0_NS1_11comp_targetILNS1_3genE10ELNS1_11target_archE1201ELNS1_3gpuE5ELNS1_3repE0EEENS1_30default_config_static_selectorELNS0_4arch9wavefront6targetE1EEEvSP_
    .private_segment_fixed_size: 0
    .sgpr_count:     4
    .sgpr_spill_count: 0
    .symbol:         _ZN7rocprim17ROCPRIM_400000_NS6detail17trampoline_kernelINS0_14default_configENS1_21merge_config_selectorIsNS0_10empty_typeEEEZNS1_10merge_implIS3_N6thrust23THRUST_200600_302600_NS6detail15normal_iteratorINS9_10device_ptrIKsEEEESF_NSB_INSC_IsEEEEPS5_SI_SI_NS9_7greaterIsEEEE10hipError_tPvRmT0_T1_T2_T3_T4_T5_mmT6_P12ihipStream_tbEUlT_E0_NS1_11comp_targetILNS1_3genE10ELNS1_11target_archE1201ELNS1_3gpuE5ELNS1_3repE0EEENS1_30default_config_static_selectorELNS0_4arch9wavefront6targetE1EEEvSP_.kd
    .uniform_work_group_size: 1
    .uses_dynamic_stack: false
    .vgpr_count:     0
    .vgpr_spill_count: 0
    .wavefront_size: 64
  - .agpr_count:     0
    .args:
      - .offset:         0
        .size:           88
        .value_kind:     by_value
    .group_segment_fixed_size: 0
    .kernarg_segment_align: 8
    .kernarg_segment_size: 88
    .language:       OpenCL C
    .language_version:
      - 2
      - 0
    .max_flat_workgroup_size: 512
    .name:           _ZN7rocprim17ROCPRIM_400000_NS6detail17trampoline_kernelINS0_14default_configENS1_21merge_config_selectorIsNS0_10empty_typeEEEZNS1_10merge_implIS3_N6thrust23THRUST_200600_302600_NS6detail15normal_iteratorINS9_10device_ptrIKsEEEESF_NSB_INSC_IsEEEEPS5_SI_SI_NS9_7greaterIsEEEE10hipError_tPvRmT0_T1_T2_T3_T4_T5_mmT6_P12ihipStream_tbEUlT_E0_NS1_11comp_targetILNS1_3genE10ELNS1_11target_archE1200ELNS1_3gpuE4ELNS1_3repE0EEENS1_30default_config_static_selectorELNS0_4arch9wavefront6targetE1EEEvSP_
    .private_segment_fixed_size: 0
    .sgpr_count:     4
    .sgpr_spill_count: 0
    .symbol:         _ZN7rocprim17ROCPRIM_400000_NS6detail17trampoline_kernelINS0_14default_configENS1_21merge_config_selectorIsNS0_10empty_typeEEEZNS1_10merge_implIS3_N6thrust23THRUST_200600_302600_NS6detail15normal_iteratorINS9_10device_ptrIKsEEEESF_NSB_INSC_IsEEEEPS5_SI_SI_NS9_7greaterIsEEEE10hipError_tPvRmT0_T1_T2_T3_T4_T5_mmT6_P12ihipStream_tbEUlT_E0_NS1_11comp_targetILNS1_3genE10ELNS1_11target_archE1200ELNS1_3gpuE4ELNS1_3repE0EEENS1_30default_config_static_selectorELNS0_4arch9wavefront6targetE1EEEvSP_.kd
    .uniform_work_group_size: 1
    .uses_dynamic_stack: false
    .vgpr_count:     0
    .vgpr_spill_count: 0
    .wavefront_size: 64
  - .agpr_count:     0
    .args:
      - .offset:         0
        .size:           88
        .value_kind:     by_value
    .group_segment_fixed_size: 0
    .kernarg_segment_align: 8
    .kernarg_segment_size: 88
    .language:       OpenCL C
    .language_version:
      - 2
      - 0
    .max_flat_workgroup_size: 512
    .name:           _ZN7rocprim17ROCPRIM_400000_NS6detail17trampoline_kernelINS0_14default_configENS1_21merge_config_selectorIsNS0_10empty_typeEEEZNS1_10merge_implIS3_N6thrust23THRUST_200600_302600_NS6detail15normal_iteratorINS9_10device_ptrIKsEEEESF_NSB_INSC_IsEEEEPS5_SI_SI_NS9_7greaterIsEEEE10hipError_tPvRmT0_T1_T2_T3_T4_T5_mmT6_P12ihipStream_tbEUlT_E0_NS1_11comp_targetILNS1_3genE9ELNS1_11target_archE1100ELNS1_3gpuE3ELNS1_3repE0EEENS1_30default_config_static_selectorELNS0_4arch9wavefront6targetE1EEEvSP_
    .private_segment_fixed_size: 0
    .sgpr_count:     4
    .sgpr_spill_count: 0
    .symbol:         _ZN7rocprim17ROCPRIM_400000_NS6detail17trampoline_kernelINS0_14default_configENS1_21merge_config_selectorIsNS0_10empty_typeEEEZNS1_10merge_implIS3_N6thrust23THRUST_200600_302600_NS6detail15normal_iteratorINS9_10device_ptrIKsEEEESF_NSB_INSC_IsEEEEPS5_SI_SI_NS9_7greaterIsEEEE10hipError_tPvRmT0_T1_T2_T3_T4_T5_mmT6_P12ihipStream_tbEUlT_E0_NS1_11comp_targetILNS1_3genE9ELNS1_11target_archE1100ELNS1_3gpuE3ELNS1_3repE0EEENS1_30default_config_static_selectorELNS0_4arch9wavefront6targetE1EEEvSP_.kd
    .uniform_work_group_size: 1
    .uses_dynamic_stack: false
    .vgpr_count:     0
    .vgpr_spill_count: 0
    .wavefront_size: 64
  - .agpr_count:     0
    .args:
      - .offset:         0
        .size:           88
        .value_kind:     by_value
    .group_segment_fixed_size: 0
    .kernarg_segment_align: 8
    .kernarg_segment_size: 88
    .language:       OpenCL C
    .language_version:
      - 2
      - 0
    .max_flat_workgroup_size: 256
    .name:           _ZN7rocprim17ROCPRIM_400000_NS6detail17trampoline_kernelINS0_14default_configENS1_21merge_config_selectorIsNS0_10empty_typeEEEZNS1_10merge_implIS3_N6thrust23THRUST_200600_302600_NS6detail15normal_iteratorINS9_10device_ptrIKsEEEESF_NSB_INSC_IsEEEEPS5_SI_SI_NS9_7greaterIsEEEE10hipError_tPvRmT0_T1_T2_T3_T4_T5_mmT6_P12ihipStream_tbEUlT_E0_NS1_11comp_targetILNS1_3genE8ELNS1_11target_archE1030ELNS1_3gpuE2ELNS1_3repE0EEENS1_30default_config_static_selectorELNS0_4arch9wavefront6targetE1EEEvSP_
    .private_segment_fixed_size: 0
    .sgpr_count:     4
    .sgpr_spill_count: 0
    .symbol:         _ZN7rocprim17ROCPRIM_400000_NS6detail17trampoline_kernelINS0_14default_configENS1_21merge_config_selectorIsNS0_10empty_typeEEEZNS1_10merge_implIS3_N6thrust23THRUST_200600_302600_NS6detail15normal_iteratorINS9_10device_ptrIKsEEEESF_NSB_INSC_IsEEEEPS5_SI_SI_NS9_7greaterIsEEEE10hipError_tPvRmT0_T1_T2_T3_T4_T5_mmT6_P12ihipStream_tbEUlT_E0_NS1_11comp_targetILNS1_3genE8ELNS1_11target_archE1030ELNS1_3gpuE2ELNS1_3repE0EEENS1_30default_config_static_selectorELNS0_4arch9wavefront6targetE1EEEvSP_.kd
    .uniform_work_group_size: 1
    .uses_dynamic_stack: false
    .vgpr_count:     0
    .vgpr_spill_count: 0
    .wavefront_size: 64
  - .agpr_count:     0
    .args:
      - .offset:         0
        .size:           4
        .value_kind:     by_value
      - .address_space:  global
        .offset:         8
        .size:           8
        .value_kind:     global_buffer
      - .address_space:  global
        .offset:         16
        .size:           8
        .value_kind:     global_buffer
      - .address_space:  global
        .offset:         24
        .size:           8
        .value_kind:     global_buffer
    .group_segment_fixed_size: 0
    .kernarg_segment_align: 8
    .kernarg_segment_size: 32
    .language:       OpenCL C
    .language_version:
      - 2
      - 0
    .max_flat_workgroup_size: 256
    .name:           _Z11MergeKernelIiEviPKT_S2_PS0_
    .private_segment_fixed_size: 0
    .sgpr_count:     20
    .sgpr_spill_count: 0
    .symbol:         _Z11MergeKernelIiEviPKT_S2_PS0_.kd
    .uniform_work_group_size: 1
    .uses_dynamic_stack: false
    .vgpr_count:     5
    .vgpr_spill_count: 0
    .wavefront_size: 64
  - .agpr_count:     0
    .args:
      - .offset:         0
        .size:           48
        .value_kind:     by_value
    .group_segment_fixed_size: 0
    .kernarg_segment_align: 8
    .kernarg_segment_size: 48
    .language:       OpenCL C
    .language_version:
      - 2
      - 0
    .max_flat_workgroup_size: 256
    .name:           _ZN7rocprim17ROCPRIM_400000_NS6detail17trampoline_kernelINS0_14default_configENS1_21merge_config_selectorIiNS0_10empty_typeEEEZNS1_10merge_implIS3_N6thrust23THRUST_200600_302600_NS10device_ptrIKiEESC_NSA_IiEEPS5_SE_SE_NS9_4lessIiEEEE10hipError_tPvRmT0_T1_T2_T3_T4_T5_mmT6_P12ihipStream_tbEUlT_E_NS1_11comp_targetILNS1_3genE0ELNS1_11target_archE4294967295ELNS1_3gpuE0ELNS1_3repE0EEENS1_30default_config_static_selectorELNS0_4arch9wavefront6targetE1EEEvSL_
    .private_segment_fixed_size: 0
    .sgpr_count:     4
    .sgpr_spill_count: 0
    .symbol:         _ZN7rocprim17ROCPRIM_400000_NS6detail17trampoline_kernelINS0_14default_configENS1_21merge_config_selectorIiNS0_10empty_typeEEEZNS1_10merge_implIS3_N6thrust23THRUST_200600_302600_NS10device_ptrIKiEESC_NSA_IiEEPS5_SE_SE_NS9_4lessIiEEEE10hipError_tPvRmT0_T1_T2_T3_T4_T5_mmT6_P12ihipStream_tbEUlT_E_NS1_11comp_targetILNS1_3genE0ELNS1_11target_archE4294967295ELNS1_3gpuE0ELNS1_3repE0EEENS1_30default_config_static_selectorELNS0_4arch9wavefront6targetE1EEEvSL_.kd
    .uniform_work_group_size: 1
    .uses_dynamic_stack: false
    .vgpr_count:     0
    .vgpr_spill_count: 0
    .wavefront_size: 64
  - .agpr_count:     0
    .args:
      - .offset:         0
        .size:           48
        .value_kind:     by_value
    .group_segment_fixed_size: 0
    .kernarg_segment_align: 8
    .kernarg_segment_size: 48
    .language:       OpenCL C
    .language_version:
      - 2
      - 0
    .max_flat_workgroup_size: 256
    .name:           _ZN7rocprim17ROCPRIM_400000_NS6detail17trampoline_kernelINS0_14default_configENS1_21merge_config_selectorIiNS0_10empty_typeEEEZNS1_10merge_implIS3_N6thrust23THRUST_200600_302600_NS10device_ptrIKiEESC_NSA_IiEEPS5_SE_SE_NS9_4lessIiEEEE10hipError_tPvRmT0_T1_T2_T3_T4_T5_mmT6_P12ihipStream_tbEUlT_E_NS1_11comp_targetILNS1_3genE5ELNS1_11target_archE942ELNS1_3gpuE9ELNS1_3repE0EEENS1_30default_config_static_selectorELNS0_4arch9wavefront6targetE1EEEvSL_
    .private_segment_fixed_size: 0
    .sgpr_count:     4
    .sgpr_spill_count: 0
    .symbol:         _ZN7rocprim17ROCPRIM_400000_NS6detail17trampoline_kernelINS0_14default_configENS1_21merge_config_selectorIiNS0_10empty_typeEEEZNS1_10merge_implIS3_N6thrust23THRUST_200600_302600_NS10device_ptrIKiEESC_NSA_IiEEPS5_SE_SE_NS9_4lessIiEEEE10hipError_tPvRmT0_T1_T2_T3_T4_T5_mmT6_P12ihipStream_tbEUlT_E_NS1_11comp_targetILNS1_3genE5ELNS1_11target_archE942ELNS1_3gpuE9ELNS1_3repE0EEENS1_30default_config_static_selectorELNS0_4arch9wavefront6targetE1EEEvSL_.kd
    .uniform_work_group_size: 1
    .uses_dynamic_stack: false
    .vgpr_count:     0
    .vgpr_spill_count: 0
    .wavefront_size: 64
  - .agpr_count:     0
    .args:
      - .offset:         0
        .size:           48
        .value_kind:     by_value
      - .offset:         48
        .size:           4
        .value_kind:     hidden_block_count_x
      - .offset:         52
        .size:           4
        .value_kind:     hidden_block_count_y
      - .offset:         56
        .size:           4
        .value_kind:     hidden_block_count_z
      - .offset:         60
        .size:           2
        .value_kind:     hidden_group_size_x
      - .offset:         62
        .size:           2
        .value_kind:     hidden_group_size_y
      - .offset:         64
        .size:           2
        .value_kind:     hidden_group_size_z
      - .offset:         66
        .size:           2
        .value_kind:     hidden_remainder_x
      - .offset:         68
        .size:           2
        .value_kind:     hidden_remainder_y
      - .offset:         70
        .size:           2
        .value_kind:     hidden_remainder_z
      - .offset:         88
        .size:           8
        .value_kind:     hidden_global_offset_x
      - .offset:         96
        .size:           8
        .value_kind:     hidden_global_offset_y
      - .offset:         104
        .size:           8
        .value_kind:     hidden_global_offset_z
      - .offset:         112
        .size:           2
        .value_kind:     hidden_grid_dims
    .group_segment_fixed_size: 0
    .kernarg_segment_align: 8
    .kernarg_segment_size: 304
    .language:       OpenCL C
    .language_version:
      - 2
      - 0
    .max_flat_workgroup_size: 256
    .name:           _ZN7rocprim17ROCPRIM_400000_NS6detail17trampoline_kernelINS0_14default_configENS1_21merge_config_selectorIiNS0_10empty_typeEEEZNS1_10merge_implIS3_N6thrust23THRUST_200600_302600_NS10device_ptrIKiEESC_NSA_IiEEPS5_SE_SE_NS9_4lessIiEEEE10hipError_tPvRmT0_T1_T2_T3_T4_T5_mmT6_P12ihipStream_tbEUlT_E_NS1_11comp_targetILNS1_3genE4ELNS1_11target_archE910ELNS1_3gpuE8ELNS1_3repE0EEENS1_30default_config_static_selectorELNS0_4arch9wavefront6targetE1EEEvSL_
    .private_segment_fixed_size: 0
    .sgpr_count:     18
    .sgpr_spill_count: 0
    .symbol:         _ZN7rocprim17ROCPRIM_400000_NS6detail17trampoline_kernelINS0_14default_configENS1_21merge_config_selectorIiNS0_10empty_typeEEEZNS1_10merge_implIS3_N6thrust23THRUST_200600_302600_NS10device_ptrIKiEESC_NSA_IiEEPS5_SE_SE_NS9_4lessIiEEEE10hipError_tPvRmT0_T1_T2_T3_T4_T5_mmT6_P12ihipStream_tbEUlT_E_NS1_11comp_targetILNS1_3genE4ELNS1_11target_archE910ELNS1_3gpuE8ELNS1_3repE0EEENS1_30default_config_static_selectorELNS0_4arch9wavefront6targetE1EEEvSL_.kd
    .uniform_work_group_size: 1
    .uses_dynamic_stack: false
    .vgpr_count:     14
    .vgpr_spill_count: 0
    .wavefront_size: 64
  - .agpr_count:     0
    .args:
      - .offset:         0
        .size:           48
        .value_kind:     by_value
    .group_segment_fixed_size: 0
    .kernarg_segment_align: 8
    .kernarg_segment_size: 48
    .language:       OpenCL C
    .language_version:
      - 2
      - 0
    .max_flat_workgroup_size: 256
    .name:           _ZN7rocprim17ROCPRIM_400000_NS6detail17trampoline_kernelINS0_14default_configENS1_21merge_config_selectorIiNS0_10empty_typeEEEZNS1_10merge_implIS3_N6thrust23THRUST_200600_302600_NS10device_ptrIKiEESC_NSA_IiEEPS5_SE_SE_NS9_4lessIiEEEE10hipError_tPvRmT0_T1_T2_T3_T4_T5_mmT6_P12ihipStream_tbEUlT_E_NS1_11comp_targetILNS1_3genE3ELNS1_11target_archE908ELNS1_3gpuE7ELNS1_3repE0EEENS1_30default_config_static_selectorELNS0_4arch9wavefront6targetE1EEEvSL_
    .private_segment_fixed_size: 0
    .sgpr_count:     4
    .sgpr_spill_count: 0
    .symbol:         _ZN7rocprim17ROCPRIM_400000_NS6detail17trampoline_kernelINS0_14default_configENS1_21merge_config_selectorIiNS0_10empty_typeEEEZNS1_10merge_implIS3_N6thrust23THRUST_200600_302600_NS10device_ptrIKiEESC_NSA_IiEEPS5_SE_SE_NS9_4lessIiEEEE10hipError_tPvRmT0_T1_T2_T3_T4_T5_mmT6_P12ihipStream_tbEUlT_E_NS1_11comp_targetILNS1_3genE3ELNS1_11target_archE908ELNS1_3gpuE7ELNS1_3repE0EEENS1_30default_config_static_selectorELNS0_4arch9wavefront6targetE1EEEvSL_.kd
    .uniform_work_group_size: 1
    .uses_dynamic_stack: false
    .vgpr_count:     0
    .vgpr_spill_count: 0
    .wavefront_size: 64
  - .agpr_count:     0
    .args:
      - .offset:         0
        .size:           48
        .value_kind:     by_value
    .group_segment_fixed_size: 0
    .kernarg_segment_align: 8
    .kernarg_segment_size: 48
    .language:       OpenCL C
    .language_version:
      - 2
      - 0
    .max_flat_workgroup_size: 256
    .name:           _ZN7rocprim17ROCPRIM_400000_NS6detail17trampoline_kernelINS0_14default_configENS1_21merge_config_selectorIiNS0_10empty_typeEEEZNS1_10merge_implIS3_N6thrust23THRUST_200600_302600_NS10device_ptrIKiEESC_NSA_IiEEPS5_SE_SE_NS9_4lessIiEEEE10hipError_tPvRmT0_T1_T2_T3_T4_T5_mmT6_P12ihipStream_tbEUlT_E_NS1_11comp_targetILNS1_3genE2ELNS1_11target_archE906ELNS1_3gpuE6ELNS1_3repE0EEENS1_30default_config_static_selectorELNS0_4arch9wavefront6targetE1EEEvSL_
    .private_segment_fixed_size: 0
    .sgpr_count:     4
    .sgpr_spill_count: 0
    .symbol:         _ZN7rocprim17ROCPRIM_400000_NS6detail17trampoline_kernelINS0_14default_configENS1_21merge_config_selectorIiNS0_10empty_typeEEEZNS1_10merge_implIS3_N6thrust23THRUST_200600_302600_NS10device_ptrIKiEESC_NSA_IiEEPS5_SE_SE_NS9_4lessIiEEEE10hipError_tPvRmT0_T1_T2_T3_T4_T5_mmT6_P12ihipStream_tbEUlT_E_NS1_11comp_targetILNS1_3genE2ELNS1_11target_archE906ELNS1_3gpuE6ELNS1_3repE0EEENS1_30default_config_static_selectorELNS0_4arch9wavefront6targetE1EEEvSL_.kd
    .uniform_work_group_size: 1
    .uses_dynamic_stack: false
    .vgpr_count:     0
    .vgpr_spill_count: 0
    .wavefront_size: 64
  - .agpr_count:     0
    .args:
      - .offset:         0
        .size:           48
        .value_kind:     by_value
    .group_segment_fixed_size: 0
    .kernarg_segment_align: 8
    .kernarg_segment_size: 48
    .language:       OpenCL C
    .language_version:
      - 2
      - 0
    .max_flat_workgroup_size: 1024
    .name:           _ZN7rocprim17ROCPRIM_400000_NS6detail17trampoline_kernelINS0_14default_configENS1_21merge_config_selectorIiNS0_10empty_typeEEEZNS1_10merge_implIS3_N6thrust23THRUST_200600_302600_NS10device_ptrIKiEESC_NSA_IiEEPS5_SE_SE_NS9_4lessIiEEEE10hipError_tPvRmT0_T1_T2_T3_T4_T5_mmT6_P12ihipStream_tbEUlT_E_NS1_11comp_targetILNS1_3genE10ELNS1_11target_archE1201ELNS1_3gpuE5ELNS1_3repE0EEENS1_30default_config_static_selectorELNS0_4arch9wavefront6targetE1EEEvSL_
    .private_segment_fixed_size: 0
    .sgpr_count:     4
    .sgpr_spill_count: 0
    .symbol:         _ZN7rocprim17ROCPRIM_400000_NS6detail17trampoline_kernelINS0_14default_configENS1_21merge_config_selectorIiNS0_10empty_typeEEEZNS1_10merge_implIS3_N6thrust23THRUST_200600_302600_NS10device_ptrIKiEESC_NSA_IiEEPS5_SE_SE_NS9_4lessIiEEEE10hipError_tPvRmT0_T1_T2_T3_T4_T5_mmT6_P12ihipStream_tbEUlT_E_NS1_11comp_targetILNS1_3genE10ELNS1_11target_archE1201ELNS1_3gpuE5ELNS1_3repE0EEENS1_30default_config_static_selectorELNS0_4arch9wavefront6targetE1EEEvSL_.kd
    .uniform_work_group_size: 1
    .uses_dynamic_stack: false
    .vgpr_count:     0
    .vgpr_spill_count: 0
    .wavefront_size: 64
  - .agpr_count:     0
    .args:
      - .offset:         0
        .size:           48
        .value_kind:     by_value
    .group_segment_fixed_size: 0
    .kernarg_segment_align: 8
    .kernarg_segment_size: 48
    .language:       OpenCL C
    .language_version:
      - 2
      - 0
    .max_flat_workgroup_size: 1024
    .name:           _ZN7rocprim17ROCPRIM_400000_NS6detail17trampoline_kernelINS0_14default_configENS1_21merge_config_selectorIiNS0_10empty_typeEEEZNS1_10merge_implIS3_N6thrust23THRUST_200600_302600_NS10device_ptrIKiEESC_NSA_IiEEPS5_SE_SE_NS9_4lessIiEEEE10hipError_tPvRmT0_T1_T2_T3_T4_T5_mmT6_P12ihipStream_tbEUlT_E_NS1_11comp_targetILNS1_3genE10ELNS1_11target_archE1200ELNS1_3gpuE4ELNS1_3repE0EEENS1_30default_config_static_selectorELNS0_4arch9wavefront6targetE1EEEvSL_
    .private_segment_fixed_size: 0
    .sgpr_count:     4
    .sgpr_spill_count: 0
    .symbol:         _ZN7rocprim17ROCPRIM_400000_NS6detail17trampoline_kernelINS0_14default_configENS1_21merge_config_selectorIiNS0_10empty_typeEEEZNS1_10merge_implIS3_N6thrust23THRUST_200600_302600_NS10device_ptrIKiEESC_NSA_IiEEPS5_SE_SE_NS9_4lessIiEEEE10hipError_tPvRmT0_T1_T2_T3_T4_T5_mmT6_P12ihipStream_tbEUlT_E_NS1_11comp_targetILNS1_3genE10ELNS1_11target_archE1200ELNS1_3gpuE4ELNS1_3repE0EEENS1_30default_config_static_selectorELNS0_4arch9wavefront6targetE1EEEvSL_.kd
    .uniform_work_group_size: 1
    .uses_dynamic_stack: false
    .vgpr_count:     0
    .vgpr_spill_count: 0
    .wavefront_size: 64
  - .agpr_count:     0
    .args:
      - .offset:         0
        .size:           48
        .value_kind:     by_value
    .group_segment_fixed_size: 0
    .kernarg_segment_align: 8
    .kernarg_segment_size: 48
    .language:       OpenCL C
    .language_version:
      - 2
      - 0
    .max_flat_workgroup_size: 1024
    .name:           _ZN7rocprim17ROCPRIM_400000_NS6detail17trampoline_kernelINS0_14default_configENS1_21merge_config_selectorIiNS0_10empty_typeEEEZNS1_10merge_implIS3_N6thrust23THRUST_200600_302600_NS10device_ptrIKiEESC_NSA_IiEEPS5_SE_SE_NS9_4lessIiEEEE10hipError_tPvRmT0_T1_T2_T3_T4_T5_mmT6_P12ihipStream_tbEUlT_E_NS1_11comp_targetILNS1_3genE9ELNS1_11target_archE1100ELNS1_3gpuE3ELNS1_3repE0EEENS1_30default_config_static_selectorELNS0_4arch9wavefront6targetE1EEEvSL_
    .private_segment_fixed_size: 0
    .sgpr_count:     4
    .sgpr_spill_count: 0
    .symbol:         _ZN7rocprim17ROCPRIM_400000_NS6detail17trampoline_kernelINS0_14default_configENS1_21merge_config_selectorIiNS0_10empty_typeEEEZNS1_10merge_implIS3_N6thrust23THRUST_200600_302600_NS10device_ptrIKiEESC_NSA_IiEEPS5_SE_SE_NS9_4lessIiEEEE10hipError_tPvRmT0_T1_T2_T3_T4_T5_mmT6_P12ihipStream_tbEUlT_E_NS1_11comp_targetILNS1_3genE9ELNS1_11target_archE1100ELNS1_3gpuE3ELNS1_3repE0EEENS1_30default_config_static_selectorELNS0_4arch9wavefront6targetE1EEEvSL_.kd
    .uniform_work_group_size: 1
    .uses_dynamic_stack: false
    .vgpr_count:     0
    .vgpr_spill_count: 0
    .wavefront_size: 64
  - .agpr_count:     0
    .args:
      - .offset:         0
        .size:           48
        .value_kind:     by_value
    .group_segment_fixed_size: 0
    .kernarg_segment_align: 8
    .kernarg_segment_size: 48
    .language:       OpenCL C
    .language_version:
      - 2
      - 0
    .max_flat_workgroup_size: 1024
    .name:           _ZN7rocprim17ROCPRIM_400000_NS6detail17trampoline_kernelINS0_14default_configENS1_21merge_config_selectorIiNS0_10empty_typeEEEZNS1_10merge_implIS3_N6thrust23THRUST_200600_302600_NS10device_ptrIKiEESC_NSA_IiEEPS5_SE_SE_NS9_4lessIiEEEE10hipError_tPvRmT0_T1_T2_T3_T4_T5_mmT6_P12ihipStream_tbEUlT_E_NS1_11comp_targetILNS1_3genE8ELNS1_11target_archE1030ELNS1_3gpuE2ELNS1_3repE0EEENS1_30default_config_static_selectorELNS0_4arch9wavefront6targetE1EEEvSL_
    .private_segment_fixed_size: 0
    .sgpr_count:     4
    .sgpr_spill_count: 0
    .symbol:         _ZN7rocprim17ROCPRIM_400000_NS6detail17trampoline_kernelINS0_14default_configENS1_21merge_config_selectorIiNS0_10empty_typeEEEZNS1_10merge_implIS3_N6thrust23THRUST_200600_302600_NS10device_ptrIKiEESC_NSA_IiEEPS5_SE_SE_NS9_4lessIiEEEE10hipError_tPvRmT0_T1_T2_T3_T4_T5_mmT6_P12ihipStream_tbEUlT_E_NS1_11comp_targetILNS1_3genE8ELNS1_11target_archE1030ELNS1_3gpuE2ELNS1_3repE0EEENS1_30default_config_static_selectorELNS0_4arch9wavefront6targetE1EEEvSL_.kd
    .uniform_work_group_size: 1
    .uses_dynamic_stack: false
    .vgpr_count:     0
    .vgpr_spill_count: 0
    .wavefront_size: 64
  - .agpr_count:     0
    .args:
      - .offset:         0
        .size:           88
        .value_kind:     by_value
    .group_segment_fixed_size: 0
    .kernarg_segment_align: 8
    .kernarg_segment_size: 88
    .language:       OpenCL C
    .language_version:
      - 2
      - 0
    .max_flat_workgroup_size: 256
    .name:           _ZN7rocprim17ROCPRIM_400000_NS6detail17trampoline_kernelINS0_14default_configENS1_21merge_config_selectorIiNS0_10empty_typeEEEZNS1_10merge_implIS3_N6thrust23THRUST_200600_302600_NS10device_ptrIKiEESC_NSA_IiEEPS5_SE_SE_NS9_4lessIiEEEE10hipError_tPvRmT0_T1_T2_T3_T4_T5_mmT6_P12ihipStream_tbEUlT_E0_NS1_11comp_targetILNS1_3genE0ELNS1_11target_archE4294967295ELNS1_3gpuE0ELNS1_3repE0EEENS1_30default_config_static_selectorELNS0_4arch9wavefront6targetE1EEEvSL_
    .private_segment_fixed_size: 0
    .sgpr_count:     4
    .sgpr_spill_count: 0
    .symbol:         _ZN7rocprim17ROCPRIM_400000_NS6detail17trampoline_kernelINS0_14default_configENS1_21merge_config_selectorIiNS0_10empty_typeEEEZNS1_10merge_implIS3_N6thrust23THRUST_200600_302600_NS10device_ptrIKiEESC_NSA_IiEEPS5_SE_SE_NS9_4lessIiEEEE10hipError_tPvRmT0_T1_T2_T3_T4_T5_mmT6_P12ihipStream_tbEUlT_E0_NS1_11comp_targetILNS1_3genE0ELNS1_11target_archE4294967295ELNS1_3gpuE0ELNS1_3repE0EEENS1_30default_config_static_selectorELNS0_4arch9wavefront6targetE1EEEvSL_.kd
    .uniform_work_group_size: 1
    .uses_dynamic_stack: false
    .vgpr_count:     0
    .vgpr_spill_count: 0
    .wavefront_size: 64
  - .agpr_count:     0
    .args:
      - .offset:         0
        .size:           88
        .value_kind:     by_value
    .group_segment_fixed_size: 0
    .kernarg_segment_align: 8
    .kernarg_segment_size: 88
    .language:       OpenCL C
    .language_version:
      - 2
      - 0
    .max_flat_workgroup_size: 256
    .name:           _ZN7rocprim17ROCPRIM_400000_NS6detail17trampoline_kernelINS0_14default_configENS1_21merge_config_selectorIiNS0_10empty_typeEEEZNS1_10merge_implIS3_N6thrust23THRUST_200600_302600_NS10device_ptrIKiEESC_NSA_IiEEPS5_SE_SE_NS9_4lessIiEEEE10hipError_tPvRmT0_T1_T2_T3_T4_T5_mmT6_P12ihipStream_tbEUlT_E0_NS1_11comp_targetILNS1_3genE5ELNS1_11target_archE942ELNS1_3gpuE9ELNS1_3repE0EEENS1_30default_config_static_selectorELNS0_4arch9wavefront6targetE1EEEvSL_
    .private_segment_fixed_size: 0
    .sgpr_count:     4
    .sgpr_spill_count: 0
    .symbol:         _ZN7rocprim17ROCPRIM_400000_NS6detail17trampoline_kernelINS0_14default_configENS1_21merge_config_selectorIiNS0_10empty_typeEEEZNS1_10merge_implIS3_N6thrust23THRUST_200600_302600_NS10device_ptrIKiEESC_NSA_IiEEPS5_SE_SE_NS9_4lessIiEEEE10hipError_tPvRmT0_T1_T2_T3_T4_T5_mmT6_P12ihipStream_tbEUlT_E0_NS1_11comp_targetILNS1_3genE5ELNS1_11target_archE942ELNS1_3gpuE9ELNS1_3repE0EEENS1_30default_config_static_selectorELNS0_4arch9wavefront6targetE1EEEvSL_.kd
    .uniform_work_group_size: 1
    .uses_dynamic_stack: false
    .vgpr_count:     0
    .vgpr_spill_count: 0
    .wavefront_size: 64
  - .agpr_count:     0
    .args:
      - .offset:         0
        .size:           88
        .value_kind:     by_value
    .group_segment_fixed_size: 10256
    .kernarg_segment_align: 8
    .kernarg_segment_size: 88
    .language:       OpenCL C
    .language_version:
      - 2
      - 0
    .max_flat_workgroup_size: 256
    .name:           _ZN7rocprim17ROCPRIM_400000_NS6detail17trampoline_kernelINS0_14default_configENS1_21merge_config_selectorIiNS0_10empty_typeEEEZNS1_10merge_implIS3_N6thrust23THRUST_200600_302600_NS10device_ptrIKiEESC_NSA_IiEEPS5_SE_SE_NS9_4lessIiEEEE10hipError_tPvRmT0_T1_T2_T3_T4_T5_mmT6_P12ihipStream_tbEUlT_E0_NS1_11comp_targetILNS1_3genE4ELNS1_11target_archE910ELNS1_3gpuE8ELNS1_3repE0EEENS1_30default_config_static_selectorELNS0_4arch9wavefront6targetE1EEEvSL_
    .private_segment_fixed_size: 0
    .sgpr_count:     28
    .sgpr_spill_count: 0
    .symbol:         _ZN7rocprim17ROCPRIM_400000_NS6detail17trampoline_kernelINS0_14default_configENS1_21merge_config_selectorIiNS0_10empty_typeEEEZNS1_10merge_implIS3_N6thrust23THRUST_200600_302600_NS10device_ptrIKiEESC_NSA_IiEEPS5_SE_SE_NS9_4lessIiEEEE10hipError_tPvRmT0_T1_T2_T3_T4_T5_mmT6_P12ihipStream_tbEUlT_E0_NS1_11comp_targetILNS1_3genE4ELNS1_11target_archE910ELNS1_3gpuE8ELNS1_3repE0EEENS1_30default_config_static_selectorELNS0_4arch9wavefront6targetE1EEEvSL_.kd
    .uniform_work_group_size: 1
    .uses_dynamic_stack: false
    .vgpr_count:     36
    .vgpr_spill_count: 0
    .wavefront_size: 64
  - .agpr_count:     0
    .args:
      - .offset:         0
        .size:           88
        .value_kind:     by_value
    .group_segment_fixed_size: 0
    .kernarg_segment_align: 8
    .kernarg_segment_size: 88
    .language:       OpenCL C
    .language_version:
      - 2
      - 0
    .max_flat_workgroup_size: 256
    .name:           _ZN7rocprim17ROCPRIM_400000_NS6detail17trampoline_kernelINS0_14default_configENS1_21merge_config_selectorIiNS0_10empty_typeEEEZNS1_10merge_implIS3_N6thrust23THRUST_200600_302600_NS10device_ptrIKiEESC_NSA_IiEEPS5_SE_SE_NS9_4lessIiEEEE10hipError_tPvRmT0_T1_T2_T3_T4_T5_mmT6_P12ihipStream_tbEUlT_E0_NS1_11comp_targetILNS1_3genE3ELNS1_11target_archE908ELNS1_3gpuE7ELNS1_3repE0EEENS1_30default_config_static_selectorELNS0_4arch9wavefront6targetE1EEEvSL_
    .private_segment_fixed_size: 0
    .sgpr_count:     4
    .sgpr_spill_count: 0
    .symbol:         _ZN7rocprim17ROCPRIM_400000_NS6detail17trampoline_kernelINS0_14default_configENS1_21merge_config_selectorIiNS0_10empty_typeEEEZNS1_10merge_implIS3_N6thrust23THRUST_200600_302600_NS10device_ptrIKiEESC_NSA_IiEEPS5_SE_SE_NS9_4lessIiEEEE10hipError_tPvRmT0_T1_T2_T3_T4_T5_mmT6_P12ihipStream_tbEUlT_E0_NS1_11comp_targetILNS1_3genE3ELNS1_11target_archE908ELNS1_3gpuE7ELNS1_3repE0EEENS1_30default_config_static_selectorELNS0_4arch9wavefront6targetE1EEEvSL_.kd
    .uniform_work_group_size: 1
    .uses_dynamic_stack: false
    .vgpr_count:     0
    .vgpr_spill_count: 0
    .wavefront_size: 64
  - .agpr_count:     0
    .args:
      - .offset:         0
        .size:           88
        .value_kind:     by_value
    .group_segment_fixed_size: 0
    .kernarg_segment_align: 8
    .kernarg_segment_size: 88
    .language:       OpenCL C
    .language_version:
      - 2
      - 0
    .max_flat_workgroup_size: 256
    .name:           _ZN7rocprim17ROCPRIM_400000_NS6detail17trampoline_kernelINS0_14default_configENS1_21merge_config_selectorIiNS0_10empty_typeEEEZNS1_10merge_implIS3_N6thrust23THRUST_200600_302600_NS10device_ptrIKiEESC_NSA_IiEEPS5_SE_SE_NS9_4lessIiEEEE10hipError_tPvRmT0_T1_T2_T3_T4_T5_mmT6_P12ihipStream_tbEUlT_E0_NS1_11comp_targetILNS1_3genE2ELNS1_11target_archE906ELNS1_3gpuE6ELNS1_3repE0EEENS1_30default_config_static_selectorELNS0_4arch9wavefront6targetE1EEEvSL_
    .private_segment_fixed_size: 0
    .sgpr_count:     4
    .sgpr_spill_count: 0
    .symbol:         _ZN7rocprim17ROCPRIM_400000_NS6detail17trampoline_kernelINS0_14default_configENS1_21merge_config_selectorIiNS0_10empty_typeEEEZNS1_10merge_implIS3_N6thrust23THRUST_200600_302600_NS10device_ptrIKiEESC_NSA_IiEEPS5_SE_SE_NS9_4lessIiEEEE10hipError_tPvRmT0_T1_T2_T3_T4_T5_mmT6_P12ihipStream_tbEUlT_E0_NS1_11comp_targetILNS1_3genE2ELNS1_11target_archE906ELNS1_3gpuE6ELNS1_3repE0EEENS1_30default_config_static_selectorELNS0_4arch9wavefront6targetE1EEEvSL_.kd
    .uniform_work_group_size: 1
    .uses_dynamic_stack: false
    .vgpr_count:     0
    .vgpr_spill_count: 0
    .wavefront_size: 64
  - .agpr_count:     0
    .args:
      - .offset:         0
        .size:           88
        .value_kind:     by_value
    .group_segment_fixed_size: 0
    .kernarg_segment_align: 8
    .kernarg_segment_size: 88
    .language:       OpenCL C
    .language_version:
      - 2
      - 0
    .max_flat_workgroup_size: 1024
    .name:           _ZN7rocprim17ROCPRIM_400000_NS6detail17trampoline_kernelINS0_14default_configENS1_21merge_config_selectorIiNS0_10empty_typeEEEZNS1_10merge_implIS3_N6thrust23THRUST_200600_302600_NS10device_ptrIKiEESC_NSA_IiEEPS5_SE_SE_NS9_4lessIiEEEE10hipError_tPvRmT0_T1_T2_T3_T4_T5_mmT6_P12ihipStream_tbEUlT_E0_NS1_11comp_targetILNS1_3genE10ELNS1_11target_archE1201ELNS1_3gpuE5ELNS1_3repE0EEENS1_30default_config_static_selectorELNS0_4arch9wavefront6targetE1EEEvSL_
    .private_segment_fixed_size: 0
    .sgpr_count:     4
    .sgpr_spill_count: 0
    .symbol:         _ZN7rocprim17ROCPRIM_400000_NS6detail17trampoline_kernelINS0_14default_configENS1_21merge_config_selectorIiNS0_10empty_typeEEEZNS1_10merge_implIS3_N6thrust23THRUST_200600_302600_NS10device_ptrIKiEESC_NSA_IiEEPS5_SE_SE_NS9_4lessIiEEEE10hipError_tPvRmT0_T1_T2_T3_T4_T5_mmT6_P12ihipStream_tbEUlT_E0_NS1_11comp_targetILNS1_3genE10ELNS1_11target_archE1201ELNS1_3gpuE5ELNS1_3repE0EEENS1_30default_config_static_selectorELNS0_4arch9wavefront6targetE1EEEvSL_.kd
    .uniform_work_group_size: 1
    .uses_dynamic_stack: false
    .vgpr_count:     0
    .vgpr_spill_count: 0
    .wavefront_size: 64
  - .agpr_count:     0
    .args:
      - .offset:         0
        .size:           88
        .value_kind:     by_value
    .group_segment_fixed_size: 0
    .kernarg_segment_align: 8
    .kernarg_segment_size: 88
    .language:       OpenCL C
    .language_version:
      - 2
      - 0
    .max_flat_workgroup_size: 1024
    .name:           _ZN7rocprim17ROCPRIM_400000_NS6detail17trampoline_kernelINS0_14default_configENS1_21merge_config_selectorIiNS0_10empty_typeEEEZNS1_10merge_implIS3_N6thrust23THRUST_200600_302600_NS10device_ptrIKiEESC_NSA_IiEEPS5_SE_SE_NS9_4lessIiEEEE10hipError_tPvRmT0_T1_T2_T3_T4_T5_mmT6_P12ihipStream_tbEUlT_E0_NS1_11comp_targetILNS1_3genE10ELNS1_11target_archE1200ELNS1_3gpuE4ELNS1_3repE0EEENS1_30default_config_static_selectorELNS0_4arch9wavefront6targetE1EEEvSL_
    .private_segment_fixed_size: 0
    .sgpr_count:     4
    .sgpr_spill_count: 0
    .symbol:         _ZN7rocprim17ROCPRIM_400000_NS6detail17trampoline_kernelINS0_14default_configENS1_21merge_config_selectorIiNS0_10empty_typeEEEZNS1_10merge_implIS3_N6thrust23THRUST_200600_302600_NS10device_ptrIKiEESC_NSA_IiEEPS5_SE_SE_NS9_4lessIiEEEE10hipError_tPvRmT0_T1_T2_T3_T4_T5_mmT6_P12ihipStream_tbEUlT_E0_NS1_11comp_targetILNS1_3genE10ELNS1_11target_archE1200ELNS1_3gpuE4ELNS1_3repE0EEENS1_30default_config_static_selectorELNS0_4arch9wavefront6targetE1EEEvSL_.kd
    .uniform_work_group_size: 1
    .uses_dynamic_stack: false
    .vgpr_count:     0
    .vgpr_spill_count: 0
    .wavefront_size: 64
  - .agpr_count:     0
    .args:
      - .offset:         0
        .size:           88
        .value_kind:     by_value
    .group_segment_fixed_size: 0
    .kernarg_segment_align: 8
    .kernarg_segment_size: 88
    .language:       OpenCL C
    .language_version:
      - 2
      - 0
    .max_flat_workgroup_size: 1024
    .name:           _ZN7rocprim17ROCPRIM_400000_NS6detail17trampoline_kernelINS0_14default_configENS1_21merge_config_selectorIiNS0_10empty_typeEEEZNS1_10merge_implIS3_N6thrust23THRUST_200600_302600_NS10device_ptrIKiEESC_NSA_IiEEPS5_SE_SE_NS9_4lessIiEEEE10hipError_tPvRmT0_T1_T2_T3_T4_T5_mmT6_P12ihipStream_tbEUlT_E0_NS1_11comp_targetILNS1_3genE9ELNS1_11target_archE1100ELNS1_3gpuE3ELNS1_3repE0EEENS1_30default_config_static_selectorELNS0_4arch9wavefront6targetE1EEEvSL_
    .private_segment_fixed_size: 0
    .sgpr_count:     4
    .sgpr_spill_count: 0
    .symbol:         _ZN7rocprim17ROCPRIM_400000_NS6detail17trampoline_kernelINS0_14default_configENS1_21merge_config_selectorIiNS0_10empty_typeEEEZNS1_10merge_implIS3_N6thrust23THRUST_200600_302600_NS10device_ptrIKiEESC_NSA_IiEEPS5_SE_SE_NS9_4lessIiEEEE10hipError_tPvRmT0_T1_T2_T3_T4_T5_mmT6_P12ihipStream_tbEUlT_E0_NS1_11comp_targetILNS1_3genE9ELNS1_11target_archE1100ELNS1_3gpuE3ELNS1_3repE0EEENS1_30default_config_static_selectorELNS0_4arch9wavefront6targetE1EEEvSL_.kd
    .uniform_work_group_size: 1
    .uses_dynamic_stack: false
    .vgpr_count:     0
    .vgpr_spill_count: 0
    .wavefront_size: 64
  - .agpr_count:     0
    .args:
      - .offset:         0
        .size:           88
        .value_kind:     by_value
    .group_segment_fixed_size: 0
    .kernarg_segment_align: 8
    .kernarg_segment_size: 88
    .language:       OpenCL C
    .language_version:
      - 2
      - 0
    .max_flat_workgroup_size: 1024
    .name:           _ZN7rocprim17ROCPRIM_400000_NS6detail17trampoline_kernelINS0_14default_configENS1_21merge_config_selectorIiNS0_10empty_typeEEEZNS1_10merge_implIS3_N6thrust23THRUST_200600_302600_NS10device_ptrIKiEESC_NSA_IiEEPS5_SE_SE_NS9_4lessIiEEEE10hipError_tPvRmT0_T1_T2_T3_T4_T5_mmT6_P12ihipStream_tbEUlT_E0_NS1_11comp_targetILNS1_3genE8ELNS1_11target_archE1030ELNS1_3gpuE2ELNS1_3repE0EEENS1_30default_config_static_selectorELNS0_4arch9wavefront6targetE1EEEvSL_
    .private_segment_fixed_size: 0
    .sgpr_count:     4
    .sgpr_spill_count: 0
    .symbol:         _ZN7rocprim17ROCPRIM_400000_NS6detail17trampoline_kernelINS0_14default_configENS1_21merge_config_selectorIiNS0_10empty_typeEEEZNS1_10merge_implIS3_N6thrust23THRUST_200600_302600_NS10device_ptrIKiEESC_NSA_IiEEPS5_SE_SE_NS9_4lessIiEEEE10hipError_tPvRmT0_T1_T2_T3_T4_T5_mmT6_P12ihipStream_tbEUlT_E0_NS1_11comp_targetILNS1_3genE8ELNS1_11target_archE1030ELNS1_3gpuE2ELNS1_3repE0EEENS1_30default_config_static_selectorELNS0_4arch9wavefront6targetE1EEEvSL_.kd
    .uniform_work_group_size: 1
    .uses_dynamic_stack: false
    .vgpr_count:     0
    .vgpr_spill_count: 0
    .wavefront_size: 64
amdhsa.target:   amdgcn-amd-amdhsa--gfx90a
amdhsa.version:
  - 1
  - 2
...

	.end_amdgpu_metadata
